;; amdgpu-corpus repo=ROCm/rocSPARSE kind=compiled arch=gfx1030 opt=O3
	.amdgcn_target "amdgcn-amd-amdhsa--gfx1030"
	.amdhsa_code_object_version 6
	.section	.text._ZN9rocsparseL19gebsrmvn_3xn_kernelILj128ELj1ELj4EfEEvi20rocsparse_direction_NS_24const_host_device_scalarIT2_EEPKiS6_PKS3_S8_S4_PS3_21rocsparse_index_base_b,"axG",@progbits,_ZN9rocsparseL19gebsrmvn_3xn_kernelILj128ELj1ELj4EfEEvi20rocsparse_direction_NS_24const_host_device_scalarIT2_EEPKiS6_PKS3_S8_S4_PS3_21rocsparse_index_base_b,comdat
	.globl	_ZN9rocsparseL19gebsrmvn_3xn_kernelILj128ELj1ELj4EfEEvi20rocsparse_direction_NS_24const_host_device_scalarIT2_EEPKiS6_PKS3_S8_S4_PS3_21rocsparse_index_base_b ; -- Begin function _ZN9rocsparseL19gebsrmvn_3xn_kernelILj128ELj1ELj4EfEEvi20rocsparse_direction_NS_24const_host_device_scalarIT2_EEPKiS6_PKS3_S8_S4_PS3_21rocsparse_index_base_b
	.p2align	8
	.type	_ZN9rocsparseL19gebsrmvn_3xn_kernelILj128ELj1ELj4EfEEvi20rocsparse_direction_NS_24const_host_device_scalarIT2_EEPKiS6_PKS3_S8_S4_PS3_21rocsparse_index_base_b,@function
_ZN9rocsparseL19gebsrmvn_3xn_kernelILj128ELj1ELj4EfEEvi20rocsparse_direction_NS_24const_host_device_scalarIT2_EEPKiS6_PKS3_S8_S4_PS3_21rocsparse_index_base_b: ; @_ZN9rocsparseL19gebsrmvn_3xn_kernelILj128ELj1ELj4EfEEvi20rocsparse_direction_NS_24const_host_device_scalarIT2_EEPKiS6_PKS3_S8_S4_PS3_21rocsparse_index_base_b
; %bb.0:
	s_clause 0x2
	s_load_dwordx2 s[18:19], s[4:5], 0x40
	s_load_dwordx2 s[16:17], s[4:5], 0x8
	;; [unrolled: 1-line block ×3, first 2 shown]
	s_waitcnt lgkmcnt(0)
	s_bitcmp1_b32 s19, 0
	s_cselect_b32 s0, -1, 0
	s_and_b32 vcc_lo, exec_lo, s0
	s_xor_b32 s0, s0, -1
	s_cbranch_vccnz .LBB0_2
; %bb.1:
	s_load_dword s16, s[16:17], 0x0
.LBB0_2:
	s_andn2_b32 vcc_lo, exec_lo, s0
	s_cbranch_vccnz .LBB0_4
; %bb.3:
	s_load_dword s2, s[2:3], 0x0
.LBB0_4:
	s_waitcnt lgkmcnt(0)
	v_cmp_eq_f32_e64 s0, s16, 0
	v_cmp_eq_f32_e64 s1, s2, 1.0
	s_and_b32 s0, s0, s1
	s_and_b32 vcc_lo, exec_lo, s0
	s_cbranch_vccnz .LBB0_23
; %bb.5:
	s_load_dwordx2 s[0:1], s[4:5], 0x0
	v_lshrrev_b32_e32 v1, 2, v0
	v_lshl_or_b32 v1, s6, 5, v1
	s_waitcnt lgkmcnt(0)
	v_cmp_gt_i32_e32 vcc_lo, s0, v1
	s_and_saveexec_b32 s0, vcc_lo
	s_cbranch_execz .LBB0_23
; %bb.6:
	s_load_dwordx8 s[8:15], s[4:5], 0x10
	v_ashrrev_i32_e32 v2, 31, v1
	v_and_b32_e32 v0, 3, v0
	s_cmp_lg_u32 s1, 0
	v_lshlrev_b64 v[2:3], 2, v[1:2]
	s_waitcnt lgkmcnt(0)
	v_add_co_u32 v2, vcc_lo, s8, v2
	v_add_co_ci_u32_e64 v3, null, s9, v3, vcc_lo
	global_load_dwordx2 v[2:3], v[2:3], off
	s_waitcnt vmcnt(0)
	v_subrev_nc_u32_e32 v2, s18, v2
	v_subrev_nc_u32_e32 v10, s18, v3
	v_add_nc_u32_e32 v2, v2, v0
	v_cmp_lt_i32_e64 s0, v2, v10
	s_cbranch_scc0 .LBB0_12
; %bb.7:
	v_mov_b32_e32 v7, 0
	v_mov_b32_e32 v8, 0
	;; [unrolled: 1-line block ×3, first 2 shown]
	s_and_saveexec_b32 s1, s0
	s_cbranch_execz .LBB0_11
; %bb.8:
	v_mov_b32_e32 v4, 0
	v_lshl_add_u32 v3, v2, 1, v2
	v_mov_b32_e32 v5, v2
	s_mov_b32 s3, 0
	v_mov_b32_e32 v7, v4
	v_mov_b32_e32 v8, v4
	;; [unrolled: 1-line block ×3, first 2 shown]
.LBB0_9:                                ; =>This Inner Loop Header: Depth=1
	v_ashrrev_i32_e32 v6, 31, v5
	v_lshlrev_b64 v[15:16], 2, v[3:4]
	v_add_nc_u32_e32 v13, 2, v3
	v_mov_b32_e32 v14, v4
	v_mov_b32_e32 v17, v4
	v_lshlrev_b64 v[11:12], 2, v[5:6]
	v_add_nc_u32_e32 v5, 4, v5
	v_lshlrev_b64 v[13:14], 2, v[13:14]
	v_add_co_u32 v11, vcc_lo, s10, v11
	v_add_co_ci_u32_e64 v12, null, s11, v12, vcc_lo
	v_add_co_u32 v15, vcc_lo, s12, v15
	v_add_co_ci_u32_e64 v16, null, s13, v16, vcc_lo
	global_load_dword v6, v[11:12], off
	v_add_nc_u32_e32 v11, 1, v3
	v_mov_b32_e32 v12, v4
	global_load_dword v18, v[15:16], off
	v_add_nc_u32_e32 v3, 12, v3
	v_lshlrev_b64 v[11:12], 2, v[11:12]
	v_add_co_u32 v11, vcc_lo, s12, v11
	v_add_co_ci_u32_e64 v12, null, s13, v12, vcc_lo
	v_add_co_u32 v13, vcc_lo, s12, v13
	v_add_co_ci_u32_e64 v14, null, s13, v14, vcc_lo
	s_waitcnt vmcnt(1)
	v_subrev_nc_u32_e32 v16, s18, v6
	v_lshlrev_b64 v[15:16], 2, v[16:17]
	v_add_co_u32 v15, vcc_lo, s14, v15
	v_add_co_ci_u32_e64 v16, null, s15, v16, vcc_lo
	s_clause 0x1
	global_load_dword v6, v[11:12], off
	global_load_dword v11, v[13:14], off
	;; [unrolled: 1-line block ×3, first 2 shown]
	v_cmp_ge_i32_e32 vcc_lo, v5, v10
	s_or_b32 s3, vcc_lo, s3
	s_waitcnt vmcnt(0)
	v_fmac_f32_e32 v7, v18, v12
	v_fmac_f32_e32 v9, v6, v12
	;; [unrolled: 1-line block ×3, first 2 shown]
	s_andn2_b32 exec_lo, exec_lo, s3
	s_cbranch_execnz .LBB0_9
; %bb.10:
	s_or_b32 exec_lo, exec_lo, s3
.LBB0_11:
	s_or_b32 exec_lo, exec_lo, s1
	s_cbranch_execz .LBB0_13
	s_branch .LBB0_18
.LBB0_12:
                                        ; implicit-def: $vgpr7
                                        ; implicit-def: $vgpr8
                                        ; implicit-def: $vgpr9
.LBB0_13:
	v_mov_b32_e32 v7, 0
	v_mov_b32_e32 v8, 0
	;; [unrolled: 1-line block ×3, first 2 shown]
	s_and_saveexec_b32 s1, s0
	s_cbranch_execz .LBB0_17
; %bb.14:
	v_mov_b32_e32 v5, 0
	v_lshl_add_u32 v4, v2, 1, v2
	s_mov_b32 s0, 0
	v_mov_b32_e32 v7, v5
	v_mov_b32_e32 v8, v5
	v_mov_b32_e32 v9, v5
.LBB0_15:                               ; =>This Inner Loop Header: Depth=1
	v_ashrrev_i32_e32 v3, 31, v2
	v_lshlrev_b64 v[15:16], 2, v[4:5]
	v_add_nc_u32_e32 v13, 2, v4
	v_mov_b32_e32 v14, v5
	v_mov_b32_e32 v17, v5
	v_lshlrev_b64 v[11:12], 2, v[2:3]
	v_add_nc_u32_e32 v2, 4, v2
	v_lshlrev_b64 v[13:14], 2, v[13:14]
	v_add_co_u32 v11, vcc_lo, s10, v11
	v_add_co_ci_u32_e64 v12, null, s11, v12, vcc_lo
	v_add_co_u32 v15, vcc_lo, s12, v15
	v_add_co_ci_u32_e64 v16, null, s13, v16, vcc_lo
	global_load_dword v3, v[11:12], off
	v_add_nc_u32_e32 v11, 1, v4
	v_mov_b32_e32 v12, v5
	global_load_dword v6, v[15:16], off
	v_add_nc_u32_e32 v4, 12, v4
	v_lshlrev_b64 v[11:12], 2, v[11:12]
	v_add_co_u32 v11, vcc_lo, s12, v11
	v_add_co_ci_u32_e64 v12, null, s13, v12, vcc_lo
	v_add_co_u32 v13, vcc_lo, s12, v13
	v_add_co_ci_u32_e64 v14, null, s13, v14, vcc_lo
	s_waitcnt vmcnt(1)
	v_subrev_nc_u32_e32 v16, s18, v3
	v_lshlrev_b64 v[15:16], 2, v[16:17]
	v_add_co_u32 v15, vcc_lo, s14, v15
	v_add_co_ci_u32_e64 v16, null, s15, v16, vcc_lo
	s_clause 0x1
	global_load_dword v3, v[11:12], off
	global_load_dword v11, v[13:14], off
	;; [unrolled: 1-line block ×3, first 2 shown]
	v_cmp_ge_i32_e32 vcc_lo, v2, v10
	s_or_b32 s0, vcc_lo, s0
	s_waitcnt vmcnt(0)
	v_fmac_f32_e32 v7, v6, v12
	v_fmac_f32_e32 v9, v3, v12
	;; [unrolled: 1-line block ×3, first 2 shown]
	s_andn2_b32 exec_lo, exec_lo, s0
	s_cbranch_execnz .LBB0_15
; %bb.16:
	s_or_b32 exec_lo, exec_lo, s0
.LBB0_17:
	s_or_b32 exec_lo, exec_lo, s1
.LBB0_18:
	v_mbcnt_lo_u32_b32 v2, -1, 0
	s_mov_b32 s3, -1
	v_xor_b32_e32 v3, 2, v2
	v_cmp_gt_i32_e32 vcc_lo, 32, v3
	v_cndmask_b32_e32 v3, v2, v3, vcc_lo
	v_lshlrev_b32_e32 v3, 2, v3
	ds_bpermute_b32 v4, v3, v7
	ds_bpermute_b32 v5, v3, v9
	;; [unrolled: 1-line block ×3, first 2 shown]
	v_xor_b32_e32 v3, 1, v2
	v_cmp_gt_i32_e32 vcc_lo, 32, v3
	v_cndmask_b32_e32 v2, v2, v3, vcc_lo
	v_cmp_eq_u32_e32 vcc_lo, 3, v0
	v_lshlrev_b32_e32 v10, 2, v2
	s_waitcnt lgkmcnt(2)
	v_add_f32_e32 v2, v7, v4
	s_waitcnt lgkmcnt(1)
	v_add_f32_e32 v3, v9, v5
	s_waitcnt lgkmcnt(0)
	v_add_f32_e32 v4, v8, v6
	ds_bpermute_b32 v5, v10, v2
	ds_bpermute_b32 v6, v10, v3
	;; [unrolled: 1-line block ×3, first 2 shown]
	s_and_b32 exec_lo, exec_lo, vcc_lo
	s_cbranch_execz .LBB0_23
; %bb.19:
	s_load_dwordx2 s[0:1], s[4:5], 0x38
	s_waitcnt lgkmcnt(0)
	v_add_f32_e32 v0, v2, v5
	v_add_f32_e32 v2, v3, v6
	;; [unrolled: 1-line block ×3, first 2 shown]
	v_lshl_add_u32 v3, v1, 1, v1
	v_cmp_eq_f32_e64 s4, s2, 0
	v_mul_f32_e32 v0, s16, v0
	v_mul_f32_e32 v1, s16, v2
	;; [unrolled: 1-line block ×3, first 2 shown]
	v_ashrrev_i32_e32 v4, 31, v3
	s_and_b32 vcc_lo, exec_lo, s4
	s_cbranch_vccz .LBB0_21
; %bb.20:
	v_lshlrev_b64 v[5:6], 2, v[3:4]
	s_mov_b32 s3, 0
	v_add_co_u32 v5, vcc_lo, s0, v5
	v_add_co_ci_u32_e64 v6, null, s1, v6, vcc_lo
	global_store_dwordx3 v[5:6], v[0:2], off
.LBB0_21:
	s_andn2_b32 vcc_lo, exec_lo, s3
	s_cbranch_vccnz .LBB0_23
; %bb.22:
	v_lshlrev_b64 v[3:4], 2, v[3:4]
	v_add_co_u32 v6, vcc_lo, s0, v3
	v_add_co_ci_u32_e64 v7, null, s1, v4, vcc_lo
	global_load_dwordx3 v[3:5], v[6:7], off
	s_waitcnt vmcnt(0)
	v_fmac_f32_e32 v0, s2, v3
	v_fmac_f32_e32 v1, s2, v4
	;; [unrolled: 1-line block ×3, first 2 shown]
	global_store_dwordx3 v[6:7], v[0:2], off
.LBB0_23:
	s_endpgm
	.section	.rodata,"a",@progbits
	.p2align	6, 0x0
	.amdhsa_kernel _ZN9rocsparseL19gebsrmvn_3xn_kernelILj128ELj1ELj4EfEEvi20rocsparse_direction_NS_24const_host_device_scalarIT2_EEPKiS6_PKS3_S8_S4_PS3_21rocsparse_index_base_b
		.amdhsa_group_segment_fixed_size 0
		.amdhsa_private_segment_fixed_size 0
		.amdhsa_kernarg_size 72
		.amdhsa_user_sgpr_count 6
		.amdhsa_user_sgpr_private_segment_buffer 1
		.amdhsa_user_sgpr_dispatch_ptr 0
		.amdhsa_user_sgpr_queue_ptr 0
		.amdhsa_user_sgpr_kernarg_segment_ptr 1
		.amdhsa_user_sgpr_dispatch_id 0
		.amdhsa_user_sgpr_flat_scratch_init 0
		.amdhsa_user_sgpr_private_segment_size 0
		.amdhsa_wavefront_size32 1
		.amdhsa_uses_dynamic_stack 0
		.amdhsa_system_sgpr_private_segment_wavefront_offset 0
		.amdhsa_system_sgpr_workgroup_id_x 1
		.amdhsa_system_sgpr_workgroup_id_y 0
		.amdhsa_system_sgpr_workgroup_id_z 0
		.amdhsa_system_sgpr_workgroup_info 0
		.amdhsa_system_vgpr_workitem_id 0
		.amdhsa_next_free_vgpr 19
		.amdhsa_next_free_sgpr 20
		.amdhsa_reserve_vcc 1
		.amdhsa_reserve_flat_scratch 0
		.amdhsa_float_round_mode_32 0
		.amdhsa_float_round_mode_16_64 0
		.amdhsa_float_denorm_mode_32 3
		.amdhsa_float_denorm_mode_16_64 3
		.amdhsa_dx10_clamp 1
		.amdhsa_ieee_mode 1
		.amdhsa_fp16_overflow 0
		.amdhsa_workgroup_processor_mode 1
		.amdhsa_memory_ordered 1
		.amdhsa_forward_progress 1
		.amdhsa_shared_vgpr_count 0
		.amdhsa_exception_fp_ieee_invalid_op 0
		.amdhsa_exception_fp_denorm_src 0
		.amdhsa_exception_fp_ieee_div_zero 0
		.amdhsa_exception_fp_ieee_overflow 0
		.amdhsa_exception_fp_ieee_underflow 0
		.amdhsa_exception_fp_ieee_inexact 0
		.amdhsa_exception_int_div_zero 0
	.end_amdhsa_kernel
	.section	.text._ZN9rocsparseL19gebsrmvn_3xn_kernelILj128ELj1ELj4EfEEvi20rocsparse_direction_NS_24const_host_device_scalarIT2_EEPKiS6_PKS3_S8_S4_PS3_21rocsparse_index_base_b,"axG",@progbits,_ZN9rocsparseL19gebsrmvn_3xn_kernelILj128ELj1ELj4EfEEvi20rocsparse_direction_NS_24const_host_device_scalarIT2_EEPKiS6_PKS3_S8_S4_PS3_21rocsparse_index_base_b,comdat
.Lfunc_end0:
	.size	_ZN9rocsparseL19gebsrmvn_3xn_kernelILj128ELj1ELj4EfEEvi20rocsparse_direction_NS_24const_host_device_scalarIT2_EEPKiS6_PKS3_S8_S4_PS3_21rocsparse_index_base_b, .Lfunc_end0-_ZN9rocsparseL19gebsrmvn_3xn_kernelILj128ELj1ELj4EfEEvi20rocsparse_direction_NS_24const_host_device_scalarIT2_EEPKiS6_PKS3_S8_S4_PS3_21rocsparse_index_base_b
                                        ; -- End function
	.set _ZN9rocsparseL19gebsrmvn_3xn_kernelILj128ELj1ELj4EfEEvi20rocsparse_direction_NS_24const_host_device_scalarIT2_EEPKiS6_PKS3_S8_S4_PS3_21rocsparse_index_base_b.num_vgpr, 19
	.set _ZN9rocsparseL19gebsrmvn_3xn_kernelILj128ELj1ELj4EfEEvi20rocsparse_direction_NS_24const_host_device_scalarIT2_EEPKiS6_PKS3_S8_S4_PS3_21rocsparse_index_base_b.num_agpr, 0
	.set _ZN9rocsparseL19gebsrmvn_3xn_kernelILj128ELj1ELj4EfEEvi20rocsparse_direction_NS_24const_host_device_scalarIT2_EEPKiS6_PKS3_S8_S4_PS3_21rocsparse_index_base_b.numbered_sgpr, 20
	.set _ZN9rocsparseL19gebsrmvn_3xn_kernelILj128ELj1ELj4EfEEvi20rocsparse_direction_NS_24const_host_device_scalarIT2_EEPKiS6_PKS3_S8_S4_PS3_21rocsparse_index_base_b.num_named_barrier, 0
	.set _ZN9rocsparseL19gebsrmvn_3xn_kernelILj128ELj1ELj4EfEEvi20rocsparse_direction_NS_24const_host_device_scalarIT2_EEPKiS6_PKS3_S8_S4_PS3_21rocsparse_index_base_b.private_seg_size, 0
	.set _ZN9rocsparseL19gebsrmvn_3xn_kernelILj128ELj1ELj4EfEEvi20rocsparse_direction_NS_24const_host_device_scalarIT2_EEPKiS6_PKS3_S8_S4_PS3_21rocsparse_index_base_b.uses_vcc, 1
	.set _ZN9rocsparseL19gebsrmvn_3xn_kernelILj128ELj1ELj4EfEEvi20rocsparse_direction_NS_24const_host_device_scalarIT2_EEPKiS6_PKS3_S8_S4_PS3_21rocsparse_index_base_b.uses_flat_scratch, 0
	.set _ZN9rocsparseL19gebsrmvn_3xn_kernelILj128ELj1ELj4EfEEvi20rocsparse_direction_NS_24const_host_device_scalarIT2_EEPKiS6_PKS3_S8_S4_PS3_21rocsparse_index_base_b.has_dyn_sized_stack, 0
	.set _ZN9rocsparseL19gebsrmvn_3xn_kernelILj128ELj1ELj4EfEEvi20rocsparse_direction_NS_24const_host_device_scalarIT2_EEPKiS6_PKS3_S8_S4_PS3_21rocsparse_index_base_b.has_recursion, 0
	.set _ZN9rocsparseL19gebsrmvn_3xn_kernelILj128ELj1ELj4EfEEvi20rocsparse_direction_NS_24const_host_device_scalarIT2_EEPKiS6_PKS3_S8_S4_PS3_21rocsparse_index_base_b.has_indirect_call, 0
	.section	.AMDGPU.csdata,"",@progbits
; Kernel info:
; codeLenInByte = 1120
; TotalNumSgprs: 22
; NumVgprs: 19
; ScratchSize: 0
; MemoryBound: 0
; FloatMode: 240
; IeeeMode: 1
; LDSByteSize: 0 bytes/workgroup (compile time only)
; SGPRBlocks: 0
; VGPRBlocks: 2
; NumSGPRsForWavesPerEU: 22
; NumVGPRsForWavesPerEU: 19
; Occupancy: 16
; WaveLimiterHint : 1
; COMPUTE_PGM_RSRC2:SCRATCH_EN: 0
; COMPUTE_PGM_RSRC2:USER_SGPR: 6
; COMPUTE_PGM_RSRC2:TRAP_HANDLER: 0
; COMPUTE_PGM_RSRC2:TGID_X_EN: 1
; COMPUTE_PGM_RSRC2:TGID_Y_EN: 0
; COMPUTE_PGM_RSRC2:TGID_Z_EN: 0
; COMPUTE_PGM_RSRC2:TIDIG_COMP_CNT: 0
	.section	.text._ZN9rocsparseL19gebsrmvn_3xn_kernelILj128ELj1ELj8EfEEvi20rocsparse_direction_NS_24const_host_device_scalarIT2_EEPKiS6_PKS3_S8_S4_PS3_21rocsparse_index_base_b,"axG",@progbits,_ZN9rocsparseL19gebsrmvn_3xn_kernelILj128ELj1ELj8EfEEvi20rocsparse_direction_NS_24const_host_device_scalarIT2_EEPKiS6_PKS3_S8_S4_PS3_21rocsparse_index_base_b,comdat
	.globl	_ZN9rocsparseL19gebsrmvn_3xn_kernelILj128ELj1ELj8EfEEvi20rocsparse_direction_NS_24const_host_device_scalarIT2_EEPKiS6_PKS3_S8_S4_PS3_21rocsparse_index_base_b ; -- Begin function _ZN9rocsparseL19gebsrmvn_3xn_kernelILj128ELj1ELj8EfEEvi20rocsparse_direction_NS_24const_host_device_scalarIT2_EEPKiS6_PKS3_S8_S4_PS3_21rocsparse_index_base_b
	.p2align	8
	.type	_ZN9rocsparseL19gebsrmvn_3xn_kernelILj128ELj1ELj8EfEEvi20rocsparse_direction_NS_24const_host_device_scalarIT2_EEPKiS6_PKS3_S8_S4_PS3_21rocsparse_index_base_b,@function
_ZN9rocsparseL19gebsrmvn_3xn_kernelILj128ELj1ELj8EfEEvi20rocsparse_direction_NS_24const_host_device_scalarIT2_EEPKiS6_PKS3_S8_S4_PS3_21rocsparse_index_base_b: ; @_ZN9rocsparseL19gebsrmvn_3xn_kernelILj128ELj1ELj8EfEEvi20rocsparse_direction_NS_24const_host_device_scalarIT2_EEPKiS6_PKS3_S8_S4_PS3_21rocsparse_index_base_b
; %bb.0:
	s_clause 0x2
	s_load_dwordx2 s[18:19], s[4:5], 0x40
	s_load_dwordx2 s[16:17], s[4:5], 0x8
	;; [unrolled: 1-line block ×3, first 2 shown]
	s_waitcnt lgkmcnt(0)
	s_bitcmp1_b32 s19, 0
	s_cselect_b32 s0, -1, 0
	s_and_b32 vcc_lo, exec_lo, s0
	s_xor_b32 s0, s0, -1
	s_cbranch_vccnz .LBB1_2
; %bb.1:
	s_load_dword s16, s[16:17], 0x0
.LBB1_2:
	s_andn2_b32 vcc_lo, exec_lo, s0
	s_cbranch_vccnz .LBB1_4
; %bb.3:
	s_load_dword s2, s[2:3], 0x0
.LBB1_4:
	s_waitcnt lgkmcnt(0)
	v_cmp_eq_f32_e64 s0, s16, 0
	v_cmp_eq_f32_e64 s1, s2, 1.0
	s_and_b32 s0, s0, s1
	s_and_b32 vcc_lo, exec_lo, s0
	s_cbranch_vccnz .LBB1_23
; %bb.5:
	s_load_dwordx2 s[0:1], s[4:5], 0x0
	v_lshrrev_b32_e32 v1, 3, v0
	v_lshl_or_b32 v1, s6, 4, v1
	s_waitcnt lgkmcnt(0)
	v_cmp_gt_i32_e32 vcc_lo, s0, v1
	s_and_saveexec_b32 s0, vcc_lo
	s_cbranch_execz .LBB1_23
; %bb.6:
	s_load_dwordx8 s[8:15], s[4:5], 0x10
	v_ashrrev_i32_e32 v2, 31, v1
	v_and_b32_e32 v0, 7, v0
	s_cmp_lg_u32 s1, 0
	v_lshlrev_b64 v[2:3], 2, v[1:2]
	s_waitcnt lgkmcnt(0)
	v_add_co_u32 v2, vcc_lo, s8, v2
	v_add_co_ci_u32_e64 v3, null, s9, v3, vcc_lo
	global_load_dwordx2 v[2:3], v[2:3], off
	s_waitcnt vmcnt(0)
	v_subrev_nc_u32_e32 v2, s18, v2
	v_subrev_nc_u32_e32 v10, s18, v3
	v_add_nc_u32_e32 v2, v2, v0
	v_cmp_lt_i32_e64 s0, v2, v10
	s_cbranch_scc0 .LBB1_12
; %bb.7:
	v_mov_b32_e32 v7, 0
	v_mov_b32_e32 v8, 0
	;; [unrolled: 1-line block ×3, first 2 shown]
	s_and_saveexec_b32 s1, s0
	s_cbranch_execz .LBB1_11
; %bb.8:
	v_mov_b32_e32 v4, 0
	v_lshl_add_u32 v3, v2, 1, v2
	v_mov_b32_e32 v5, v2
	s_mov_b32 s3, 0
	v_mov_b32_e32 v7, v4
	v_mov_b32_e32 v8, v4
	;; [unrolled: 1-line block ×3, first 2 shown]
.LBB1_9:                                ; =>This Inner Loop Header: Depth=1
	v_ashrrev_i32_e32 v6, 31, v5
	v_lshlrev_b64 v[15:16], 2, v[3:4]
	v_add_nc_u32_e32 v13, 2, v3
	v_mov_b32_e32 v14, v4
	v_mov_b32_e32 v17, v4
	v_lshlrev_b64 v[11:12], 2, v[5:6]
	v_add_nc_u32_e32 v5, 8, v5
	v_lshlrev_b64 v[13:14], 2, v[13:14]
	v_add_co_u32 v11, vcc_lo, s10, v11
	v_add_co_ci_u32_e64 v12, null, s11, v12, vcc_lo
	v_add_co_u32 v15, vcc_lo, s12, v15
	v_add_co_ci_u32_e64 v16, null, s13, v16, vcc_lo
	global_load_dword v6, v[11:12], off
	v_add_nc_u32_e32 v11, 1, v3
	v_mov_b32_e32 v12, v4
	global_load_dword v18, v[15:16], off
	v_add_nc_u32_e32 v3, 24, v3
	v_lshlrev_b64 v[11:12], 2, v[11:12]
	v_add_co_u32 v11, vcc_lo, s12, v11
	v_add_co_ci_u32_e64 v12, null, s13, v12, vcc_lo
	v_add_co_u32 v13, vcc_lo, s12, v13
	v_add_co_ci_u32_e64 v14, null, s13, v14, vcc_lo
	s_waitcnt vmcnt(1)
	v_subrev_nc_u32_e32 v16, s18, v6
	v_lshlrev_b64 v[15:16], 2, v[16:17]
	v_add_co_u32 v15, vcc_lo, s14, v15
	v_add_co_ci_u32_e64 v16, null, s15, v16, vcc_lo
	s_clause 0x1
	global_load_dword v6, v[11:12], off
	global_load_dword v11, v[13:14], off
	;; [unrolled: 1-line block ×3, first 2 shown]
	v_cmp_ge_i32_e32 vcc_lo, v5, v10
	s_or_b32 s3, vcc_lo, s3
	s_waitcnt vmcnt(0)
	v_fmac_f32_e32 v7, v18, v12
	v_fmac_f32_e32 v9, v6, v12
	;; [unrolled: 1-line block ×3, first 2 shown]
	s_andn2_b32 exec_lo, exec_lo, s3
	s_cbranch_execnz .LBB1_9
; %bb.10:
	s_or_b32 exec_lo, exec_lo, s3
.LBB1_11:
	s_or_b32 exec_lo, exec_lo, s1
	s_cbranch_execz .LBB1_13
	s_branch .LBB1_18
.LBB1_12:
                                        ; implicit-def: $vgpr7
                                        ; implicit-def: $vgpr8
                                        ; implicit-def: $vgpr9
.LBB1_13:
	v_mov_b32_e32 v7, 0
	v_mov_b32_e32 v8, 0
	;; [unrolled: 1-line block ×3, first 2 shown]
	s_and_saveexec_b32 s1, s0
	s_cbranch_execz .LBB1_17
; %bb.14:
	v_mov_b32_e32 v5, 0
	v_lshl_add_u32 v4, v2, 1, v2
	s_mov_b32 s0, 0
	v_mov_b32_e32 v7, v5
	v_mov_b32_e32 v8, v5
	;; [unrolled: 1-line block ×3, first 2 shown]
.LBB1_15:                               ; =>This Inner Loop Header: Depth=1
	v_ashrrev_i32_e32 v3, 31, v2
	v_lshlrev_b64 v[15:16], 2, v[4:5]
	v_add_nc_u32_e32 v13, 2, v4
	v_mov_b32_e32 v14, v5
	v_mov_b32_e32 v17, v5
	v_lshlrev_b64 v[11:12], 2, v[2:3]
	v_add_nc_u32_e32 v2, 8, v2
	v_lshlrev_b64 v[13:14], 2, v[13:14]
	v_add_co_u32 v11, vcc_lo, s10, v11
	v_add_co_ci_u32_e64 v12, null, s11, v12, vcc_lo
	v_add_co_u32 v15, vcc_lo, s12, v15
	v_add_co_ci_u32_e64 v16, null, s13, v16, vcc_lo
	global_load_dword v3, v[11:12], off
	v_add_nc_u32_e32 v11, 1, v4
	v_mov_b32_e32 v12, v5
	global_load_dword v6, v[15:16], off
	v_add_nc_u32_e32 v4, 24, v4
	v_lshlrev_b64 v[11:12], 2, v[11:12]
	v_add_co_u32 v11, vcc_lo, s12, v11
	v_add_co_ci_u32_e64 v12, null, s13, v12, vcc_lo
	v_add_co_u32 v13, vcc_lo, s12, v13
	v_add_co_ci_u32_e64 v14, null, s13, v14, vcc_lo
	s_waitcnt vmcnt(1)
	v_subrev_nc_u32_e32 v16, s18, v3
	v_lshlrev_b64 v[15:16], 2, v[16:17]
	v_add_co_u32 v15, vcc_lo, s14, v15
	v_add_co_ci_u32_e64 v16, null, s15, v16, vcc_lo
	s_clause 0x1
	global_load_dword v3, v[11:12], off
	global_load_dword v11, v[13:14], off
	;; [unrolled: 1-line block ×3, first 2 shown]
	v_cmp_ge_i32_e32 vcc_lo, v2, v10
	s_or_b32 s0, vcc_lo, s0
	s_waitcnt vmcnt(0)
	v_fmac_f32_e32 v7, v6, v12
	v_fmac_f32_e32 v9, v3, v12
	;; [unrolled: 1-line block ×3, first 2 shown]
	s_andn2_b32 exec_lo, exec_lo, s0
	s_cbranch_execnz .LBB1_15
; %bb.16:
	s_or_b32 exec_lo, exec_lo, s0
.LBB1_17:
	s_or_b32 exec_lo, exec_lo, s1
.LBB1_18:
	v_mbcnt_lo_u32_b32 v2, -1, 0
	s_mov_b32 s3, -1
	v_xor_b32_e32 v3, 4, v2
	v_xor_b32_e32 v6, 2, v2
	v_cmp_gt_i32_e32 vcc_lo, 32, v3
	v_cndmask_b32_e32 v3, v2, v3, vcc_lo
	v_cmp_gt_i32_e32 vcc_lo, 32, v6
	v_lshlrev_b32_e32 v3, 2, v3
	v_cndmask_b32_e32 v6, v2, v6, vcc_lo
	ds_bpermute_b32 v4, v3, v7
	ds_bpermute_b32 v5, v3, v9
	;; [unrolled: 1-line block ×3, first 2 shown]
	v_lshlrev_b32_e32 v6, 2, v6
	s_waitcnt lgkmcnt(2)
	v_add_f32_e32 v4, v7, v4
	s_waitcnt lgkmcnt(1)
	v_add_f32_e32 v5, v9, v5
	;; [unrolled: 2-line block ×3, first 2 shown]
	v_xor_b32_e32 v9, 1, v2
	ds_bpermute_b32 v3, v6, v4
	ds_bpermute_b32 v8, v6, v5
	;; [unrolled: 1-line block ×3, first 2 shown]
	v_cmp_gt_i32_e32 vcc_lo, 32, v9
	v_cndmask_b32_e32 v2, v2, v9, vcc_lo
	v_cmp_eq_u32_e32 vcc_lo, 7, v0
	v_lshlrev_b32_e32 v9, 2, v2
	s_waitcnt lgkmcnt(2)
	v_add_f32_e32 v2, v4, v3
	s_waitcnt lgkmcnt(1)
	v_add_f32_e32 v3, v5, v8
	;; [unrolled: 2-line block ×3, first 2 shown]
	ds_bpermute_b32 v5, v9, v2
	ds_bpermute_b32 v6, v9, v3
	;; [unrolled: 1-line block ×3, first 2 shown]
	s_and_b32 exec_lo, exec_lo, vcc_lo
	s_cbranch_execz .LBB1_23
; %bb.19:
	s_load_dwordx2 s[0:1], s[4:5], 0x38
	s_waitcnt lgkmcnt(0)
	v_add_f32_e32 v0, v2, v5
	v_add_f32_e32 v2, v3, v6
	;; [unrolled: 1-line block ×3, first 2 shown]
	v_lshl_add_u32 v3, v1, 1, v1
	v_cmp_eq_f32_e64 s4, s2, 0
	v_mul_f32_e32 v0, s16, v0
	v_mul_f32_e32 v1, s16, v2
	;; [unrolled: 1-line block ×3, first 2 shown]
	v_ashrrev_i32_e32 v4, 31, v3
	s_and_b32 vcc_lo, exec_lo, s4
	s_cbranch_vccz .LBB1_21
; %bb.20:
	v_lshlrev_b64 v[5:6], 2, v[3:4]
	s_mov_b32 s3, 0
	v_add_co_u32 v5, vcc_lo, s0, v5
	v_add_co_ci_u32_e64 v6, null, s1, v6, vcc_lo
	global_store_dwordx3 v[5:6], v[0:2], off
.LBB1_21:
	s_andn2_b32 vcc_lo, exec_lo, s3
	s_cbranch_vccnz .LBB1_23
; %bb.22:
	v_lshlrev_b64 v[3:4], 2, v[3:4]
	v_add_co_u32 v6, vcc_lo, s0, v3
	v_add_co_ci_u32_e64 v7, null, s1, v4, vcc_lo
	global_load_dwordx3 v[3:5], v[6:7], off
	s_waitcnt vmcnt(0)
	v_fmac_f32_e32 v0, s2, v3
	v_fmac_f32_e32 v1, s2, v4
	;; [unrolled: 1-line block ×3, first 2 shown]
	global_store_dwordx3 v[6:7], v[0:2], off
.LBB1_23:
	s_endpgm
	.section	.rodata,"a",@progbits
	.p2align	6, 0x0
	.amdhsa_kernel _ZN9rocsparseL19gebsrmvn_3xn_kernelILj128ELj1ELj8EfEEvi20rocsparse_direction_NS_24const_host_device_scalarIT2_EEPKiS6_PKS3_S8_S4_PS3_21rocsparse_index_base_b
		.amdhsa_group_segment_fixed_size 0
		.amdhsa_private_segment_fixed_size 0
		.amdhsa_kernarg_size 72
		.amdhsa_user_sgpr_count 6
		.amdhsa_user_sgpr_private_segment_buffer 1
		.amdhsa_user_sgpr_dispatch_ptr 0
		.amdhsa_user_sgpr_queue_ptr 0
		.amdhsa_user_sgpr_kernarg_segment_ptr 1
		.amdhsa_user_sgpr_dispatch_id 0
		.amdhsa_user_sgpr_flat_scratch_init 0
		.amdhsa_user_sgpr_private_segment_size 0
		.amdhsa_wavefront_size32 1
		.amdhsa_uses_dynamic_stack 0
		.amdhsa_system_sgpr_private_segment_wavefront_offset 0
		.amdhsa_system_sgpr_workgroup_id_x 1
		.amdhsa_system_sgpr_workgroup_id_y 0
		.amdhsa_system_sgpr_workgroup_id_z 0
		.amdhsa_system_sgpr_workgroup_info 0
		.amdhsa_system_vgpr_workitem_id 0
		.amdhsa_next_free_vgpr 19
		.amdhsa_next_free_sgpr 20
		.amdhsa_reserve_vcc 1
		.amdhsa_reserve_flat_scratch 0
		.amdhsa_float_round_mode_32 0
		.amdhsa_float_round_mode_16_64 0
		.amdhsa_float_denorm_mode_32 3
		.amdhsa_float_denorm_mode_16_64 3
		.amdhsa_dx10_clamp 1
		.amdhsa_ieee_mode 1
		.amdhsa_fp16_overflow 0
		.amdhsa_workgroup_processor_mode 1
		.amdhsa_memory_ordered 1
		.amdhsa_forward_progress 1
		.amdhsa_shared_vgpr_count 0
		.amdhsa_exception_fp_ieee_invalid_op 0
		.amdhsa_exception_fp_denorm_src 0
		.amdhsa_exception_fp_ieee_div_zero 0
		.amdhsa_exception_fp_ieee_overflow 0
		.amdhsa_exception_fp_ieee_underflow 0
		.amdhsa_exception_fp_ieee_inexact 0
		.amdhsa_exception_int_div_zero 0
	.end_amdhsa_kernel
	.section	.text._ZN9rocsparseL19gebsrmvn_3xn_kernelILj128ELj1ELj8EfEEvi20rocsparse_direction_NS_24const_host_device_scalarIT2_EEPKiS6_PKS3_S8_S4_PS3_21rocsparse_index_base_b,"axG",@progbits,_ZN9rocsparseL19gebsrmvn_3xn_kernelILj128ELj1ELj8EfEEvi20rocsparse_direction_NS_24const_host_device_scalarIT2_EEPKiS6_PKS3_S8_S4_PS3_21rocsparse_index_base_b,comdat
.Lfunc_end1:
	.size	_ZN9rocsparseL19gebsrmvn_3xn_kernelILj128ELj1ELj8EfEEvi20rocsparse_direction_NS_24const_host_device_scalarIT2_EEPKiS6_PKS3_S8_S4_PS3_21rocsparse_index_base_b, .Lfunc_end1-_ZN9rocsparseL19gebsrmvn_3xn_kernelILj128ELj1ELj8EfEEvi20rocsparse_direction_NS_24const_host_device_scalarIT2_EEPKiS6_PKS3_S8_S4_PS3_21rocsparse_index_base_b
                                        ; -- End function
	.set _ZN9rocsparseL19gebsrmvn_3xn_kernelILj128ELj1ELj8EfEEvi20rocsparse_direction_NS_24const_host_device_scalarIT2_EEPKiS6_PKS3_S8_S4_PS3_21rocsparse_index_base_b.num_vgpr, 19
	.set _ZN9rocsparseL19gebsrmvn_3xn_kernelILj128ELj1ELj8EfEEvi20rocsparse_direction_NS_24const_host_device_scalarIT2_EEPKiS6_PKS3_S8_S4_PS3_21rocsparse_index_base_b.num_agpr, 0
	.set _ZN9rocsparseL19gebsrmvn_3xn_kernelILj128ELj1ELj8EfEEvi20rocsparse_direction_NS_24const_host_device_scalarIT2_EEPKiS6_PKS3_S8_S4_PS3_21rocsparse_index_base_b.numbered_sgpr, 20
	.set _ZN9rocsparseL19gebsrmvn_3xn_kernelILj128ELj1ELj8EfEEvi20rocsparse_direction_NS_24const_host_device_scalarIT2_EEPKiS6_PKS3_S8_S4_PS3_21rocsparse_index_base_b.num_named_barrier, 0
	.set _ZN9rocsparseL19gebsrmvn_3xn_kernelILj128ELj1ELj8EfEEvi20rocsparse_direction_NS_24const_host_device_scalarIT2_EEPKiS6_PKS3_S8_S4_PS3_21rocsparse_index_base_b.private_seg_size, 0
	.set _ZN9rocsparseL19gebsrmvn_3xn_kernelILj128ELj1ELj8EfEEvi20rocsparse_direction_NS_24const_host_device_scalarIT2_EEPKiS6_PKS3_S8_S4_PS3_21rocsparse_index_base_b.uses_vcc, 1
	.set _ZN9rocsparseL19gebsrmvn_3xn_kernelILj128ELj1ELj8EfEEvi20rocsparse_direction_NS_24const_host_device_scalarIT2_EEPKiS6_PKS3_S8_S4_PS3_21rocsparse_index_base_b.uses_flat_scratch, 0
	.set _ZN9rocsparseL19gebsrmvn_3xn_kernelILj128ELj1ELj8EfEEvi20rocsparse_direction_NS_24const_host_device_scalarIT2_EEPKiS6_PKS3_S8_S4_PS3_21rocsparse_index_base_b.has_dyn_sized_stack, 0
	.set _ZN9rocsparseL19gebsrmvn_3xn_kernelILj128ELj1ELj8EfEEvi20rocsparse_direction_NS_24const_host_device_scalarIT2_EEPKiS6_PKS3_S8_S4_PS3_21rocsparse_index_base_b.has_recursion, 0
	.set _ZN9rocsparseL19gebsrmvn_3xn_kernelILj128ELj1ELj8EfEEvi20rocsparse_direction_NS_24const_host_device_scalarIT2_EEPKiS6_PKS3_S8_S4_PS3_21rocsparse_index_base_b.has_indirect_call, 0
	.section	.AMDGPU.csdata,"",@progbits
; Kernel info:
; codeLenInByte = 1184
; TotalNumSgprs: 22
; NumVgprs: 19
; ScratchSize: 0
; MemoryBound: 0
; FloatMode: 240
; IeeeMode: 1
; LDSByteSize: 0 bytes/workgroup (compile time only)
; SGPRBlocks: 0
; VGPRBlocks: 2
; NumSGPRsForWavesPerEU: 22
; NumVGPRsForWavesPerEU: 19
; Occupancy: 16
; WaveLimiterHint : 1
; COMPUTE_PGM_RSRC2:SCRATCH_EN: 0
; COMPUTE_PGM_RSRC2:USER_SGPR: 6
; COMPUTE_PGM_RSRC2:TRAP_HANDLER: 0
; COMPUTE_PGM_RSRC2:TGID_X_EN: 1
; COMPUTE_PGM_RSRC2:TGID_Y_EN: 0
; COMPUTE_PGM_RSRC2:TGID_Z_EN: 0
; COMPUTE_PGM_RSRC2:TIDIG_COMP_CNT: 0
	.section	.text._ZN9rocsparseL19gebsrmvn_3xn_kernelILj128ELj1ELj16EfEEvi20rocsparse_direction_NS_24const_host_device_scalarIT2_EEPKiS6_PKS3_S8_S4_PS3_21rocsparse_index_base_b,"axG",@progbits,_ZN9rocsparseL19gebsrmvn_3xn_kernelILj128ELj1ELj16EfEEvi20rocsparse_direction_NS_24const_host_device_scalarIT2_EEPKiS6_PKS3_S8_S4_PS3_21rocsparse_index_base_b,comdat
	.globl	_ZN9rocsparseL19gebsrmvn_3xn_kernelILj128ELj1ELj16EfEEvi20rocsparse_direction_NS_24const_host_device_scalarIT2_EEPKiS6_PKS3_S8_S4_PS3_21rocsparse_index_base_b ; -- Begin function _ZN9rocsparseL19gebsrmvn_3xn_kernelILj128ELj1ELj16EfEEvi20rocsparse_direction_NS_24const_host_device_scalarIT2_EEPKiS6_PKS3_S8_S4_PS3_21rocsparse_index_base_b
	.p2align	8
	.type	_ZN9rocsparseL19gebsrmvn_3xn_kernelILj128ELj1ELj16EfEEvi20rocsparse_direction_NS_24const_host_device_scalarIT2_EEPKiS6_PKS3_S8_S4_PS3_21rocsparse_index_base_b,@function
_ZN9rocsparseL19gebsrmvn_3xn_kernelILj128ELj1ELj16EfEEvi20rocsparse_direction_NS_24const_host_device_scalarIT2_EEPKiS6_PKS3_S8_S4_PS3_21rocsparse_index_base_b: ; @_ZN9rocsparseL19gebsrmvn_3xn_kernelILj128ELj1ELj16EfEEvi20rocsparse_direction_NS_24const_host_device_scalarIT2_EEPKiS6_PKS3_S8_S4_PS3_21rocsparse_index_base_b
; %bb.0:
	s_clause 0x2
	s_load_dwordx2 s[18:19], s[4:5], 0x40
	s_load_dwordx2 s[16:17], s[4:5], 0x8
	;; [unrolled: 1-line block ×3, first 2 shown]
	s_waitcnt lgkmcnt(0)
	s_bitcmp1_b32 s19, 0
	s_cselect_b32 s0, -1, 0
	s_and_b32 vcc_lo, exec_lo, s0
	s_xor_b32 s0, s0, -1
	s_cbranch_vccnz .LBB2_2
; %bb.1:
	s_load_dword s16, s[16:17], 0x0
.LBB2_2:
	s_andn2_b32 vcc_lo, exec_lo, s0
	s_cbranch_vccnz .LBB2_4
; %bb.3:
	s_load_dword s2, s[2:3], 0x0
.LBB2_4:
	s_waitcnt lgkmcnt(0)
	v_cmp_eq_f32_e64 s0, s16, 0
	v_cmp_eq_f32_e64 s1, s2, 1.0
	s_and_b32 s0, s0, s1
	s_and_b32 vcc_lo, exec_lo, s0
	s_cbranch_vccnz .LBB2_23
; %bb.5:
	s_load_dwordx2 s[0:1], s[4:5], 0x0
	v_lshrrev_b32_e32 v1, 4, v0
	v_lshl_or_b32 v1, s6, 3, v1
	s_waitcnt lgkmcnt(0)
	v_cmp_gt_i32_e32 vcc_lo, s0, v1
	s_and_saveexec_b32 s0, vcc_lo
	s_cbranch_execz .LBB2_23
; %bb.6:
	s_load_dwordx8 s[8:15], s[4:5], 0x10
	v_ashrrev_i32_e32 v2, 31, v1
	v_and_b32_e32 v0, 15, v0
	s_cmp_lg_u32 s1, 0
	v_lshlrev_b64 v[2:3], 2, v[1:2]
	s_waitcnt lgkmcnt(0)
	v_add_co_u32 v2, vcc_lo, s8, v2
	v_add_co_ci_u32_e64 v3, null, s9, v3, vcc_lo
	global_load_dwordx2 v[2:3], v[2:3], off
	s_waitcnt vmcnt(0)
	v_subrev_nc_u32_e32 v2, s18, v2
	v_subrev_nc_u32_e32 v10, s18, v3
	v_add_nc_u32_e32 v2, v2, v0
	v_cmp_lt_i32_e64 s0, v2, v10
	s_cbranch_scc0 .LBB2_12
; %bb.7:
	v_mov_b32_e32 v7, 0
	v_mov_b32_e32 v8, 0
	;; [unrolled: 1-line block ×3, first 2 shown]
	s_and_saveexec_b32 s1, s0
	s_cbranch_execz .LBB2_11
; %bb.8:
	v_mov_b32_e32 v4, 0
	v_lshl_add_u32 v3, v2, 1, v2
	v_mov_b32_e32 v5, v2
	s_mov_b32 s3, 0
	v_mov_b32_e32 v7, v4
	v_mov_b32_e32 v8, v4
	v_mov_b32_e32 v9, v4
.LBB2_9:                                ; =>This Inner Loop Header: Depth=1
	v_ashrrev_i32_e32 v6, 31, v5
	v_lshlrev_b64 v[15:16], 2, v[3:4]
	v_add_nc_u32_e32 v13, 2, v3
	v_mov_b32_e32 v14, v4
	v_mov_b32_e32 v17, v4
	v_lshlrev_b64 v[11:12], 2, v[5:6]
	v_add_nc_u32_e32 v5, 16, v5
	v_lshlrev_b64 v[13:14], 2, v[13:14]
	v_add_co_u32 v11, vcc_lo, s10, v11
	v_add_co_ci_u32_e64 v12, null, s11, v12, vcc_lo
	v_add_co_u32 v15, vcc_lo, s12, v15
	v_add_co_ci_u32_e64 v16, null, s13, v16, vcc_lo
	global_load_dword v6, v[11:12], off
	v_add_nc_u32_e32 v11, 1, v3
	v_mov_b32_e32 v12, v4
	global_load_dword v18, v[15:16], off
	v_add_nc_u32_e32 v3, 48, v3
	v_lshlrev_b64 v[11:12], 2, v[11:12]
	v_add_co_u32 v11, vcc_lo, s12, v11
	v_add_co_ci_u32_e64 v12, null, s13, v12, vcc_lo
	v_add_co_u32 v13, vcc_lo, s12, v13
	v_add_co_ci_u32_e64 v14, null, s13, v14, vcc_lo
	s_waitcnt vmcnt(1)
	v_subrev_nc_u32_e32 v16, s18, v6
	v_lshlrev_b64 v[15:16], 2, v[16:17]
	v_add_co_u32 v15, vcc_lo, s14, v15
	v_add_co_ci_u32_e64 v16, null, s15, v16, vcc_lo
	s_clause 0x1
	global_load_dword v6, v[11:12], off
	global_load_dword v11, v[13:14], off
	;; [unrolled: 1-line block ×3, first 2 shown]
	v_cmp_ge_i32_e32 vcc_lo, v5, v10
	s_or_b32 s3, vcc_lo, s3
	s_waitcnt vmcnt(0)
	v_fmac_f32_e32 v7, v18, v12
	v_fmac_f32_e32 v9, v6, v12
	;; [unrolled: 1-line block ×3, first 2 shown]
	s_andn2_b32 exec_lo, exec_lo, s3
	s_cbranch_execnz .LBB2_9
; %bb.10:
	s_or_b32 exec_lo, exec_lo, s3
.LBB2_11:
	s_or_b32 exec_lo, exec_lo, s1
	s_cbranch_execz .LBB2_13
	s_branch .LBB2_18
.LBB2_12:
                                        ; implicit-def: $vgpr7
                                        ; implicit-def: $vgpr8
                                        ; implicit-def: $vgpr9
.LBB2_13:
	v_mov_b32_e32 v7, 0
	v_mov_b32_e32 v8, 0
	;; [unrolled: 1-line block ×3, first 2 shown]
	s_and_saveexec_b32 s1, s0
	s_cbranch_execz .LBB2_17
; %bb.14:
	v_mov_b32_e32 v5, 0
	v_lshl_add_u32 v4, v2, 1, v2
	s_mov_b32 s0, 0
	v_mov_b32_e32 v7, v5
	v_mov_b32_e32 v8, v5
	;; [unrolled: 1-line block ×3, first 2 shown]
.LBB2_15:                               ; =>This Inner Loop Header: Depth=1
	v_ashrrev_i32_e32 v3, 31, v2
	v_lshlrev_b64 v[15:16], 2, v[4:5]
	v_add_nc_u32_e32 v13, 2, v4
	v_mov_b32_e32 v14, v5
	v_mov_b32_e32 v17, v5
	v_lshlrev_b64 v[11:12], 2, v[2:3]
	v_add_nc_u32_e32 v2, 16, v2
	v_lshlrev_b64 v[13:14], 2, v[13:14]
	v_add_co_u32 v11, vcc_lo, s10, v11
	v_add_co_ci_u32_e64 v12, null, s11, v12, vcc_lo
	v_add_co_u32 v15, vcc_lo, s12, v15
	v_add_co_ci_u32_e64 v16, null, s13, v16, vcc_lo
	global_load_dword v3, v[11:12], off
	v_add_nc_u32_e32 v11, 1, v4
	v_mov_b32_e32 v12, v5
	global_load_dword v6, v[15:16], off
	v_add_nc_u32_e32 v4, 48, v4
	v_lshlrev_b64 v[11:12], 2, v[11:12]
	v_add_co_u32 v11, vcc_lo, s12, v11
	v_add_co_ci_u32_e64 v12, null, s13, v12, vcc_lo
	v_add_co_u32 v13, vcc_lo, s12, v13
	v_add_co_ci_u32_e64 v14, null, s13, v14, vcc_lo
	s_waitcnt vmcnt(1)
	v_subrev_nc_u32_e32 v16, s18, v3
	v_lshlrev_b64 v[15:16], 2, v[16:17]
	v_add_co_u32 v15, vcc_lo, s14, v15
	v_add_co_ci_u32_e64 v16, null, s15, v16, vcc_lo
	s_clause 0x1
	global_load_dword v3, v[11:12], off
	global_load_dword v11, v[13:14], off
	;; [unrolled: 1-line block ×3, first 2 shown]
	v_cmp_ge_i32_e32 vcc_lo, v2, v10
	s_or_b32 s0, vcc_lo, s0
	s_waitcnt vmcnt(0)
	v_fmac_f32_e32 v7, v6, v12
	v_fmac_f32_e32 v9, v3, v12
	;; [unrolled: 1-line block ×3, first 2 shown]
	s_andn2_b32 exec_lo, exec_lo, s0
	s_cbranch_execnz .LBB2_15
; %bb.16:
	s_or_b32 exec_lo, exec_lo, s0
.LBB2_17:
	s_or_b32 exec_lo, exec_lo, s1
.LBB2_18:
	v_mbcnt_lo_u32_b32 v2, -1, 0
	s_mov_b32 s3, -1
	v_xor_b32_e32 v3, 8, v2
	v_xor_b32_e32 v6, 4, v2
	v_cmp_gt_i32_e32 vcc_lo, 32, v3
	v_cndmask_b32_e32 v3, v2, v3, vcc_lo
	v_cmp_gt_i32_e32 vcc_lo, 32, v6
	v_lshlrev_b32_e32 v3, 2, v3
	v_cndmask_b32_e32 v6, v2, v6, vcc_lo
	ds_bpermute_b32 v4, v3, v7
	ds_bpermute_b32 v5, v3, v9
	;; [unrolled: 1-line block ×3, first 2 shown]
	v_lshlrev_b32_e32 v6, 2, v6
	s_waitcnt lgkmcnt(2)
	v_add_f32_e32 v4, v7, v4
	s_waitcnt lgkmcnt(1)
	v_add_f32_e32 v5, v9, v5
	;; [unrolled: 2-line block ×3, first 2 shown]
	v_xor_b32_e32 v9, 2, v2
	ds_bpermute_b32 v7, v6, v4
	ds_bpermute_b32 v8, v6, v5
	;; [unrolled: 1-line block ×3, first 2 shown]
	v_cmp_gt_i32_e32 vcc_lo, 32, v9
	v_cndmask_b32_e32 v9, v2, v9, vcc_lo
	v_lshlrev_b32_e32 v9, 2, v9
	s_waitcnt lgkmcnt(2)
	v_add_f32_e32 v4, v4, v7
	s_waitcnt lgkmcnt(1)
	v_add_f32_e32 v5, v5, v8
	;; [unrolled: 2-line block ×3, first 2 shown]
	ds_bpermute_b32 v3, v9, v4
	ds_bpermute_b32 v7, v9, v5
	;; [unrolled: 1-line block ×3, first 2 shown]
	v_xor_b32_e32 v9, 1, v2
	v_cmp_gt_i32_e32 vcc_lo, 32, v9
	v_cndmask_b32_e32 v2, v2, v9, vcc_lo
	v_cmp_eq_u32_e32 vcc_lo, 15, v0
	v_lshlrev_b32_e32 v9, 2, v2
	s_waitcnt lgkmcnt(2)
	v_add_f32_e32 v2, v4, v3
	s_waitcnt lgkmcnt(1)
	v_add_f32_e32 v3, v5, v7
	;; [unrolled: 2-line block ×3, first 2 shown]
	ds_bpermute_b32 v5, v9, v2
	ds_bpermute_b32 v6, v9, v3
	;; [unrolled: 1-line block ×3, first 2 shown]
	s_and_b32 exec_lo, exec_lo, vcc_lo
	s_cbranch_execz .LBB2_23
; %bb.19:
	s_load_dwordx2 s[0:1], s[4:5], 0x38
	s_waitcnt lgkmcnt(0)
	v_add_f32_e32 v0, v2, v5
	v_add_f32_e32 v2, v3, v6
	v_add_f32_e32 v4, v4, v7
	v_lshl_add_u32 v3, v1, 1, v1
	v_cmp_eq_f32_e64 s4, s2, 0
	v_mul_f32_e32 v0, s16, v0
	v_mul_f32_e32 v1, s16, v2
	;; [unrolled: 1-line block ×3, first 2 shown]
	v_ashrrev_i32_e32 v4, 31, v3
	s_and_b32 vcc_lo, exec_lo, s4
	s_cbranch_vccz .LBB2_21
; %bb.20:
	v_lshlrev_b64 v[5:6], 2, v[3:4]
	s_mov_b32 s3, 0
	v_add_co_u32 v5, vcc_lo, s0, v5
	v_add_co_ci_u32_e64 v6, null, s1, v6, vcc_lo
	global_store_dwordx3 v[5:6], v[0:2], off
.LBB2_21:
	s_andn2_b32 vcc_lo, exec_lo, s3
	s_cbranch_vccnz .LBB2_23
; %bb.22:
	v_lshlrev_b64 v[3:4], 2, v[3:4]
	v_add_co_u32 v6, vcc_lo, s0, v3
	v_add_co_ci_u32_e64 v7, null, s1, v4, vcc_lo
	global_load_dwordx3 v[3:5], v[6:7], off
	s_waitcnt vmcnt(0)
	v_fmac_f32_e32 v0, s2, v3
	v_fmac_f32_e32 v1, s2, v4
	;; [unrolled: 1-line block ×3, first 2 shown]
	global_store_dwordx3 v[6:7], v[0:2], off
.LBB2_23:
	s_endpgm
	.section	.rodata,"a",@progbits
	.p2align	6, 0x0
	.amdhsa_kernel _ZN9rocsparseL19gebsrmvn_3xn_kernelILj128ELj1ELj16EfEEvi20rocsparse_direction_NS_24const_host_device_scalarIT2_EEPKiS6_PKS3_S8_S4_PS3_21rocsparse_index_base_b
		.amdhsa_group_segment_fixed_size 0
		.amdhsa_private_segment_fixed_size 0
		.amdhsa_kernarg_size 72
		.amdhsa_user_sgpr_count 6
		.amdhsa_user_sgpr_private_segment_buffer 1
		.amdhsa_user_sgpr_dispatch_ptr 0
		.amdhsa_user_sgpr_queue_ptr 0
		.amdhsa_user_sgpr_kernarg_segment_ptr 1
		.amdhsa_user_sgpr_dispatch_id 0
		.amdhsa_user_sgpr_flat_scratch_init 0
		.amdhsa_user_sgpr_private_segment_size 0
		.amdhsa_wavefront_size32 1
		.amdhsa_uses_dynamic_stack 0
		.amdhsa_system_sgpr_private_segment_wavefront_offset 0
		.amdhsa_system_sgpr_workgroup_id_x 1
		.amdhsa_system_sgpr_workgroup_id_y 0
		.amdhsa_system_sgpr_workgroup_id_z 0
		.amdhsa_system_sgpr_workgroup_info 0
		.amdhsa_system_vgpr_workitem_id 0
		.amdhsa_next_free_vgpr 19
		.amdhsa_next_free_sgpr 20
		.amdhsa_reserve_vcc 1
		.amdhsa_reserve_flat_scratch 0
		.amdhsa_float_round_mode_32 0
		.amdhsa_float_round_mode_16_64 0
		.amdhsa_float_denorm_mode_32 3
		.amdhsa_float_denorm_mode_16_64 3
		.amdhsa_dx10_clamp 1
		.amdhsa_ieee_mode 1
		.amdhsa_fp16_overflow 0
		.amdhsa_workgroup_processor_mode 1
		.amdhsa_memory_ordered 1
		.amdhsa_forward_progress 1
		.amdhsa_shared_vgpr_count 0
		.amdhsa_exception_fp_ieee_invalid_op 0
		.amdhsa_exception_fp_denorm_src 0
		.amdhsa_exception_fp_ieee_div_zero 0
		.amdhsa_exception_fp_ieee_overflow 0
		.amdhsa_exception_fp_ieee_underflow 0
		.amdhsa_exception_fp_ieee_inexact 0
		.amdhsa_exception_int_div_zero 0
	.end_amdhsa_kernel
	.section	.text._ZN9rocsparseL19gebsrmvn_3xn_kernelILj128ELj1ELj16EfEEvi20rocsparse_direction_NS_24const_host_device_scalarIT2_EEPKiS6_PKS3_S8_S4_PS3_21rocsparse_index_base_b,"axG",@progbits,_ZN9rocsparseL19gebsrmvn_3xn_kernelILj128ELj1ELj16EfEEvi20rocsparse_direction_NS_24const_host_device_scalarIT2_EEPKiS6_PKS3_S8_S4_PS3_21rocsparse_index_base_b,comdat
.Lfunc_end2:
	.size	_ZN9rocsparseL19gebsrmvn_3xn_kernelILj128ELj1ELj16EfEEvi20rocsparse_direction_NS_24const_host_device_scalarIT2_EEPKiS6_PKS3_S8_S4_PS3_21rocsparse_index_base_b, .Lfunc_end2-_ZN9rocsparseL19gebsrmvn_3xn_kernelILj128ELj1ELj16EfEEvi20rocsparse_direction_NS_24const_host_device_scalarIT2_EEPKiS6_PKS3_S8_S4_PS3_21rocsparse_index_base_b
                                        ; -- End function
	.set _ZN9rocsparseL19gebsrmvn_3xn_kernelILj128ELj1ELj16EfEEvi20rocsparse_direction_NS_24const_host_device_scalarIT2_EEPKiS6_PKS3_S8_S4_PS3_21rocsparse_index_base_b.num_vgpr, 19
	.set _ZN9rocsparseL19gebsrmvn_3xn_kernelILj128ELj1ELj16EfEEvi20rocsparse_direction_NS_24const_host_device_scalarIT2_EEPKiS6_PKS3_S8_S4_PS3_21rocsparse_index_base_b.num_agpr, 0
	.set _ZN9rocsparseL19gebsrmvn_3xn_kernelILj128ELj1ELj16EfEEvi20rocsparse_direction_NS_24const_host_device_scalarIT2_EEPKiS6_PKS3_S8_S4_PS3_21rocsparse_index_base_b.numbered_sgpr, 20
	.set _ZN9rocsparseL19gebsrmvn_3xn_kernelILj128ELj1ELj16EfEEvi20rocsparse_direction_NS_24const_host_device_scalarIT2_EEPKiS6_PKS3_S8_S4_PS3_21rocsparse_index_base_b.num_named_barrier, 0
	.set _ZN9rocsparseL19gebsrmvn_3xn_kernelILj128ELj1ELj16EfEEvi20rocsparse_direction_NS_24const_host_device_scalarIT2_EEPKiS6_PKS3_S8_S4_PS3_21rocsparse_index_base_b.private_seg_size, 0
	.set _ZN9rocsparseL19gebsrmvn_3xn_kernelILj128ELj1ELj16EfEEvi20rocsparse_direction_NS_24const_host_device_scalarIT2_EEPKiS6_PKS3_S8_S4_PS3_21rocsparse_index_base_b.uses_vcc, 1
	.set _ZN9rocsparseL19gebsrmvn_3xn_kernelILj128ELj1ELj16EfEEvi20rocsparse_direction_NS_24const_host_device_scalarIT2_EEPKiS6_PKS3_S8_S4_PS3_21rocsparse_index_base_b.uses_flat_scratch, 0
	.set _ZN9rocsparseL19gebsrmvn_3xn_kernelILj128ELj1ELj16EfEEvi20rocsparse_direction_NS_24const_host_device_scalarIT2_EEPKiS6_PKS3_S8_S4_PS3_21rocsparse_index_base_b.has_dyn_sized_stack, 0
	.set _ZN9rocsparseL19gebsrmvn_3xn_kernelILj128ELj1ELj16EfEEvi20rocsparse_direction_NS_24const_host_device_scalarIT2_EEPKiS6_PKS3_S8_S4_PS3_21rocsparse_index_base_b.has_recursion, 0
	.set _ZN9rocsparseL19gebsrmvn_3xn_kernelILj128ELj1ELj16EfEEvi20rocsparse_direction_NS_24const_host_device_scalarIT2_EEPKiS6_PKS3_S8_S4_PS3_21rocsparse_index_base_b.has_indirect_call, 0
	.section	.AMDGPU.csdata,"",@progbits
; Kernel info:
; codeLenInByte = 1248
; TotalNumSgprs: 22
; NumVgprs: 19
; ScratchSize: 0
; MemoryBound: 0
; FloatMode: 240
; IeeeMode: 1
; LDSByteSize: 0 bytes/workgroup (compile time only)
; SGPRBlocks: 0
; VGPRBlocks: 2
; NumSGPRsForWavesPerEU: 22
; NumVGPRsForWavesPerEU: 19
; Occupancy: 16
; WaveLimiterHint : 1
; COMPUTE_PGM_RSRC2:SCRATCH_EN: 0
; COMPUTE_PGM_RSRC2:USER_SGPR: 6
; COMPUTE_PGM_RSRC2:TRAP_HANDLER: 0
; COMPUTE_PGM_RSRC2:TGID_X_EN: 1
; COMPUTE_PGM_RSRC2:TGID_Y_EN: 0
; COMPUTE_PGM_RSRC2:TGID_Z_EN: 0
; COMPUTE_PGM_RSRC2:TIDIG_COMP_CNT: 0
	.section	.text._ZN9rocsparseL19gebsrmvn_3xn_kernelILj128ELj1ELj32EfEEvi20rocsparse_direction_NS_24const_host_device_scalarIT2_EEPKiS6_PKS3_S8_S4_PS3_21rocsparse_index_base_b,"axG",@progbits,_ZN9rocsparseL19gebsrmvn_3xn_kernelILj128ELj1ELj32EfEEvi20rocsparse_direction_NS_24const_host_device_scalarIT2_EEPKiS6_PKS3_S8_S4_PS3_21rocsparse_index_base_b,comdat
	.globl	_ZN9rocsparseL19gebsrmvn_3xn_kernelILj128ELj1ELj32EfEEvi20rocsparse_direction_NS_24const_host_device_scalarIT2_EEPKiS6_PKS3_S8_S4_PS3_21rocsparse_index_base_b ; -- Begin function _ZN9rocsparseL19gebsrmvn_3xn_kernelILj128ELj1ELj32EfEEvi20rocsparse_direction_NS_24const_host_device_scalarIT2_EEPKiS6_PKS3_S8_S4_PS3_21rocsparse_index_base_b
	.p2align	8
	.type	_ZN9rocsparseL19gebsrmvn_3xn_kernelILj128ELj1ELj32EfEEvi20rocsparse_direction_NS_24const_host_device_scalarIT2_EEPKiS6_PKS3_S8_S4_PS3_21rocsparse_index_base_b,@function
_ZN9rocsparseL19gebsrmvn_3xn_kernelILj128ELj1ELj32EfEEvi20rocsparse_direction_NS_24const_host_device_scalarIT2_EEPKiS6_PKS3_S8_S4_PS3_21rocsparse_index_base_b: ; @_ZN9rocsparseL19gebsrmvn_3xn_kernelILj128ELj1ELj32EfEEvi20rocsparse_direction_NS_24const_host_device_scalarIT2_EEPKiS6_PKS3_S8_S4_PS3_21rocsparse_index_base_b
; %bb.0:
	s_clause 0x2
	s_load_dwordx2 s[18:19], s[4:5], 0x40
	s_load_dwordx2 s[16:17], s[4:5], 0x8
	;; [unrolled: 1-line block ×3, first 2 shown]
	s_waitcnt lgkmcnt(0)
	s_bitcmp1_b32 s19, 0
	s_cselect_b32 s0, -1, 0
	s_and_b32 vcc_lo, exec_lo, s0
	s_xor_b32 s0, s0, -1
	s_cbranch_vccnz .LBB3_2
; %bb.1:
	s_load_dword s16, s[16:17], 0x0
.LBB3_2:
	s_andn2_b32 vcc_lo, exec_lo, s0
	s_cbranch_vccnz .LBB3_4
; %bb.3:
	s_load_dword s2, s[2:3], 0x0
.LBB3_4:
	s_waitcnt lgkmcnt(0)
	v_cmp_eq_f32_e64 s0, s16, 0
	v_cmp_eq_f32_e64 s1, s2, 1.0
	s_and_b32 s0, s0, s1
	s_and_b32 vcc_lo, exec_lo, s0
	s_cbranch_vccnz .LBB3_23
; %bb.5:
	s_load_dwordx2 s[0:1], s[4:5], 0x0
	v_lshrrev_b32_e32 v1, 5, v0
	v_lshl_or_b32 v1, s6, 2, v1
	s_waitcnt lgkmcnt(0)
	v_cmp_gt_i32_e32 vcc_lo, s0, v1
	s_and_saveexec_b32 s0, vcc_lo
	s_cbranch_execz .LBB3_23
; %bb.6:
	s_load_dwordx8 s[8:15], s[4:5], 0x10
	v_ashrrev_i32_e32 v2, 31, v1
	v_and_b32_e32 v0, 31, v0
	s_cmp_lg_u32 s1, 0
	v_lshlrev_b64 v[2:3], 2, v[1:2]
	s_waitcnt lgkmcnt(0)
	v_add_co_u32 v2, vcc_lo, s8, v2
	v_add_co_ci_u32_e64 v3, null, s9, v3, vcc_lo
	global_load_dwordx2 v[2:3], v[2:3], off
	s_waitcnt vmcnt(0)
	v_subrev_nc_u32_e32 v2, s18, v2
	v_subrev_nc_u32_e32 v10, s18, v3
	v_add_nc_u32_e32 v2, v2, v0
	v_cmp_lt_i32_e64 s0, v2, v10
	s_cbranch_scc0 .LBB3_12
; %bb.7:
	v_mov_b32_e32 v7, 0
	v_mov_b32_e32 v8, 0
	;; [unrolled: 1-line block ×3, first 2 shown]
	s_and_saveexec_b32 s1, s0
	s_cbranch_execz .LBB3_11
; %bb.8:
	v_mov_b32_e32 v4, 0
	v_lshl_add_u32 v3, v2, 1, v2
	v_mov_b32_e32 v5, v2
	s_mov_b32 s3, 0
	v_mov_b32_e32 v7, v4
	v_mov_b32_e32 v8, v4
	;; [unrolled: 1-line block ×3, first 2 shown]
.LBB3_9:                                ; =>This Inner Loop Header: Depth=1
	v_ashrrev_i32_e32 v6, 31, v5
	v_lshlrev_b64 v[15:16], 2, v[3:4]
	v_add_nc_u32_e32 v13, 2, v3
	v_mov_b32_e32 v14, v4
	v_mov_b32_e32 v17, v4
	v_lshlrev_b64 v[11:12], 2, v[5:6]
	v_add_nc_u32_e32 v5, 32, v5
	v_lshlrev_b64 v[13:14], 2, v[13:14]
	v_add_co_u32 v11, vcc_lo, s10, v11
	v_add_co_ci_u32_e64 v12, null, s11, v12, vcc_lo
	v_add_co_u32 v15, vcc_lo, s12, v15
	v_add_co_ci_u32_e64 v16, null, s13, v16, vcc_lo
	global_load_dword v6, v[11:12], off
	v_add_nc_u32_e32 v11, 1, v3
	v_mov_b32_e32 v12, v4
	global_load_dword v18, v[15:16], off
	v_add_nc_u32_e32 v3, 0x60, v3
	v_lshlrev_b64 v[11:12], 2, v[11:12]
	v_add_co_u32 v11, vcc_lo, s12, v11
	v_add_co_ci_u32_e64 v12, null, s13, v12, vcc_lo
	v_add_co_u32 v13, vcc_lo, s12, v13
	v_add_co_ci_u32_e64 v14, null, s13, v14, vcc_lo
	s_waitcnt vmcnt(1)
	v_subrev_nc_u32_e32 v16, s18, v6
	v_lshlrev_b64 v[15:16], 2, v[16:17]
	v_add_co_u32 v15, vcc_lo, s14, v15
	v_add_co_ci_u32_e64 v16, null, s15, v16, vcc_lo
	s_clause 0x1
	global_load_dword v6, v[11:12], off
	global_load_dword v11, v[13:14], off
	;; [unrolled: 1-line block ×3, first 2 shown]
	v_cmp_ge_i32_e32 vcc_lo, v5, v10
	s_or_b32 s3, vcc_lo, s3
	s_waitcnt vmcnt(0)
	v_fmac_f32_e32 v7, v18, v12
	v_fmac_f32_e32 v9, v6, v12
	;; [unrolled: 1-line block ×3, first 2 shown]
	s_andn2_b32 exec_lo, exec_lo, s3
	s_cbranch_execnz .LBB3_9
; %bb.10:
	s_or_b32 exec_lo, exec_lo, s3
.LBB3_11:
	s_or_b32 exec_lo, exec_lo, s1
	s_cbranch_execz .LBB3_13
	s_branch .LBB3_18
.LBB3_12:
                                        ; implicit-def: $vgpr7
                                        ; implicit-def: $vgpr8
                                        ; implicit-def: $vgpr9
.LBB3_13:
	v_mov_b32_e32 v7, 0
	v_mov_b32_e32 v8, 0
	;; [unrolled: 1-line block ×3, first 2 shown]
	s_and_saveexec_b32 s1, s0
	s_cbranch_execz .LBB3_17
; %bb.14:
	v_mov_b32_e32 v5, 0
	v_lshl_add_u32 v4, v2, 1, v2
	s_mov_b32 s0, 0
	v_mov_b32_e32 v7, v5
	v_mov_b32_e32 v8, v5
	;; [unrolled: 1-line block ×3, first 2 shown]
.LBB3_15:                               ; =>This Inner Loop Header: Depth=1
	v_ashrrev_i32_e32 v3, 31, v2
	v_lshlrev_b64 v[15:16], 2, v[4:5]
	v_add_nc_u32_e32 v13, 2, v4
	v_mov_b32_e32 v14, v5
	v_mov_b32_e32 v17, v5
	v_lshlrev_b64 v[11:12], 2, v[2:3]
	v_add_nc_u32_e32 v2, 32, v2
	v_lshlrev_b64 v[13:14], 2, v[13:14]
	v_add_co_u32 v11, vcc_lo, s10, v11
	v_add_co_ci_u32_e64 v12, null, s11, v12, vcc_lo
	v_add_co_u32 v15, vcc_lo, s12, v15
	v_add_co_ci_u32_e64 v16, null, s13, v16, vcc_lo
	global_load_dword v3, v[11:12], off
	v_add_nc_u32_e32 v11, 1, v4
	v_mov_b32_e32 v12, v5
	global_load_dword v6, v[15:16], off
	v_add_nc_u32_e32 v4, 0x60, v4
	v_lshlrev_b64 v[11:12], 2, v[11:12]
	v_add_co_u32 v11, vcc_lo, s12, v11
	v_add_co_ci_u32_e64 v12, null, s13, v12, vcc_lo
	v_add_co_u32 v13, vcc_lo, s12, v13
	v_add_co_ci_u32_e64 v14, null, s13, v14, vcc_lo
	s_waitcnt vmcnt(1)
	v_subrev_nc_u32_e32 v16, s18, v3
	v_lshlrev_b64 v[15:16], 2, v[16:17]
	v_add_co_u32 v15, vcc_lo, s14, v15
	v_add_co_ci_u32_e64 v16, null, s15, v16, vcc_lo
	s_clause 0x1
	global_load_dword v3, v[11:12], off
	global_load_dword v11, v[13:14], off
	;; [unrolled: 1-line block ×3, first 2 shown]
	v_cmp_ge_i32_e32 vcc_lo, v2, v10
	s_or_b32 s0, vcc_lo, s0
	s_waitcnt vmcnt(0)
	v_fmac_f32_e32 v7, v6, v12
	v_fmac_f32_e32 v9, v3, v12
	;; [unrolled: 1-line block ×3, first 2 shown]
	s_andn2_b32 exec_lo, exec_lo, s0
	s_cbranch_execnz .LBB3_15
; %bb.16:
	s_or_b32 exec_lo, exec_lo, s0
.LBB3_17:
	s_or_b32 exec_lo, exec_lo, s1
.LBB3_18:
	v_mbcnt_lo_u32_b32 v2, -1, 0
	s_mov_b32 s3, -1
	v_xor_b32_e32 v3, 16, v2
	v_xor_b32_e32 v6, 8, v2
	v_cmp_gt_i32_e32 vcc_lo, 32, v3
	v_cndmask_b32_e32 v3, v2, v3, vcc_lo
	v_cmp_gt_i32_e32 vcc_lo, 32, v6
	v_lshlrev_b32_e32 v3, 2, v3
	v_cndmask_b32_e32 v6, v2, v6, vcc_lo
	ds_bpermute_b32 v4, v3, v7
	ds_bpermute_b32 v5, v3, v9
	ds_bpermute_b32 v3, v3, v8
	v_lshlrev_b32_e32 v6, 2, v6
	s_waitcnt lgkmcnt(2)
	v_add_f32_e32 v4, v7, v4
	s_waitcnt lgkmcnt(1)
	v_add_f32_e32 v5, v9, v5
	;; [unrolled: 2-line block ×3, first 2 shown]
	v_xor_b32_e32 v9, 4, v2
	ds_bpermute_b32 v7, v6, v4
	ds_bpermute_b32 v8, v6, v5
	ds_bpermute_b32 v6, v6, v3
	v_cmp_gt_i32_e32 vcc_lo, 32, v9
	v_cndmask_b32_e32 v9, v2, v9, vcc_lo
	v_lshlrev_b32_e32 v9, 2, v9
	s_waitcnt lgkmcnt(2)
	v_add_f32_e32 v4, v4, v7
	s_waitcnt lgkmcnt(1)
	v_add_f32_e32 v5, v5, v8
	;; [unrolled: 2-line block ×3, first 2 shown]
	ds_bpermute_b32 v6, v9, v4
	ds_bpermute_b32 v7, v9, v5
	;; [unrolled: 1-line block ×3, first 2 shown]
	v_xor_b32_e32 v9, 2, v2
	v_cmp_gt_i32_e32 vcc_lo, 32, v9
	v_cndmask_b32_e32 v9, v2, v9, vcc_lo
	v_lshlrev_b32_e32 v9, 2, v9
	s_waitcnt lgkmcnt(2)
	v_add_f32_e32 v4, v4, v6
	s_waitcnt lgkmcnt(1)
	v_add_f32_e32 v5, v5, v7
	;; [unrolled: 2-line block ×3, first 2 shown]
	ds_bpermute_b32 v3, v9, v4
	ds_bpermute_b32 v7, v9, v5
	;; [unrolled: 1-line block ×3, first 2 shown]
	v_xor_b32_e32 v9, 1, v2
	v_cmp_gt_i32_e32 vcc_lo, 32, v9
	v_cndmask_b32_e32 v2, v2, v9, vcc_lo
	v_cmp_eq_u32_e32 vcc_lo, 31, v0
	v_lshlrev_b32_e32 v9, 2, v2
	s_waitcnt lgkmcnt(2)
	v_add_f32_e32 v2, v4, v3
	s_waitcnt lgkmcnt(1)
	v_add_f32_e32 v3, v5, v7
	;; [unrolled: 2-line block ×3, first 2 shown]
	ds_bpermute_b32 v5, v9, v2
	ds_bpermute_b32 v6, v9, v3
	;; [unrolled: 1-line block ×3, first 2 shown]
	s_and_b32 exec_lo, exec_lo, vcc_lo
	s_cbranch_execz .LBB3_23
; %bb.19:
	s_load_dwordx2 s[0:1], s[4:5], 0x38
	s_waitcnt lgkmcnt(0)
	v_add_f32_e32 v0, v2, v5
	v_add_f32_e32 v2, v3, v6
	;; [unrolled: 1-line block ×3, first 2 shown]
	v_lshl_add_u32 v3, v1, 1, v1
	v_cmp_eq_f32_e64 s4, s2, 0
	v_mul_f32_e32 v0, s16, v0
	v_mul_f32_e32 v1, s16, v2
	;; [unrolled: 1-line block ×3, first 2 shown]
	v_ashrrev_i32_e32 v4, 31, v3
	s_and_b32 vcc_lo, exec_lo, s4
	s_cbranch_vccz .LBB3_21
; %bb.20:
	v_lshlrev_b64 v[5:6], 2, v[3:4]
	s_mov_b32 s3, 0
	v_add_co_u32 v5, vcc_lo, s0, v5
	v_add_co_ci_u32_e64 v6, null, s1, v6, vcc_lo
	global_store_dwordx3 v[5:6], v[0:2], off
.LBB3_21:
	s_andn2_b32 vcc_lo, exec_lo, s3
	s_cbranch_vccnz .LBB3_23
; %bb.22:
	v_lshlrev_b64 v[3:4], 2, v[3:4]
	v_add_co_u32 v6, vcc_lo, s0, v3
	v_add_co_ci_u32_e64 v7, null, s1, v4, vcc_lo
	global_load_dwordx3 v[3:5], v[6:7], off
	s_waitcnt vmcnt(0)
	v_fmac_f32_e32 v0, s2, v3
	v_fmac_f32_e32 v1, s2, v4
	v_fmac_f32_e32 v2, s2, v5
	global_store_dwordx3 v[6:7], v[0:2], off
.LBB3_23:
	s_endpgm
	.section	.rodata,"a",@progbits
	.p2align	6, 0x0
	.amdhsa_kernel _ZN9rocsparseL19gebsrmvn_3xn_kernelILj128ELj1ELj32EfEEvi20rocsparse_direction_NS_24const_host_device_scalarIT2_EEPKiS6_PKS3_S8_S4_PS3_21rocsparse_index_base_b
		.amdhsa_group_segment_fixed_size 0
		.amdhsa_private_segment_fixed_size 0
		.amdhsa_kernarg_size 72
		.amdhsa_user_sgpr_count 6
		.amdhsa_user_sgpr_private_segment_buffer 1
		.amdhsa_user_sgpr_dispatch_ptr 0
		.amdhsa_user_sgpr_queue_ptr 0
		.amdhsa_user_sgpr_kernarg_segment_ptr 1
		.amdhsa_user_sgpr_dispatch_id 0
		.amdhsa_user_sgpr_flat_scratch_init 0
		.amdhsa_user_sgpr_private_segment_size 0
		.amdhsa_wavefront_size32 1
		.amdhsa_uses_dynamic_stack 0
		.amdhsa_system_sgpr_private_segment_wavefront_offset 0
		.amdhsa_system_sgpr_workgroup_id_x 1
		.amdhsa_system_sgpr_workgroup_id_y 0
		.amdhsa_system_sgpr_workgroup_id_z 0
		.amdhsa_system_sgpr_workgroup_info 0
		.amdhsa_system_vgpr_workitem_id 0
		.amdhsa_next_free_vgpr 19
		.amdhsa_next_free_sgpr 20
		.amdhsa_reserve_vcc 1
		.amdhsa_reserve_flat_scratch 0
		.amdhsa_float_round_mode_32 0
		.amdhsa_float_round_mode_16_64 0
		.amdhsa_float_denorm_mode_32 3
		.amdhsa_float_denorm_mode_16_64 3
		.amdhsa_dx10_clamp 1
		.amdhsa_ieee_mode 1
		.amdhsa_fp16_overflow 0
		.amdhsa_workgroup_processor_mode 1
		.amdhsa_memory_ordered 1
		.amdhsa_forward_progress 1
		.amdhsa_shared_vgpr_count 0
		.amdhsa_exception_fp_ieee_invalid_op 0
		.amdhsa_exception_fp_denorm_src 0
		.amdhsa_exception_fp_ieee_div_zero 0
		.amdhsa_exception_fp_ieee_overflow 0
		.amdhsa_exception_fp_ieee_underflow 0
		.amdhsa_exception_fp_ieee_inexact 0
		.amdhsa_exception_int_div_zero 0
	.end_amdhsa_kernel
	.section	.text._ZN9rocsparseL19gebsrmvn_3xn_kernelILj128ELj1ELj32EfEEvi20rocsparse_direction_NS_24const_host_device_scalarIT2_EEPKiS6_PKS3_S8_S4_PS3_21rocsparse_index_base_b,"axG",@progbits,_ZN9rocsparseL19gebsrmvn_3xn_kernelILj128ELj1ELj32EfEEvi20rocsparse_direction_NS_24const_host_device_scalarIT2_EEPKiS6_PKS3_S8_S4_PS3_21rocsparse_index_base_b,comdat
.Lfunc_end3:
	.size	_ZN9rocsparseL19gebsrmvn_3xn_kernelILj128ELj1ELj32EfEEvi20rocsparse_direction_NS_24const_host_device_scalarIT2_EEPKiS6_PKS3_S8_S4_PS3_21rocsparse_index_base_b, .Lfunc_end3-_ZN9rocsparseL19gebsrmvn_3xn_kernelILj128ELj1ELj32EfEEvi20rocsparse_direction_NS_24const_host_device_scalarIT2_EEPKiS6_PKS3_S8_S4_PS3_21rocsparse_index_base_b
                                        ; -- End function
	.set _ZN9rocsparseL19gebsrmvn_3xn_kernelILj128ELj1ELj32EfEEvi20rocsparse_direction_NS_24const_host_device_scalarIT2_EEPKiS6_PKS3_S8_S4_PS3_21rocsparse_index_base_b.num_vgpr, 19
	.set _ZN9rocsparseL19gebsrmvn_3xn_kernelILj128ELj1ELj32EfEEvi20rocsparse_direction_NS_24const_host_device_scalarIT2_EEPKiS6_PKS3_S8_S4_PS3_21rocsparse_index_base_b.num_agpr, 0
	.set _ZN9rocsparseL19gebsrmvn_3xn_kernelILj128ELj1ELj32EfEEvi20rocsparse_direction_NS_24const_host_device_scalarIT2_EEPKiS6_PKS3_S8_S4_PS3_21rocsparse_index_base_b.numbered_sgpr, 20
	.set _ZN9rocsparseL19gebsrmvn_3xn_kernelILj128ELj1ELj32EfEEvi20rocsparse_direction_NS_24const_host_device_scalarIT2_EEPKiS6_PKS3_S8_S4_PS3_21rocsparse_index_base_b.num_named_barrier, 0
	.set _ZN9rocsparseL19gebsrmvn_3xn_kernelILj128ELj1ELj32EfEEvi20rocsparse_direction_NS_24const_host_device_scalarIT2_EEPKiS6_PKS3_S8_S4_PS3_21rocsparse_index_base_b.private_seg_size, 0
	.set _ZN9rocsparseL19gebsrmvn_3xn_kernelILj128ELj1ELj32EfEEvi20rocsparse_direction_NS_24const_host_device_scalarIT2_EEPKiS6_PKS3_S8_S4_PS3_21rocsparse_index_base_b.uses_vcc, 1
	.set _ZN9rocsparseL19gebsrmvn_3xn_kernelILj128ELj1ELj32EfEEvi20rocsparse_direction_NS_24const_host_device_scalarIT2_EEPKiS6_PKS3_S8_S4_PS3_21rocsparse_index_base_b.uses_flat_scratch, 0
	.set _ZN9rocsparseL19gebsrmvn_3xn_kernelILj128ELj1ELj32EfEEvi20rocsparse_direction_NS_24const_host_device_scalarIT2_EEPKiS6_PKS3_S8_S4_PS3_21rocsparse_index_base_b.has_dyn_sized_stack, 0
	.set _ZN9rocsparseL19gebsrmvn_3xn_kernelILj128ELj1ELj32EfEEvi20rocsparse_direction_NS_24const_host_device_scalarIT2_EEPKiS6_PKS3_S8_S4_PS3_21rocsparse_index_base_b.has_recursion, 0
	.set _ZN9rocsparseL19gebsrmvn_3xn_kernelILj128ELj1ELj32EfEEvi20rocsparse_direction_NS_24const_host_device_scalarIT2_EEPKiS6_PKS3_S8_S4_PS3_21rocsparse_index_base_b.has_indirect_call, 0
	.section	.AMDGPU.csdata,"",@progbits
; Kernel info:
; codeLenInByte = 1320
; TotalNumSgprs: 22
; NumVgprs: 19
; ScratchSize: 0
; MemoryBound: 0
; FloatMode: 240
; IeeeMode: 1
; LDSByteSize: 0 bytes/workgroup (compile time only)
; SGPRBlocks: 0
; VGPRBlocks: 2
; NumSGPRsForWavesPerEU: 22
; NumVGPRsForWavesPerEU: 19
; Occupancy: 16
; WaveLimiterHint : 1
; COMPUTE_PGM_RSRC2:SCRATCH_EN: 0
; COMPUTE_PGM_RSRC2:USER_SGPR: 6
; COMPUTE_PGM_RSRC2:TRAP_HANDLER: 0
; COMPUTE_PGM_RSRC2:TGID_X_EN: 1
; COMPUTE_PGM_RSRC2:TGID_Y_EN: 0
; COMPUTE_PGM_RSRC2:TGID_Z_EN: 0
; COMPUTE_PGM_RSRC2:TIDIG_COMP_CNT: 0
	.section	.text._ZN9rocsparseL19gebsrmvn_3xn_kernelILj128ELj1ELj64EfEEvi20rocsparse_direction_NS_24const_host_device_scalarIT2_EEPKiS6_PKS3_S8_S4_PS3_21rocsparse_index_base_b,"axG",@progbits,_ZN9rocsparseL19gebsrmvn_3xn_kernelILj128ELj1ELj64EfEEvi20rocsparse_direction_NS_24const_host_device_scalarIT2_EEPKiS6_PKS3_S8_S4_PS3_21rocsparse_index_base_b,comdat
	.globl	_ZN9rocsparseL19gebsrmvn_3xn_kernelILj128ELj1ELj64EfEEvi20rocsparse_direction_NS_24const_host_device_scalarIT2_EEPKiS6_PKS3_S8_S4_PS3_21rocsparse_index_base_b ; -- Begin function _ZN9rocsparseL19gebsrmvn_3xn_kernelILj128ELj1ELj64EfEEvi20rocsparse_direction_NS_24const_host_device_scalarIT2_EEPKiS6_PKS3_S8_S4_PS3_21rocsparse_index_base_b
	.p2align	8
	.type	_ZN9rocsparseL19gebsrmvn_3xn_kernelILj128ELj1ELj64EfEEvi20rocsparse_direction_NS_24const_host_device_scalarIT2_EEPKiS6_PKS3_S8_S4_PS3_21rocsparse_index_base_b,@function
_ZN9rocsparseL19gebsrmvn_3xn_kernelILj128ELj1ELj64EfEEvi20rocsparse_direction_NS_24const_host_device_scalarIT2_EEPKiS6_PKS3_S8_S4_PS3_21rocsparse_index_base_b: ; @_ZN9rocsparseL19gebsrmvn_3xn_kernelILj128ELj1ELj64EfEEvi20rocsparse_direction_NS_24const_host_device_scalarIT2_EEPKiS6_PKS3_S8_S4_PS3_21rocsparse_index_base_b
; %bb.0:
	s_clause 0x2
	s_load_dwordx2 s[18:19], s[4:5], 0x40
	s_load_dwordx2 s[16:17], s[4:5], 0x8
	;; [unrolled: 1-line block ×3, first 2 shown]
	s_waitcnt lgkmcnt(0)
	s_bitcmp1_b32 s19, 0
	s_cselect_b32 s0, -1, 0
	s_and_b32 vcc_lo, exec_lo, s0
	s_xor_b32 s0, s0, -1
	s_cbranch_vccnz .LBB4_2
; %bb.1:
	s_load_dword s16, s[16:17], 0x0
.LBB4_2:
	s_andn2_b32 vcc_lo, exec_lo, s0
	s_cbranch_vccnz .LBB4_4
; %bb.3:
	s_load_dword s2, s[2:3], 0x0
.LBB4_4:
	s_waitcnt lgkmcnt(0)
	v_cmp_eq_f32_e64 s0, s16, 0
	v_cmp_eq_f32_e64 s1, s2, 1.0
	s_and_b32 s0, s0, s1
	s_and_b32 vcc_lo, exec_lo, s0
	s_cbranch_vccnz .LBB4_23
; %bb.5:
	s_load_dwordx2 s[0:1], s[4:5], 0x0
	v_lshrrev_b32_e32 v1, 6, v0
	v_lshl_or_b32 v1, s6, 1, v1
	s_waitcnt lgkmcnt(0)
	v_cmp_gt_i32_e32 vcc_lo, s0, v1
	s_and_saveexec_b32 s0, vcc_lo
	s_cbranch_execz .LBB4_23
; %bb.6:
	s_load_dwordx8 s[8:15], s[4:5], 0x10
	v_ashrrev_i32_e32 v2, 31, v1
	v_and_b32_e32 v0, 63, v0
	s_cmp_lg_u32 s1, 0
	v_lshlrev_b64 v[2:3], 2, v[1:2]
	s_waitcnt lgkmcnt(0)
	v_add_co_u32 v2, vcc_lo, s8, v2
	v_add_co_ci_u32_e64 v3, null, s9, v3, vcc_lo
	global_load_dwordx2 v[2:3], v[2:3], off
	s_waitcnt vmcnt(0)
	v_subrev_nc_u32_e32 v2, s18, v2
	v_subrev_nc_u32_e32 v10, s18, v3
	v_add_nc_u32_e32 v2, v2, v0
	v_cmp_lt_i32_e64 s0, v2, v10
	s_cbranch_scc0 .LBB4_12
; %bb.7:
	v_mov_b32_e32 v7, 0
	v_mov_b32_e32 v8, 0
	;; [unrolled: 1-line block ×3, first 2 shown]
	s_and_saveexec_b32 s1, s0
	s_cbranch_execz .LBB4_11
; %bb.8:
	v_mov_b32_e32 v4, 0
	v_lshl_add_u32 v3, v2, 1, v2
	v_mov_b32_e32 v5, v2
	s_mov_b32 s3, 0
	v_mov_b32_e32 v7, v4
	v_mov_b32_e32 v8, v4
	;; [unrolled: 1-line block ×3, first 2 shown]
.LBB4_9:                                ; =>This Inner Loop Header: Depth=1
	v_ashrrev_i32_e32 v6, 31, v5
	v_lshlrev_b64 v[15:16], 2, v[3:4]
	v_add_nc_u32_e32 v13, 2, v3
	v_mov_b32_e32 v14, v4
	v_mov_b32_e32 v17, v4
	v_lshlrev_b64 v[11:12], 2, v[5:6]
	v_add_nc_u32_e32 v5, 64, v5
	v_lshlrev_b64 v[13:14], 2, v[13:14]
	v_add_co_u32 v11, vcc_lo, s10, v11
	v_add_co_ci_u32_e64 v12, null, s11, v12, vcc_lo
	v_add_co_u32 v15, vcc_lo, s12, v15
	v_add_co_ci_u32_e64 v16, null, s13, v16, vcc_lo
	global_load_dword v6, v[11:12], off
	v_add_nc_u32_e32 v11, 1, v3
	v_mov_b32_e32 v12, v4
	global_load_dword v18, v[15:16], off
	v_add_nc_u32_e32 v3, 0xc0, v3
	v_lshlrev_b64 v[11:12], 2, v[11:12]
	v_add_co_u32 v11, vcc_lo, s12, v11
	v_add_co_ci_u32_e64 v12, null, s13, v12, vcc_lo
	v_add_co_u32 v13, vcc_lo, s12, v13
	v_add_co_ci_u32_e64 v14, null, s13, v14, vcc_lo
	s_waitcnt vmcnt(1)
	v_subrev_nc_u32_e32 v16, s18, v6
	v_lshlrev_b64 v[15:16], 2, v[16:17]
	v_add_co_u32 v15, vcc_lo, s14, v15
	v_add_co_ci_u32_e64 v16, null, s15, v16, vcc_lo
	s_clause 0x1
	global_load_dword v6, v[11:12], off
	global_load_dword v11, v[13:14], off
	;; [unrolled: 1-line block ×3, first 2 shown]
	v_cmp_ge_i32_e32 vcc_lo, v5, v10
	s_or_b32 s3, vcc_lo, s3
	s_waitcnt vmcnt(0)
	v_fmac_f32_e32 v7, v18, v12
	v_fmac_f32_e32 v9, v6, v12
	;; [unrolled: 1-line block ×3, first 2 shown]
	s_andn2_b32 exec_lo, exec_lo, s3
	s_cbranch_execnz .LBB4_9
; %bb.10:
	s_or_b32 exec_lo, exec_lo, s3
.LBB4_11:
	s_or_b32 exec_lo, exec_lo, s1
	s_cbranch_execz .LBB4_13
	s_branch .LBB4_18
.LBB4_12:
                                        ; implicit-def: $vgpr7
                                        ; implicit-def: $vgpr8
                                        ; implicit-def: $vgpr9
.LBB4_13:
	v_mov_b32_e32 v7, 0
	v_mov_b32_e32 v8, 0
	;; [unrolled: 1-line block ×3, first 2 shown]
	s_and_saveexec_b32 s1, s0
	s_cbranch_execz .LBB4_17
; %bb.14:
	v_mov_b32_e32 v5, 0
	v_lshl_add_u32 v4, v2, 1, v2
	s_mov_b32 s0, 0
	v_mov_b32_e32 v7, v5
	v_mov_b32_e32 v8, v5
	;; [unrolled: 1-line block ×3, first 2 shown]
.LBB4_15:                               ; =>This Inner Loop Header: Depth=1
	v_ashrrev_i32_e32 v3, 31, v2
	v_lshlrev_b64 v[15:16], 2, v[4:5]
	v_add_nc_u32_e32 v13, 2, v4
	v_mov_b32_e32 v14, v5
	v_mov_b32_e32 v17, v5
	v_lshlrev_b64 v[11:12], 2, v[2:3]
	v_add_nc_u32_e32 v2, 64, v2
	v_lshlrev_b64 v[13:14], 2, v[13:14]
	v_add_co_u32 v11, vcc_lo, s10, v11
	v_add_co_ci_u32_e64 v12, null, s11, v12, vcc_lo
	v_add_co_u32 v15, vcc_lo, s12, v15
	v_add_co_ci_u32_e64 v16, null, s13, v16, vcc_lo
	global_load_dword v3, v[11:12], off
	v_add_nc_u32_e32 v11, 1, v4
	v_mov_b32_e32 v12, v5
	global_load_dword v6, v[15:16], off
	v_add_nc_u32_e32 v4, 0xc0, v4
	v_lshlrev_b64 v[11:12], 2, v[11:12]
	v_add_co_u32 v11, vcc_lo, s12, v11
	v_add_co_ci_u32_e64 v12, null, s13, v12, vcc_lo
	v_add_co_u32 v13, vcc_lo, s12, v13
	v_add_co_ci_u32_e64 v14, null, s13, v14, vcc_lo
	s_waitcnt vmcnt(1)
	v_subrev_nc_u32_e32 v16, s18, v3
	v_lshlrev_b64 v[15:16], 2, v[16:17]
	v_add_co_u32 v15, vcc_lo, s14, v15
	v_add_co_ci_u32_e64 v16, null, s15, v16, vcc_lo
	s_clause 0x1
	global_load_dword v3, v[11:12], off
	global_load_dword v11, v[13:14], off
	;; [unrolled: 1-line block ×3, first 2 shown]
	v_cmp_ge_i32_e32 vcc_lo, v2, v10
	s_or_b32 s0, vcc_lo, s0
	s_waitcnt vmcnt(0)
	v_fmac_f32_e32 v7, v6, v12
	v_fmac_f32_e32 v9, v3, v12
	;; [unrolled: 1-line block ×3, first 2 shown]
	s_andn2_b32 exec_lo, exec_lo, s0
	s_cbranch_execnz .LBB4_15
; %bb.16:
	s_or_b32 exec_lo, exec_lo, s0
.LBB4_17:
	s_or_b32 exec_lo, exec_lo, s1
.LBB4_18:
	v_mbcnt_lo_u32_b32 v2, -1, 0
	s_mov_b32 s3, -1
	v_or_b32_e32 v3, 32, v2
	v_xor_b32_e32 v6, 16, v2
	v_cmp_gt_i32_e32 vcc_lo, 32, v3
	v_cndmask_b32_e32 v3, v2, v3, vcc_lo
	v_cmp_gt_i32_e32 vcc_lo, 32, v6
	v_lshlrev_b32_e32 v3, 2, v3
	v_cndmask_b32_e32 v6, v2, v6, vcc_lo
	ds_bpermute_b32 v4, v3, v7
	ds_bpermute_b32 v5, v3, v9
	;; [unrolled: 1-line block ×3, first 2 shown]
	v_lshlrev_b32_e32 v6, 2, v6
	s_waitcnt lgkmcnt(2)
	v_add_f32_e32 v4, v7, v4
	s_waitcnt lgkmcnt(1)
	v_add_f32_e32 v5, v9, v5
	;; [unrolled: 2-line block ×3, first 2 shown]
	v_xor_b32_e32 v9, 8, v2
	ds_bpermute_b32 v7, v6, v4
	ds_bpermute_b32 v8, v6, v5
	;; [unrolled: 1-line block ×3, first 2 shown]
	v_cmp_gt_i32_e32 vcc_lo, 32, v9
	v_cndmask_b32_e32 v9, v2, v9, vcc_lo
	v_lshlrev_b32_e32 v9, 2, v9
	s_waitcnt lgkmcnt(2)
	v_add_f32_e32 v4, v4, v7
	s_waitcnt lgkmcnt(1)
	v_add_f32_e32 v5, v5, v8
	s_waitcnt lgkmcnt(0)
	v_add_f32_e32 v3, v3, v6
	ds_bpermute_b32 v6, v9, v4
	ds_bpermute_b32 v7, v9, v5
	ds_bpermute_b32 v8, v9, v3
	v_xor_b32_e32 v9, 4, v2
	v_cmp_gt_i32_e32 vcc_lo, 32, v9
	v_cndmask_b32_e32 v9, v2, v9, vcc_lo
	v_lshlrev_b32_e32 v9, 2, v9
	s_waitcnt lgkmcnt(2)
	v_add_f32_e32 v4, v4, v6
	s_waitcnt lgkmcnt(1)
	v_add_f32_e32 v5, v5, v7
	s_waitcnt lgkmcnt(0)
	v_add_f32_e32 v3, v3, v8
	ds_bpermute_b32 v6, v9, v4
	ds_bpermute_b32 v7, v9, v5
	ds_bpermute_b32 v8, v9, v3
	v_xor_b32_e32 v9, 2, v2
	;; [unrolled: 13-line block ×3, first 2 shown]
	v_cmp_gt_i32_e32 vcc_lo, 32, v9
	v_cndmask_b32_e32 v2, v2, v9, vcc_lo
	v_cmp_eq_u32_e32 vcc_lo, 63, v0
	v_lshlrev_b32_e32 v9, 2, v2
	s_waitcnt lgkmcnt(2)
	v_add_f32_e32 v2, v4, v3
	s_waitcnt lgkmcnt(1)
	v_add_f32_e32 v3, v5, v7
	s_waitcnt lgkmcnt(0)
	v_add_f32_e32 v4, v6, v8
	ds_bpermute_b32 v5, v9, v2
	ds_bpermute_b32 v6, v9, v3
	;; [unrolled: 1-line block ×3, first 2 shown]
	s_and_b32 exec_lo, exec_lo, vcc_lo
	s_cbranch_execz .LBB4_23
; %bb.19:
	s_load_dwordx2 s[0:1], s[4:5], 0x38
	s_waitcnt lgkmcnt(0)
	v_add_f32_e32 v0, v2, v5
	v_add_f32_e32 v2, v3, v6
	;; [unrolled: 1-line block ×3, first 2 shown]
	v_lshl_add_u32 v3, v1, 1, v1
	v_cmp_eq_f32_e64 s4, s2, 0
	v_mul_f32_e32 v0, s16, v0
	v_mul_f32_e32 v1, s16, v2
	;; [unrolled: 1-line block ×3, first 2 shown]
	v_ashrrev_i32_e32 v4, 31, v3
	s_and_b32 vcc_lo, exec_lo, s4
	s_cbranch_vccz .LBB4_21
; %bb.20:
	v_lshlrev_b64 v[5:6], 2, v[3:4]
	s_mov_b32 s3, 0
	v_add_co_u32 v5, vcc_lo, s0, v5
	v_add_co_ci_u32_e64 v6, null, s1, v6, vcc_lo
	global_store_dwordx3 v[5:6], v[0:2], off
.LBB4_21:
	s_andn2_b32 vcc_lo, exec_lo, s3
	s_cbranch_vccnz .LBB4_23
; %bb.22:
	v_lshlrev_b64 v[3:4], 2, v[3:4]
	v_add_co_u32 v6, vcc_lo, s0, v3
	v_add_co_ci_u32_e64 v7, null, s1, v4, vcc_lo
	global_load_dwordx3 v[3:5], v[6:7], off
	s_waitcnt vmcnt(0)
	v_fmac_f32_e32 v0, s2, v3
	v_fmac_f32_e32 v1, s2, v4
	;; [unrolled: 1-line block ×3, first 2 shown]
	global_store_dwordx3 v[6:7], v[0:2], off
.LBB4_23:
	s_endpgm
	.section	.rodata,"a",@progbits
	.p2align	6, 0x0
	.amdhsa_kernel _ZN9rocsparseL19gebsrmvn_3xn_kernelILj128ELj1ELj64EfEEvi20rocsparse_direction_NS_24const_host_device_scalarIT2_EEPKiS6_PKS3_S8_S4_PS3_21rocsparse_index_base_b
		.amdhsa_group_segment_fixed_size 0
		.amdhsa_private_segment_fixed_size 0
		.amdhsa_kernarg_size 72
		.amdhsa_user_sgpr_count 6
		.amdhsa_user_sgpr_private_segment_buffer 1
		.amdhsa_user_sgpr_dispatch_ptr 0
		.amdhsa_user_sgpr_queue_ptr 0
		.amdhsa_user_sgpr_kernarg_segment_ptr 1
		.amdhsa_user_sgpr_dispatch_id 0
		.amdhsa_user_sgpr_flat_scratch_init 0
		.amdhsa_user_sgpr_private_segment_size 0
		.amdhsa_wavefront_size32 1
		.amdhsa_uses_dynamic_stack 0
		.amdhsa_system_sgpr_private_segment_wavefront_offset 0
		.amdhsa_system_sgpr_workgroup_id_x 1
		.amdhsa_system_sgpr_workgroup_id_y 0
		.amdhsa_system_sgpr_workgroup_id_z 0
		.amdhsa_system_sgpr_workgroup_info 0
		.amdhsa_system_vgpr_workitem_id 0
		.amdhsa_next_free_vgpr 19
		.amdhsa_next_free_sgpr 20
		.amdhsa_reserve_vcc 1
		.amdhsa_reserve_flat_scratch 0
		.amdhsa_float_round_mode_32 0
		.amdhsa_float_round_mode_16_64 0
		.amdhsa_float_denorm_mode_32 3
		.amdhsa_float_denorm_mode_16_64 3
		.amdhsa_dx10_clamp 1
		.amdhsa_ieee_mode 1
		.amdhsa_fp16_overflow 0
		.amdhsa_workgroup_processor_mode 1
		.amdhsa_memory_ordered 1
		.amdhsa_forward_progress 1
		.amdhsa_shared_vgpr_count 0
		.amdhsa_exception_fp_ieee_invalid_op 0
		.amdhsa_exception_fp_denorm_src 0
		.amdhsa_exception_fp_ieee_div_zero 0
		.amdhsa_exception_fp_ieee_overflow 0
		.amdhsa_exception_fp_ieee_underflow 0
		.amdhsa_exception_fp_ieee_inexact 0
		.amdhsa_exception_int_div_zero 0
	.end_amdhsa_kernel
	.section	.text._ZN9rocsparseL19gebsrmvn_3xn_kernelILj128ELj1ELj64EfEEvi20rocsparse_direction_NS_24const_host_device_scalarIT2_EEPKiS6_PKS3_S8_S4_PS3_21rocsparse_index_base_b,"axG",@progbits,_ZN9rocsparseL19gebsrmvn_3xn_kernelILj128ELj1ELj64EfEEvi20rocsparse_direction_NS_24const_host_device_scalarIT2_EEPKiS6_PKS3_S8_S4_PS3_21rocsparse_index_base_b,comdat
.Lfunc_end4:
	.size	_ZN9rocsparseL19gebsrmvn_3xn_kernelILj128ELj1ELj64EfEEvi20rocsparse_direction_NS_24const_host_device_scalarIT2_EEPKiS6_PKS3_S8_S4_PS3_21rocsparse_index_base_b, .Lfunc_end4-_ZN9rocsparseL19gebsrmvn_3xn_kernelILj128ELj1ELj64EfEEvi20rocsparse_direction_NS_24const_host_device_scalarIT2_EEPKiS6_PKS3_S8_S4_PS3_21rocsparse_index_base_b
                                        ; -- End function
	.set _ZN9rocsparseL19gebsrmvn_3xn_kernelILj128ELj1ELj64EfEEvi20rocsparse_direction_NS_24const_host_device_scalarIT2_EEPKiS6_PKS3_S8_S4_PS3_21rocsparse_index_base_b.num_vgpr, 19
	.set _ZN9rocsparseL19gebsrmvn_3xn_kernelILj128ELj1ELj64EfEEvi20rocsparse_direction_NS_24const_host_device_scalarIT2_EEPKiS6_PKS3_S8_S4_PS3_21rocsparse_index_base_b.num_agpr, 0
	.set _ZN9rocsparseL19gebsrmvn_3xn_kernelILj128ELj1ELj64EfEEvi20rocsparse_direction_NS_24const_host_device_scalarIT2_EEPKiS6_PKS3_S8_S4_PS3_21rocsparse_index_base_b.numbered_sgpr, 20
	.set _ZN9rocsparseL19gebsrmvn_3xn_kernelILj128ELj1ELj64EfEEvi20rocsparse_direction_NS_24const_host_device_scalarIT2_EEPKiS6_PKS3_S8_S4_PS3_21rocsparse_index_base_b.num_named_barrier, 0
	.set _ZN9rocsparseL19gebsrmvn_3xn_kernelILj128ELj1ELj64EfEEvi20rocsparse_direction_NS_24const_host_device_scalarIT2_EEPKiS6_PKS3_S8_S4_PS3_21rocsparse_index_base_b.private_seg_size, 0
	.set _ZN9rocsparseL19gebsrmvn_3xn_kernelILj128ELj1ELj64EfEEvi20rocsparse_direction_NS_24const_host_device_scalarIT2_EEPKiS6_PKS3_S8_S4_PS3_21rocsparse_index_base_b.uses_vcc, 1
	.set _ZN9rocsparseL19gebsrmvn_3xn_kernelILj128ELj1ELj64EfEEvi20rocsparse_direction_NS_24const_host_device_scalarIT2_EEPKiS6_PKS3_S8_S4_PS3_21rocsparse_index_base_b.uses_flat_scratch, 0
	.set _ZN9rocsparseL19gebsrmvn_3xn_kernelILj128ELj1ELj64EfEEvi20rocsparse_direction_NS_24const_host_device_scalarIT2_EEPKiS6_PKS3_S8_S4_PS3_21rocsparse_index_base_b.has_dyn_sized_stack, 0
	.set _ZN9rocsparseL19gebsrmvn_3xn_kernelILj128ELj1ELj64EfEEvi20rocsparse_direction_NS_24const_host_device_scalarIT2_EEPKiS6_PKS3_S8_S4_PS3_21rocsparse_index_base_b.has_recursion, 0
	.set _ZN9rocsparseL19gebsrmvn_3xn_kernelILj128ELj1ELj64EfEEvi20rocsparse_direction_NS_24const_host_device_scalarIT2_EEPKiS6_PKS3_S8_S4_PS3_21rocsparse_index_base_b.has_indirect_call, 0
	.section	.AMDGPU.csdata,"",@progbits
; Kernel info:
; codeLenInByte = 1384
; TotalNumSgprs: 22
; NumVgprs: 19
; ScratchSize: 0
; MemoryBound: 0
; FloatMode: 240
; IeeeMode: 1
; LDSByteSize: 0 bytes/workgroup (compile time only)
; SGPRBlocks: 0
; VGPRBlocks: 2
; NumSGPRsForWavesPerEU: 22
; NumVGPRsForWavesPerEU: 19
; Occupancy: 16
; WaveLimiterHint : 1
; COMPUTE_PGM_RSRC2:SCRATCH_EN: 0
; COMPUTE_PGM_RSRC2:USER_SGPR: 6
; COMPUTE_PGM_RSRC2:TRAP_HANDLER: 0
; COMPUTE_PGM_RSRC2:TGID_X_EN: 1
; COMPUTE_PGM_RSRC2:TGID_Y_EN: 0
; COMPUTE_PGM_RSRC2:TGID_Z_EN: 0
; COMPUTE_PGM_RSRC2:TIDIG_COMP_CNT: 0
	.section	.text._ZN9rocsparseL19gebsrmvn_3xn_kernelILj128ELj2ELj4EfEEvi20rocsparse_direction_NS_24const_host_device_scalarIT2_EEPKiS6_PKS3_S8_S4_PS3_21rocsparse_index_base_b,"axG",@progbits,_ZN9rocsparseL19gebsrmvn_3xn_kernelILj128ELj2ELj4EfEEvi20rocsparse_direction_NS_24const_host_device_scalarIT2_EEPKiS6_PKS3_S8_S4_PS3_21rocsparse_index_base_b,comdat
	.globl	_ZN9rocsparseL19gebsrmvn_3xn_kernelILj128ELj2ELj4EfEEvi20rocsparse_direction_NS_24const_host_device_scalarIT2_EEPKiS6_PKS3_S8_S4_PS3_21rocsparse_index_base_b ; -- Begin function _ZN9rocsparseL19gebsrmvn_3xn_kernelILj128ELj2ELj4EfEEvi20rocsparse_direction_NS_24const_host_device_scalarIT2_EEPKiS6_PKS3_S8_S4_PS3_21rocsparse_index_base_b
	.p2align	8
	.type	_ZN9rocsparseL19gebsrmvn_3xn_kernelILj128ELj2ELj4EfEEvi20rocsparse_direction_NS_24const_host_device_scalarIT2_EEPKiS6_PKS3_S8_S4_PS3_21rocsparse_index_base_b,@function
_ZN9rocsparseL19gebsrmvn_3xn_kernelILj128ELj2ELj4EfEEvi20rocsparse_direction_NS_24const_host_device_scalarIT2_EEPKiS6_PKS3_S8_S4_PS3_21rocsparse_index_base_b: ; @_ZN9rocsparseL19gebsrmvn_3xn_kernelILj128ELj2ELj4EfEEvi20rocsparse_direction_NS_24const_host_device_scalarIT2_EEPKiS6_PKS3_S8_S4_PS3_21rocsparse_index_base_b
; %bb.0:
	s_clause 0x2
	s_load_dwordx2 s[18:19], s[4:5], 0x40
	s_load_dwordx2 s[16:17], s[4:5], 0x8
	;; [unrolled: 1-line block ×3, first 2 shown]
	s_waitcnt lgkmcnt(0)
	s_bitcmp1_b32 s19, 0
	s_cselect_b32 s0, -1, 0
	s_and_b32 vcc_lo, exec_lo, s0
	s_xor_b32 s0, s0, -1
	s_cbranch_vccnz .LBB5_2
; %bb.1:
	s_load_dword s16, s[16:17], 0x0
.LBB5_2:
	s_andn2_b32 vcc_lo, exec_lo, s0
	s_cbranch_vccnz .LBB5_4
; %bb.3:
	s_load_dword s2, s[2:3], 0x0
.LBB5_4:
	s_waitcnt lgkmcnt(0)
	v_cmp_eq_f32_e64 s0, s16, 0
	v_cmp_eq_f32_e64 s1, s2, 1.0
	s_and_b32 s0, s0, s1
	s_and_b32 vcc_lo, exec_lo, s0
	s_cbranch_vccnz .LBB5_23
; %bb.5:
	s_load_dwordx2 s[0:1], s[4:5], 0x0
	v_lshrrev_b32_e32 v1, 2, v0
	v_lshl_or_b32 v1, s6, 5, v1
	s_waitcnt lgkmcnt(0)
	v_cmp_gt_i32_e32 vcc_lo, s0, v1
	s_and_saveexec_b32 s0, vcc_lo
	s_cbranch_execz .LBB5_23
; %bb.6:
	s_load_dwordx8 s[8:15], s[4:5], 0x10
	v_ashrrev_i32_e32 v2, 31, v1
	v_and_b32_e32 v0, 3, v0
	s_cmp_lg_u32 s1, 0
	v_lshlrev_b64 v[2:3], 2, v[1:2]
	s_waitcnt lgkmcnt(0)
	v_add_co_u32 v2, vcc_lo, s8, v2
	v_add_co_ci_u32_e64 v3, null, s9, v3, vcc_lo
	global_load_dwordx2 v[2:3], v[2:3], off
	s_waitcnt vmcnt(0)
	v_subrev_nc_u32_e32 v2, s18, v2
	v_subrev_nc_u32_e32 v12, s18, v3
	v_add_nc_u32_e32 v2, v2, v0
	v_cmp_lt_i32_e64 s0, v2, v12
	s_cbranch_scc0 .LBB5_12
; %bb.7:
	v_mov_b32_e32 v9, 0
	v_mov_b32_e32 v10, 0
	;; [unrolled: 1-line block ×3, first 2 shown]
	s_and_saveexec_b32 s3, s0
	s_cbranch_execz .LBB5_11
; %bb.8:
	v_mad_u64_u32 v[3:4], null, v2, 6, 5
	v_mov_b32_e32 v6, 0
	v_mov_b32_e32 v7, v2
	;; [unrolled: 1-line block ×5, first 2 shown]
	s_mov_b32 s6, 0
.LBB5_9:                                ; =>This Inner Loop Header: Depth=1
	v_ashrrev_i32_e32 v8, 31, v7
	v_mov_b32_e32 v14, v6
	v_lshlrev_b64 v[4:5], 2, v[7:8]
	v_add_nc_u32_e32 v7, 4, v7
	v_add_co_u32 v4, vcc_lo, s10, v4
	v_add_co_ci_u32_e64 v5, null, s11, v5, vcc_lo
	global_load_dword v8, v[4:5], off
	v_add_nc_u32_e32 v5, -5, v3
	v_mov_b32_e32 v4, v6
	v_lshlrev_b64 v[15:16], 2, v[5:6]
	v_add_nc_u32_e32 v5, -3, v3
	v_lshlrev_b64 v[17:18], 2, v[3:4]
	v_lshlrev_b64 v[19:20], 2, v[5:6]
	v_add_nc_u32_e32 v5, -2, v3
	v_add_co_u32 v15, vcc_lo, s12, v15
	v_add_co_ci_u32_e64 v16, null, s13, v16, vcc_lo
	v_add_co_u32 v17, vcc_lo, s12, v17
	v_lshlrev_b64 v[21:22], 2, v[5:6]
	v_add_nc_u32_e32 v5, -1, v3
	v_add_co_ci_u32_e64 v18, null, s13, v18, vcc_lo
	v_add_co_u32 v19, vcc_lo, s12, v19
	v_add_co_ci_u32_e64 v20, null, s13, v20, vcc_lo
	v_lshlrev_b64 v[4:5], 2, v[5:6]
	global_load_dwordx2 v[15:16], v[15:16], off
	v_add_nc_u32_e32 v3, 24, v3
	global_load_dword v23, v[19:20], off
	v_add_co_u32 v19, vcc_lo, s12, v21
	v_add_co_ci_u32_e64 v20, null, s13, v22, vcc_lo
	v_add_co_u32 v4, vcc_lo, s12, v4
	v_add_co_ci_u32_e64 v5, null, s13, v5, vcc_lo
	v_cmp_ge_i32_e32 vcc_lo, v7, v12
	s_or_b32 s6, vcc_lo, s6
	s_waitcnt vmcnt(2)
	v_subrev_nc_u32_e32 v8, s18, v8
	v_lshlrev_b32_e32 v13, 1, v8
	v_lshlrev_b64 v[13:14], 2, v[13:14]
	v_add_co_u32 v13, s1, s14, v13
	v_add_co_ci_u32_e64 v14, null, s15, v14, s1
	global_load_dwordx2 v[13:14], v[13:14], off
	s_clause 0x2
	global_load_dword v8, v[19:20], off
	global_load_dword v4, v[4:5], off
	;; [unrolled: 1-line block ×3, first 2 shown]
	s_waitcnt vmcnt(3)
	v_fmac_f32_e32 v9, v15, v13
	v_fmac_f32_e32 v11, v16, v13
	;; [unrolled: 1-line block ×3, first 2 shown]
	s_waitcnt vmcnt(2)
	v_fmac_f32_e32 v9, v8, v14
	s_waitcnt vmcnt(1)
	v_fmac_f32_e32 v11, v4, v14
	;; [unrolled: 2-line block ×3, first 2 shown]
	s_andn2_b32 exec_lo, exec_lo, s6
	s_cbranch_execnz .LBB5_9
; %bb.10:
	s_or_b32 exec_lo, exec_lo, s6
.LBB5_11:
	s_or_b32 exec_lo, exec_lo, s3
	s_cbranch_execz .LBB5_13
	s_branch .LBB5_18
.LBB5_12:
                                        ; implicit-def: $vgpr9
                                        ; implicit-def: $vgpr10
                                        ; implicit-def: $vgpr11
.LBB5_13:
	v_mov_b32_e32 v9, 0
	v_mov_b32_e32 v10, 0
	;; [unrolled: 1-line block ×3, first 2 shown]
	s_and_saveexec_b32 s1, s0
	s_cbranch_execz .LBB5_17
; %bb.14:
	v_mad_u64_u32 v[4:5], null, v2, 6, 5
	v_mov_b32_e32 v7, 0
	v_mov_b32_e32 v9, 0
	;; [unrolled: 1-line block ×4, first 2 shown]
	s_mov_b32 s3, 0
.LBB5_15:                               ; =>This Inner Loop Header: Depth=1
	v_ashrrev_i32_e32 v3, 31, v2
	v_add_nc_u32_e32 v13, -3, v4
	v_mov_b32_e32 v14, v7
	v_add_nc_u32_e32 v15, -1, v4
	v_mov_b32_e32 v16, v7
	v_lshlrev_b64 v[5:6], 2, v[2:3]
	v_mov_b32_e32 v17, v7
	v_lshlrev_b64 v[13:14], 2, v[13:14]
	v_add_nc_u32_e32 v2, 4, v2
	v_lshlrev_b64 v[15:16], 2, v[15:16]
	v_add_co_u32 v5, vcc_lo, s10, v5
	v_add_co_ci_u32_e64 v6, null, s11, v6, vcc_lo
	global_load_dword v3, v[5:6], off
	v_add_nc_u32_e32 v6, -5, v4
	v_mov_b32_e32 v5, v7
	v_lshlrev_b64 v[18:19], 2, v[6:7]
	v_add_nc_u32_e32 v6, -2, v4
	v_lshlrev_b64 v[20:21], 2, v[4:5]
	v_add_nc_u32_e32 v4, 24, v4
	v_lshlrev_b64 v[5:6], 2, v[6:7]
	v_add_co_u32 v18, vcc_lo, s12, v18
	v_add_co_ci_u32_e64 v19, null, s13, v19, vcc_lo
	v_add_co_u32 v13, vcc_lo, s12, v13
	v_add_co_ci_u32_e64 v14, null, s13, v14, vcc_lo
	;; [unrolled: 2-line block ×3, first 2 shown]
	s_clause 0x2
	global_load_dwordx2 v[18:19], v[18:19], off
	global_load_dword v8, v[13:14], off
	global_load_dword v15, v[15:16], off
	v_add_co_u32 v20, vcc_lo, s12, v20
	v_add_co_ci_u32_e64 v21, null, s13, v21, vcc_lo
	v_add_co_u32 v5, vcc_lo, s12, v5
	v_add_co_ci_u32_e64 v6, null, s13, v6, vcc_lo
	v_cmp_ge_i32_e32 vcc_lo, v2, v12
	s_or_b32 s3, vcc_lo, s3
	s_waitcnt vmcnt(3)
	v_subrev_nc_u32_e32 v3, s18, v3
	v_lshlrev_b32_e32 v16, 1, v3
	v_lshlrev_b64 v[13:14], 2, v[16:17]
	v_add_co_u32 v13, s0, s14, v13
	v_add_co_ci_u32_e64 v14, null, s15, v14, s0
	global_load_dwordx2 v[13:14], v[13:14], off
	s_clause 0x1
	global_load_dword v3, v[5:6], off
	global_load_dword v5, v[20:21], off
	s_waitcnt vmcnt(2)
	v_fmac_f32_e32 v9, v18, v13
	v_fmac_f32_e32 v11, v8, v13
	v_fmac_f32_e32 v10, v15, v13
	v_fmac_f32_e32 v9, v19, v14
	s_waitcnt vmcnt(1)
	v_fmac_f32_e32 v11, v3, v14
	s_waitcnt vmcnt(0)
	v_fmac_f32_e32 v10, v5, v14
	s_andn2_b32 exec_lo, exec_lo, s3
	s_cbranch_execnz .LBB5_15
; %bb.16:
	s_or_b32 exec_lo, exec_lo, s3
.LBB5_17:
	s_or_b32 exec_lo, exec_lo, s1
.LBB5_18:
	v_mbcnt_lo_u32_b32 v2, -1, 0
	s_mov_b32 s3, -1
	v_xor_b32_e32 v3, 2, v2
	v_cmp_gt_i32_e32 vcc_lo, 32, v3
	v_cndmask_b32_e32 v3, v2, v3, vcc_lo
	v_lshlrev_b32_e32 v3, 2, v3
	ds_bpermute_b32 v4, v3, v9
	ds_bpermute_b32 v5, v3, v11
	ds_bpermute_b32 v6, v3, v10
	v_xor_b32_e32 v3, 1, v2
	v_cmp_gt_i32_e32 vcc_lo, 32, v3
	v_cndmask_b32_e32 v2, v2, v3, vcc_lo
	v_cmp_eq_u32_e32 vcc_lo, 3, v0
	v_lshlrev_b32_e32 v7, 2, v2
	s_waitcnt lgkmcnt(2)
	v_add_f32_e32 v2, v9, v4
	s_waitcnt lgkmcnt(1)
	v_add_f32_e32 v3, v11, v5
	;; [unrolled: 2-line block ×3, first 2 shown]
	ds_bpermute_b32 v5, v7, v2
	ds_bpermute_b32 v6, v7, v3
	;; [unrolled: 1-line block ×3, first 2 shown]
	s_and_b32 exec_lo, exec_lo, vcc_lo
	s_cbranch_execz .LBB5_23
; %bb.19:
	s_load_dwordx2 s[0:1], s[4:5], 0x38
	s_waitcnt lgkmcnt(0)
	v_add_f32_e32 v0, v2, v5
	v_add_f32_e32 v2, v3, v6
	;; [unrolled: 1-line block ×3, first 2 shown]
	v_lshl_add_u32 v3, v1, 1, v1
	v_cmp_eq_f32_e64 s4, s2, 0
	v_mul_f32_e32 v0, s16, v0
	v_mul_f32_e32 v1, s16, v2
	v_mul_f32_e32 v2, s16, v4
	v_ashrrev_i32_e32 v4, 31, v3
	s_and_b32 vcc_lo, exec_lo, s4
	s_cbranch_vccz .LBB5_21
; %bb.20:
	v_lshlrev_b64 v[5:6], 2, v[3:4]
	s_mov_b32 s3, 0
	v_add_co_u32 v5, vcc_lo, s0, v5
	v_add_co_ci_u32_e64 v6, null, s1, v6, vcc_lo
	global_store_dwordx3 v[5:6], v[0:2], off
.LBB5_21:
	s_andn2_b32 vcc_lo, exec_lo, s3
	s_cbranch_vccnz .LBB5_23
; %bb.22:
	v_lshlrev_b64 v[3:4], 2, v[3:4]
	v_add_co_u32 v6, vcc_lo, s0, v3
	v_add_co_ci_u32_e64 v7, null, s1, v4, vcc_lo
	global_load_dwordx3 v[3:5], v[6:7], off
	s_waitcnt vmcnt(0)
	v_fmac_f32_e32 v0, s2, v3
	v_fmac_f32_e32 v1, s2, v4
	;; [unrolled: 1-line block ×3, first 2 shown]
	global_store_dwordx3 v[6:7], v[0:2], off
.LBB5_23:
	s_endpgm
	.section	.rodata,"a",@progbits
	.p2align	6, 0x0
	.amdhsa_kernel _ZN9rocsparseL19gebsrmvn_3xn_kernelILj128ELj2ELj4EfEEvi20rocsparse_direction_NS_24const_host_device_scalarIT2_EEPKiS6_PKS3_S8_S4_PS3_21rocsparse_index_base_b
		.amdhsa_group_segment_fixed_size 0
		.amdhsa_private_segment_fixed_size 0
		.amdhsa_kernarg_size 72
		.amdhsa_user_sgpr_count 6
		.amdhsa_user_sgpr_private_segment_buffer 1
		.amdhsa_user_sgpr_dispatch_ptr 0
		.amdhsa_user_sgpr_queue_ptr 0
		.amdhsa_user_sgpr_kernarg_segment_ptr 1
		.amdhsa_user_sgpr_dispatch_id 0
		.amdhsa_user_sgpr_flat_scratch_init 0
		.amdhsa_user_sgpr_private_segment_size 0
		.amdhsa_wavefront_size32 1
		.amdhsa_uses_dynamic_stack 0
		.amdhsa_system_sgpr_private_segment_wavefront_offset 0
		.amdhsa_system_sgpr_workgroup_id_x 1
		.amdhsa_system_sgpr_workgroup_id_y 0
		.amdhsa_system_sgpr_workgroup_id_z 0
		.amdhsa_system_sgpr_workgroup_info 0
		.amdhsa_system_vgpr_workitem_id 0
		.amdhsa_next_free_vgpr 24
		.amdhsa_next_free_sgpr 20
		.amdhsa_reserve_vcc 1
		.amdhsa_reserve_flat_scratch 0
		.amdhsa_float_round_mode_32 0
		.amdhsa_float_round_mode_16_64 0
		.amdhsa_float_denorm_mode_32 3
		.amdhsa_float_denorm_mode_16_64 3
		.amdhsa_dx10_clamp 1
		.amdhsa_ieee_mode 1
		.amdhsa_fp16_overflow 0
		.amdhsa_workgroup_processor_mode 1
		.amdhsa_memory_ordered 1
		.amdhsa_forward_progress 1
		.amdhsa_shared_vgpr_count 0
		.amdhsa_exception_fp_ieee_invalid_op 0
		.amdhsa_exception_fp_denorm_src 0
		.amdhsa_exception_fp_ieee_div_zero 0
		.amdhsa_exception_fp_ieee_overflow 0
		.amdhsa_exception_fp_ieee_underflow 0
		.amdhsa_exception_fp_ieee_inexact 0
		.amdhsa_exception_int_div_zero 0
	.end_amdhsa_kernel
	.section	.text._ZN9rocsparseL19gebsrmvn_3xn_kernelILj128ELj2ELj4EfEEvi20rocsparse_direction_NS_24const_host_device_scalarIT2_EEPKiS6_PKS3_S8_S4_PS3_21rocsparse_index_base_b,"axG",@progbits,_ZN9rocsparseL19gebsrmvn_3xn_kernelILj128ELj2ELj4EfEEvi20rocsparse_direction_NS_24const_host_device_scalarIT2_EEPKiS6_PKS3_S8_S4_PS3_21rocsparse_index_base_b,comdat
.Lfunc_end5:
	.size	_ZN9rocsparseL19gebsrmvn_3xn_kernelILj128ELj2ELj4EfEEvi20rocsparse_direction_NS_24const_host_device_scalarIT2_EEPKiS6_PKS3_S8_S4_PS3_21rocsparse_index_base_b, .Lfunc_end5-_ZN9rocsparseL19gebsrmvn_3xn_kernelILj128ELj2ELj4EfEEvi20rocsparse_direction_NS_24const_host_device_scalarIT2_EEPKiS6_PKS3_S8_S4_PS3_21rocsparse_index_base_b
                                        ; -- End function
	.set _ZN9rocsparseL19gebsrmvn_3xn_kernelILj128ELj2ELj4EfEEvi20rocsparse_direction_NS_24const_host_device_scalarIT2_EEPKiS6_PKS3_S8_S4_PS3_21rocsparse_index_base_b.num_vgpr, 24
	.set _ZN9rocsparseL19gebsrmvn_3xn_kernelILj128ELj2ELj4EfEEvi20rocsparse_direction_NS_24const_host_device_scalarIT2_EEPKiS6_PKS3_S8_S4_PS3_21rocsparse_index_base_b.num_agpr, 0
	.set _ZN9rocsparseL19gebsrmvn_3xn_kernelILj128ELj2ELj4EfEEvi20rocsparse_direction_NS_24const_host_device_scalarIT2_EEPKiS6_PKS3_S8_S4_PS3_21rocsparse_index_base_b.numbered_sgpr, 20
	.set _ZN9rocsparseL19gebsrmvn_3xn_kernelILj128ELj2ELj4EfEEvi20rocsparse_direction_NS_24const_host_device_scalarIT2_EEPKiS6_PKS3_S8_S4_PS3_21rocsparse_index_base_b.num_named_barrier, 0
	.set _ZN9rocsparseL19gebsrmvn_3xn_kernelILj128ELj2ELj4EfEEvi20rocsparse_direction_NS_24const_host_device_scalarIT2_EEPKiS6_PKS3_S8_S4_PS3_21rocsparse_index_base_b.private_seg_size, 0
	.set _ZN9rocsparseL19gebsrmvn_3xn_kernelILj128ELj2ELj4EfEEvi20rocsparse_direction_NS_24const_host_device_scalarIT2_EEPKiS6_PKS3_S8_S4_PS3_21rocsparse_index_base_b.uses_vcc, 1
	.set _ZN9rocsparseL19gebsrmvn_3xn_kernelILj128ELj2ELj4EfEEvi20rocsparse_direction_NS_24const_host_device_scalarIT2_EEPKiS6_PKS3_S8_S4_PS3_21rocsparse_index_base_b.uses_flat_scratch, 0
	.set _ZN9rocsparseL19gebsrmvn_3xn_kernelILj128ELj2ELj4EfEEvi20rocsparse_direction_NS_24const_host_device_scalarIT2_EEPKiS6_PKS3_S8_S4_PS3_21rocsparse_index_base_b.has_dyn_sized_stack, 0
	.set _ZN9rocsparseL19gebsrmvn_3xn_kernelILj128ELj2ELj4EfEEvi20rocsparse_direction_NS_24const_host_device_scalarIT2_EEPKiS6_PKS3_S8_S4_PS3_21rocsparse_index_base_b.has_recursion, 0
	.set _ZN9rocsparseL19gebsrmvn_3xn_kernelILj128ELj2ELj4EfEEvi20rocsparse_direction_NS_24const_host_device_scalarIT2_EEPKiS6_PKS3_S8_S4_PS3_21rocsparse_index_base_b.has_indirect_call, 0
	.section	.AMDGPU.csdata,"",@progbits
; Kernel info:
; codeLenInByte = 1320
; TotalNumSgprs: 22
; NumVgprs: 24
; ScratchSize: 0
; MemoryBound: 0
; FloatMode: 240
; IeeeMode: 1
; LDSByteSize: 0 bytes/workgroup (compile time only)
; SGPRBlocks: 0
; VGPRBlocks: 2
; NumSGPRsForWavesPerEU: 22
; NumVGPRsForWavesPerEU: 24
; Occupancy: 16
; WaveLimiterHint : 1
; COMPUTE_PGM_RSRC2:SCRATCH_EN: 0
; COMPUTE_PGM_RSRC2:USER_SGPR: 6
; COMPUTE_PGM_RSRC2:TRAP_HANDLER: 0
; COMPUTE_PGM_RSRC2:TGID_X_EN: 1
; COMPUTE_PGM_RSRC2:TGID_Y_EN: 0
; COMPUTE_PGM_RSRC2:TGID_Z_EN: 0
; COMPUTE_PGM_RSRC2:TIDIG_COMP_CNT: 0
	.section	.text._ZN9rocsparseL19gebsrmvn_3xn_kernelILj128ELj2ELj8EfEEvi20rocsparse_direction_NS_24const_host_device_scalarIT2_EEPKiS6_PKS3_S8_S4_PS3_21rocsparse_index_base_b,"axG",@progbits,_ZN9rocsparseL19gebsrmvn_3xn_kernelILj128ELj2ELj8EfEEvi20rocsparse_direction_NS_24const_host_device_scalarIT2_EEPKiS6_PKS3_S8_S4_PS3_21rocsparse_index_base_b,comdat
	.globl	_ZN9rocsparseL19gebsrmvn_3xn_kernelILj128ELj2ELj8EfEEvi20rocsparse_direction_NS_24const_host_device_scalarIT2_EEPKiS6_PKS3_S8_S4_PS3_21rocsparse_index_base_b ; -- Begin function _ZN9rocsparseL19gebsrmvn_3xn_kernelILj128ELj2ELj8EfEEvi20rocsparse_direction_NS_24const_host_device_scalarIT2_EEPKiS6_PKS3_S8_S4_PS3_21rocsparse_index_base_b
	.p2align	8
	.type	_ZN9rocsparseL19gebsrmvn_3xn_kernelILj128ELj2ELj8EfEEvi20rocsparse_direction_NS_24const_host_device_scalarIT2_EEPKiS6_PKS3_S8_S4_PS3_21rocsparse_index_base_b,@function
_ZN9rocsparseL19gebsrmvn_3xn_kernelILj128ELj2ELj8EfEEvi20rocsparse_direction_NS_24const_host_device_scalarIT2_EEPKiS6_PKS3_S8_S4_PS3_21rocsparse_index_base_b: ; @_ZN9rocsparseL19gebsrmvn_3xn_kernelILj128ELj2ELj8EfEEvi20rocsparse_direction_NS_24const_host_device_scalarIT2_EEPKiS6_PKS3_S8_S4_PS3_21rocsparse_index_base_b
; %bb.0:
	s_clause 0x2
	s_load_dwordx2 s[18:19], s[4:5], 0x40
	s_load_dwordx2 s[16:17], s[4:5], 0x8
	;; [unrolled: 1-line block ×3, first 2 shown]
	s_waitcnt lgkmcnt(0)
	s_bitcmp1_b32 s19, 0
	s_cselect_b32 s0, -1, 0
	s_and_b32 vcc_lo, exec_lo, s0
	s_xor_b32 s0, s0, -1
	s_cbranch_vccnz .LBB6_2
; %bb.1:
	s_load_dword s16, s[16:17], 0x0
.LBB6_2:
	s_andn2_b32 vcc_lo, exec_lo, s0
	s_cbranch_vccnz .LBB6_4
; %bb.3:
	s_load_dword s2, s[2:3], 0x0
.LBB6_4:
	s_waitcnt lgkmcnt(0)
	v_cmp_eq_f32_e64 s0, s16, 0
	v_cmp_eq_f32_e64 s1, s2, 1.0
	s_and_b32 s0, s0, s1
	s_and_b32 vcc_lo, exec_lo, s0
	s_cbranch_vccnz .LBB6_23
; %bb.5:
	s_load_dwordx2 s[0:1], s[4:5], 0x0
	v_lshrrev_b32_e32 v1, 3, v0
	v_lshl_or_b32 v1, s6, 4, v1
	s_waitcnt lgkmcnt(0)
	v_cmp_gt_i32_e32 vcc_lo, s0, v1
	s_and_saveexec_b32 s0, vcc_lo
	s_cbranch_execz .LBB6_23
; %bb.6:
	s_load_dwordx8 s[8:15], s[4:5], 0x10
	v_ashrrev_i32_e32 v2, 31, v1
	v_and_b32_e32 v0, 7, v0
	s_cmp_lg_u32 s1, 0
	v_lshlrev_b64 v[2:3], 2, v[1:2]
	s_waitcnt lgkmcnt(0)
	v_add_co_u32 v2, vcc_lo, s8, v2
	v_add_co_ci_u32_e64 v3, null, s9, v3, vcc_lo
	global_load_dwordx2 v[2:3], v[2:3], off
	s_waitcnt vmcnt(0)
	v_subrev_nc_u32_e32 v2, s18, v2
	v_subrev_nc_u32_e32 v12, s18, v3
	v_add_nc_u32_e32 v2, v2, v0
	v_cmp_lt_i32_e64 s0, v2, v12
	s_cbranch_scc0 .LBB6_12
; %bb.7:
	v_mov_b32_e32 v9, 0
	v_mov_b32_e32 v10, 0
	;; [unrolled: 1-line block ×3, first 2 shown]
	s_and_saveexec_b32 s3, s0
	s_cbranch_execz .LBB6_11
; %bb.8:
	v_mad_u64_u32 v[3:4], null, v2, 6, 5
	v_mov_b32_e32 v6, 0
	v_mov_b32_e32 v7, v2
	;; [unrolled: 1-line block ×5, first 2 shown]
	s_mov_b32 s6, 0
.LBB6_9:                                ; =>This Inner Loop Header: Depth=1
	v_ashrrev_i32_e32 v8, 31, v7
	v_mov_b32_e32 v14, v6
	v_lshlrev_b64 v[4:5], 2, v[7:8]
	v_add_nc_u32_e32 v7, 8, v7
	v_add_co_u32 v4, vcc_lo, s10, v4
	v_add_co_ci_u32_e64 v5, null, s11, v5, vcc_lo
	global_load_dword v8, v[4:5], off
	v_add_nc_u32_e32 v5, -5, v3
	v_mov_b32_e32 v4, v6
	v_lshlrev_b64 v[15:16], 2, v[5:6]
	v_add_nc_u32_e32 v5, -3, v3
	v_lshlrev_b64 v[17:18], 2, v[3:4]
	v_lshlrev_b64 v[19:20], 2, v[5:6]
	v_add_nc_u32_e32 v5, -2, v3
	v_add_co_u32 v15, vcc_lo, s12, v15
	v_add_co_ci_u32_e64 v16, null, s13, v16, vcc_lo
	v_add_co_u32 v17, vcc_lo, s12, v17
	v_lshlrev_b64 v[21:22], 2, v[5:6]
	v_add_nc_u32_e32 v5, -1, v3
	v_add_co_ci_u32_e64 v18, null, s13, v18, vcc_lo
	v_add_co_u32 v19, vcc_lo, s12, v19
	v_add_co_ci_u32_e64 v20, null, s13, v20, vcc_lo
	v_lshlrev_b64 v[4:5], 2, v[5:6]
	global_load_dwordx2 v[15:16], v[15:16], off
	v_add_nc_u32_e32 v3, 48, v3
	global_load_dword v23, v[19:20], off
	v_add_co_u32 v19, vcc_lo, s12, v21
	v_add_co_ci_u32_e64 v20, null, s13, v22, vcc_lo
	v_add_co_u32 v4, vcc_lo, s12, v4
	v_add_co_ci_u32_e64 v5, null, s13, v5, vcc_lo
	v_cmp_ge_i32_e32 vcc_lo, v7, v12
	s_or_b32 s6, vcc_lo, s6
	s_waitcnt vmcnt(2)
	v_subrev_nc_u32_e32 v8, s18, v8
	v_lshlrev_b32_e32 v13, 1, v8
	v_lshlrev_b64 v[13:14], 2, v[13:14]
	v_add_co_u32 v13, s1, s14, v13
	v_add_co_ci_u32_e64 v14, null, s15, v14, s1
	global_load_dwordx2 v[13:14], v[13:14], off
	s_clause 0x2
	global_load_dword v8, v[19:20], off
	global_load_dword v4, v[4:5], off
	;; [unrolled: 1-line block ×3, first 2 shown]
	s_waitcnt vmcnt(3)
	v_fmac_f32_e32 v9, v15, v13
	v_fmac_f32_e32 v11, v16, v13
	;; [unrolled: 1-line block ×3, first 2 shown]
	s_waitcnt vmcnt(2)
	v_fmac_f32_e32 v9, v8, v14
	s_waitcnt vmcnt(1)
	v_fmac_f32_e32 v11, v4, v14
	s_waitcnt vmcnt(0)
	v_fmac_f32_e32 v10, v5, v14
	s_andn2_b32 exec_lo, exec_lo, s6
	s_cbranch_execnz .LBB6_9
; %bb.10:
	s_or_b32 exec_lo, exec_lo, s6
.LBB6_11:
	s_or_b32 exec_lo, exec_lo, s3
	s_cbranch_execz .LBB6_13
	s_branch .LBB6_18
.LBB6_12:
                                        ; implicit-def: $vgpr9
                                        ; implicit-def: $vgpr10
                                        ; implicit-def: $vgpr11
.LBB6_13:
	v_mov_b32_e32 v9, 0
	v_mov_b32_e32 v10, 0
	;; [unrolled: 1-line block ×3, first 2 shown]
	s_and_saveexec_b32 s1, s0
	s_cbranch_execz .LBB6_17
; %bb.14:
	v_mad_u64_u32 v[4:5], null, v2, 6, 5
	v_mov_b32_e32 v7, 0
	v_mov_b32_e32 v9, 0
	;; [unrolled: 1-line block ×4, first 2 shown]
	s_mov_b32 s3, 0
.LBB6_15:                               ; =>This Inner Loop Header: Depth=1
	v_ashrrev_i32_e32 v3, 31, v2
	v_add_nc_u32_e32 v13, -3, v4
	v_mov_b32_e32 v14, v7
	v_add_nc_u32_e32 v15, -1, v4
	v_mov_b32_e32 v16, v7
	v_lshlrev_b64 v[5:6], 2, v[2:3]
	v_mov_b32_e32 v17, v7
	v_lshlrev_b64 v[13:14], 2, v[13:14]
	v_add_nc_u32_e32 v2, 8, v2
	v_lshlrev_b64 v[15:16], 2, v[15:16]
	v_add_co_u32 v5, vcc_lo, s10, v5
	v_add_co_ci_u32_e64 v6, null, s11, v6, vcc_lo
	global_load_dword v3, v[5:6], off
	v_add_nc_u32_e32 v6, -5, v4
	v_mov_b32_e32 v5, v7
	v_lshlrev_b64 v[18:19], 2, v[6:7]
	v_add_nc_u32_e32 v6, -2, v4
	v_lshlrev_b64 v[20:21], 2, v[4:5]
	v_add_nc_u32_e32 v4, 48, v4
	v_lshlrev_b64 v[5:6], 2, v[6:7]
	v_add_co_u32 v18, vcc_lo, s12, v18
	v_add_co_ci_u32_e64 v19, null, s13, v19, vcc_lo
	v_add_co_u32 v13, vcc_lo, s12, v13
	v_add_co_ci_u32_e64 v14, null, s13, v14, vcc_lo
	;; [unrolled: 2-line block ×3, first 2 shown]
	s_clause 0x2
	global_load_dwordx2 v[18:19], v[18:19], off
	global_load_dword v8, v[13:14], off
	global_load_dword v15, v[15:16], off
	v_add_co_u32 v20, vcc_lo, s12, v20
	v_add_co_ci_u32_e64 v21, null, s13, v21, vcc_lo
	v_add_co_u32 v5, vcc_lo, s12, v5
	v_add_co_ci_u32_e64 v6, null, s13, v6, vcc_lo
	v_cmp_ge_i32_e32 vcc_lo, v2, v12
	s_or_b32 s3, vcc_lo, s3
	s_waitcnt vmcnt(3)
	v_subrev_nc_u32_e32 v3, s18, v3
	v_lshlrev_b32_e32 v16, 1, v3
	v_lshlrev_b64 v[13:14], 2, v[16:17]
	v_add_co_u32 v13, s0, s14, v13
	v_add_co_ci_u32_e64 v14, null, s15, v14, s0
	global_load_dwordx2 v[13:14], v[13:14], off
	s_clause 0x1
	global_load_dword v3, v[5:6], off
	global_load_dword v5, v[20:21], off
	s_waitcnt vmcnt(2)
	v_fmac_f32_e32 v9, v18, v13
	v_fmac_f32_e32 v11, v8, v13
	;; [unrolled: 1-line block ×4, first 2 shown]
	s_waitcnt vmcnt(1)
	v_fmac_f32_e32 v11, v3, v14
	s_waitcnt vmcnt(0)
	v_fmac_f32_e32 v10, v5, v14
	s_andn2_b32 exec_lo, exec_lo, s3
	s_cbranch_execnz .LBB6_15
; %bb.16:
	s_or_b32 exec_lo, exec_lo, s3
.LBB6_17:
	s_or_b32 exec_lo, exec_lo, s1
.LBB6_18:
	v_mbcnt_lo_u32_b32 v2, -1, 0
	s_mov_b32 s3, -1
	v_xor_b32_e32 v3, 4, v2
	v_xor_b32_e32 v6, 2, v2
	v_cmp_gt_i32_e32 vcc_lo, 32, v3
	v_cndmask_b32_e32 v3, v2, v3, vcc_lo
	v_cmp_gt_i32_e32 vcc_lo, 32, v6
	v_lshlrev_b32_e32 v3, 2, v3
	v_cndmask_b32_e32 v6, v2, v6, vcc_lo
	ds_bpermute_b32 v4, v3, v9
	ds_bpermute_b32 v5, v3, v11
	;; [unrolled: 1-line block ×3, first 2 shown]
	v_lshlrev_b32_e32 v6, 2, v6
	s_waitcnt lgkmcnt(2)
	v_add_f32_e32 v4, v9, v4
	s_waitcnt lgkmcnt(1)
	v_add_f32_e32 v5, v11, v5
	;; [unrolled: 2-line block ×3, first 2 shown]
	v_xor_b32_e32 v9, 1, v2
	ds_bpermute_b32 v3, v6, v4
	ds_bpermute_b32 v8, v6, v5
	;; [unrolled: 1-line block ×3, first 2 shown]
	v_cmp_gt_i32_e32 vcc_lo, 32, v9
	v_cndmask_b32_e32 v2, v2, v9, vcc_lo
	v_cmp_eq_u32_e32 vcc_lo, 7, v0
	v_lshlrev_b32_e32 v9, 2, v2
	s_waitcnt lgkmcnt(2)
	v_add_f32_e32 v2, v4, v3
	s_waitcnt lgkmcnt(1)
	v_add_f32_e32 v3, v5, v8
	;; [unrolled: 2-line block ×3, first 2 shown]
	ds_bpermute_b32 v5, v9, v2
	ds_bpermute_b32 v6, v9, v3
	;; [unrolled: 1-line block ×3, first 2 shown]
	s_and_b32 exec_lo, exec_lo, vcc_lo
	s_cbranch_execz .LBB6_23
; %bb.19:
	s_load_dwordx2 s[0:1], s[4:5], 0x38
	s_waitcnt lgkmcnt(0)
	v_add_f32_e32 v0, v2, v5
	v_add_f32_e32 v2, v3, v6
	v_add_f32_e32 v4, v4, v7
	v_lshl_add_u32 v3, v1, 1, v1
	v_cmp_eq_f32_e64 s4, s2, 0
	v_mul_f32_e32 v0, s16, v0
	v_mul_f32_e32 v1, s16, v2
	;; [unrolled: 1-line block ×3, first 2 shown]
	v_ashrrev_i32_e32 v4, 31, v3
	s_and_b32 vcc_lo, exec_lo, s4
	s_cbranch_vccz .LBB6_21
; %bb.20:
	v_lshlrev_b64 v[5:6], 2, v[3:4]
	s_mov_b32 s3, 0
	v_add_co_u32 v5, vcc_lo, s0, v5
	v_add_co_ci_u32_e64 v6, null, s1, v6, vcc_lo
	global_store_dwordx3 v[5:6], v[0:2], off
.LBB6_21:
	s_andn2_b32 vcc_lo, exec_lo, s3
	s_cbranch_vccnz .LBB6_23
; %bb.22:
	v_lshlrev_b64 v[3:4], 2, v[3:4]
	v_add_co_u32 v6, vcc_lo, s0, v3
	v_add_co_ci_u32_e64 v7, null, s1, v4, vcc_lo
	global_load_dwordx3 v[3:5], v[6:7], off
	s_waitcnt vmcnt(0)
	v_fmac_f32_e32 v0, s2, v3
	v_fmac_f32_e32 v1, s2, v4
	;; [unrolled: 1-line block ×3, first 2 shown]
	global_store_dwordx3 v[6:7], v[0:2], off
.LBB6_23:
	s_endpgm
	.section	.rodata,"a",@progbits
	.p2align	6, 0x0
	.amdhsa_kernel _ZN9rocsparseL19gebsrmvn_3xn_kernelILj128ELj2ELj8EfEEvi20rocsparse_direction_NS_24const_host_device_scalarIT2_EEPKiS6_PKS3_S8_S4_PS3_21rocsparse_index_base_b
		.amdhsa_group_segment_fixed_size 0
		.amdhsa_private_segment_fixed_size 0
		.amdhsa_kernarg_size 72
		.amdhsa_user_sgpr_count 6
		.amdhsa_user_sgpr_private_segment_buffer 1
		.amdhsa_user_sgpr_dispatch_ptr 0
		.amdhsa_user_sgpr_queue_ptr 0
		.amdhsa_user_sgpr_kernarg_segment_ptr 1
		.amdhsa_user_sgpr_dispatch_id 0
		.amdhsa_user_sgpr_flat_scratch_init 0
		.amdhsa_user_sgpr_private_segment_size 0
		.amdhsa_wavefront_size32 1
		.amdhsa_uses_dynamic_stack 0
		.amdhsa_system_sgpr_private_segment_wavefront_offset 0
		.amdhsa_system_sgpr_workgroup_id_x 1
		.amdhsa_system_sgpr_workgroup_id_y 0
		.amdhsa_system_sgpr_workgroup_id_z 0
		.amdhsa_system_sgpr_workgroup_info 0
		.amdhsa_system_vgpr_workitem_id 0
		.amdhsa_next_free_vgpr 24
		.amdhsa_next_free_sgpr 20
		.amdhsa_reserve_vcc 1
		.amdhsa_reserve_flat_scratch 0
		.amdhsa_float_round_mode_32 0
		.amdhsa_float_round_mode_16_64 0
		.amdhsa_float_denorm_mode_32 3
		.amdhsa_float_denorm_mode_16_64 3
		.amdhsa_dx10_clamp 1
		.amdhsa_ieee_mode 1
		.amdhsa_fp16_overflow 0
		.amdhsa_workgroup_processor_mode 1
		.amdhsa_memory_ordered 1
		.amdhsa_forward_progress 1
		.amdhsa_shared_vgpr_count 0
		.amdhsa_exception_fp_ieee_invalid_op 0
		.amdhsa_exception_fp_denorm_src 0
		.amdhsa_exception_fp_ieee_div_zero 0
		.amdhsa_exception_fp_ieee_overflow 0
		.amdhsa_exception_fp_ieee_underflow 0
		.amdhsa_exception_fp_ieee_inexact 0
		.amdhsa_exception_int_div_zero 0
	.end_amdhsa_kernel
	.section	.text._ZN9rocsparseL19gebsrmvn_3xn_kernelILj128ELj2ELj8EfEEvi20rocsparse_direction_NS_24const_host_device_scalarIT2_EEPKiS6_PKS3_S8_S4_PS3_21rocsparse_index_base_b,"axG",@progbits,_ZN9rocsparseL19gebsrmvn_3xn_kernelILj128ELj2ELj8EfEEvi20rocsparse_direction_NS_24const_host_device_scalarIT2_EEPKiS6_PKS3_S8_S4_PS3_21rocsparse_index_base_b,comdat
.Lfunc_end6:
	.size	_ZN9rocsparseL19gebsrmvn_3xn_kernelILj128ELj2ELj8EfEEvi20rocsparse_direction_NS_24const_host_device_scalarIT2_EEPKiS6_PKS3_S8_S4_PS3_21rocsparse_index_base_b, .Lfunc_end6-_ZN9rocsparseL19gebsrmvn_3xn_kernelILj128ELj2ELj8EfEEvi20rocsparse_direction_NS_24const_host_device_scalarIT2_EEPKiS6_PKS3_S8_S4_PS3_21rocsparse_index_base_b
                                        ; -- End function
	.set _ZN9rocsparseL19gebsrmvn_3xn_kernelILj128ELj2ELj8EfEEvi20rocsparse_direction_NS_24const_host_device_scalarIT2_EEPKiS6_PKS3_S8_S4_PS3_21rocsparse_index_base_b.num_vgpr, 24
	.set _ZN9rocsparseL19gebsrmvn_3xn_kernelILj128ELj2ELj8EfEEvi20rocsparse_direction_NS_24const_host_device_scalarIT2_EEPKiS6_PKS3_S8_S4_PS3_21rocsparse_index_base_b.num_agpr, 0
	.set _ZN9rocsparseL19gebsrmvn_3xn_kernelILj128ELj2ELj8EfEEvi20rocsparse_direction_NS_24const_host_device_scalarIT2_EEPKiS6_PKS3_S8_S4_PS3_21rocsparse_index_base_b.numbered_sgpr, 20
	.set _ZN9rocsparseL19gebsrmvn_3xn_kernelILj128ELj2ELj8EfEEvi20rocsparse_direction_NS_24const_host_device_scalarIT2_EEPKiS6_PKS3_S8_S4_PS3_21rocsparse_index_base_b.num_named_barrier, 0
	.set _ZN9rocsparseL19gebsrmvn_3xn_kernelILj128ELj2ELj8EfEEvi20rocsparse_direction_NS_24const_host_device_scalarIT2_EEPKiS6_PKS3_S8_S4_PS3_21rocsparse_index_base_b.private_seg_size, 0
	.set _ZN9rocsparseL19gebsrmvn_3xn_kernelILj128ELj2ELj8EfEEvi20rocsparse_direction_NS_24const_host_device_scalarIT2_EEPKiS6_PKS3_S8_S4_PS3_21rocsparse_index_base_b.uses_vcc, 1
	.set _ZN9rocsparseL19gebsrmvn_3xn_kernelILj128ELj2ELj8EfEEvi20rocsparse_direction_NS_24const_host_device_scalarIT2_EEPKiS6_PKS3_S8_S4_PS3_21rocsparse_index_base_b.uses_flat_scratch, 0
	.set _ZN9rocsparseL19gebsrmvn_3xn_kernelILj128ELj2ELj8EfEEvi20rocsparse_direction_NS_24const_host_device_scalarIT2_EEPKiS6_PKS3_S8_S4_PS3_21rocsparse_index_base_b.has_dyn_sized_stack, 0
	.set _ZN9rocsparseL19gebsrmvn_3xn_kernelILj128ELj2ELj8EfEEvi20rocsparse_direction_NS_24const_host_device_scalarIT2_EEPKiS6_PKS3_S8_S4_PS3_21rocsparse_index_base_b.has_recursion, 0
	.set _ZN9rocsparseL19gebsrmvn_3xn_kernelILj128ELj2ELj8EfEEvi20rocsparse_direction_NS_24const_host_device_scalarIT2_EEPKiS6_PKS3_S8_S4_PS3_21rocsparse_index_base_b.has_indirect_call, 0
	.section	.AMDGPU.csdata,"",@progbits
; Kernel info:
; codeLenInByte = 1384
; TotalNumSgprs: 22
; NumVgprs: 24
; ScratchSize: 0
; MemoryBound: 0
; FloatMode: 240
; IeeeMode: 1
; LDSByteSize: 0 bytes/workgroup (compile time only)
; SGPRBlocks: 0
; VGPRBlocks: 2
; NumSGPRsForWavesPerEU: 22
; NumVGPRsForWavesPerEU: 24
; Occupancy: 16
; WaveLimiterHint : 1
; COMPUTE_PGM_RSRC2:SCRATCH_EN: 0
; COMPUTE_PGM_RSRC2:USER_SGPR: 6
; COMPUTE_PGM_RSRC2:TRAP_HANDLER: 0
; COMPUTE_PGM_RSRC2:TGID_X_EN: 1
; COMPUTE_PGM_RSRC2:TGID_Y_EN: 0
; COMPUTE_PGM_RSRC2:TGID_Z_EN: 0
; COMPUTE_PGM_RSRC2:TIDIG_COMP_CNT: 0
	.section	.text._ZN9rocsparseL19gebsrmvn_3xn_kernelILj128ELj2ELj16EfEEvi20rocsparse_direction_NS_24const_host_device_scalarIT2_EEPKiS6_PKS3_S8_S4_PS3_21rocsparse_index_base_b,"axG",@progbits,_ZN9rocsparseL19gebsrmvn_3xn_kernelILj128ELj2ELj16EfEEvi20rocsparse_direction_NS_24const_host_device_scalarIT2_EEPKiS6_PKS3_S8_S4_PS3_21rocsparse_index_base_b,comdat
	.globl	_ZN9rocsparseL19gebsrmvn_3xn_kernelILj128ELj2ELj16EfEEvi20rocsparse_direction_NS_24const_host_device_scalarIT2_EEPKiS6_PKS3_S8_S4_PS3_21rocsparse_index_base_b ; -- Begin function _ZN9rocsparseL19gebsrmvn_3xn_kernelILj128ELj2ELj16EfEEvi20rocsparse_direction_NS_24const_host_device_scalarIT2_EEPKiS6_PKS3_S8_S4_PS3_21rocsparse_index_base_b
	.p2align	8
	.type	_ZN9rocsparseL19gebsrmvn_3xn_kernelILj128ELj2ELj16EfEEvi20rocsparse_direction_NS_24const_host_device_scalarIT2_EEPKiS6_PKS3_S8_S4_PS3_21rocsparse_index_base_b,@function
_ZN9rocsparseL19gebsrmvn_3xn_kernelILj128ELj2ELj16EfEEvi20rocsparse_direction_NS_24const_host_device_scalarIT2_EEPKiS6_PKS3_S8_S4_PS3_21rocsparse_index_base_b: ; @_ZN9rocsparseL19gebsrmvn_3xn_kernelILj128ELj2ELj16EfEEvi20rocsparse_direction_NS_24const_host_device_scalarIT2_EEPKiS6_PKS3_S8_S4_PS3_21rocsparse_index_base_b
; %bb.0:
	s_clause 0x2
	s_load_dwordx2 s[18:19], s[4:5], 0x40
	s_load_dwordx2 s[16:17], s[4:5], 0x8
	;; [unrolled: 1-line block ×3, first 2 shown]
	s_waitcnt lgkmcnt(0)
	s_bitcmp1_b32 s19, 0
	s_cselect_b32 s0, -1, 0
	s_and_b32 vcc_lo, exec_lo, s0
	s_xor_b32 s0, s0, -1
	s_cbranch_vccnz .LBB7_2
; %bb.1:
	s_load_dword s16, s[16:17], 0x0
.LBB7_2:
	s_andn2_b32 vcc_lo, exec_lo, s0
	s_cbranch_vccnz .LBB7_4
; %bb.3:
	s_load_dword s2, s[2:3], 0x0
.LBB7_4:
	s_waitcnt lgkmcnt(0)
	v_cmp_eq_f32_e64 s0, s16, 0
	v_cmp_eq_f32_e64 s1, s2, 1.0
	s_and_b32 s0, s0, s1
	s_and_b32 vcc_lo, exec_lo, s0
	s_cbranch_vccnz .LBB7_23
; %bb.5:
	s_load_dwordx2 s[0:1], s[4:5], 0x0
	v_lshrrev_b32_e32 v1, 4, v0
	v_lshl_or_b32 v1, s6, 3, v1
	s_waitcnt lgkmcnt(0)
	v_cmp_gt_i32_e32 vcc_lo, s0, v1
	s_and_saveexec_b32 s0, vcc_lo
	s_cbranch_execz .LBB7_23
; %bb.6:
	s_load_dwordx8 s[8:15], s[4:5], 0x10
	v_ashrrev_i32_e32 v2, 31, v1
	v_and_b32_e32 v0, 15, v0
	s_cmp_lg_u32 s1, 0
	v_lshlrev_b64 v[2:3], 2, v[1:2]
	s_waitcnt lgkmcnt(0)
	v_add_co_u32 v2, vcc_lo, s8, v2
	v_add_co_ci_u32_e64 v3, null, s9, v3, vcc_lo
	global_load_dwordx2 v[2:3], v[2:3], off
	s_waitcnt vmcnt(0)
	v_subrev_nc_u32_e32 v2, s18, v2
	v_subrev_nc_u32_e32 v12, s18, v3
	v_add_nc_u32_e32 v2, v2, v0
	v_cmp_lt_i32_e64 s0, v2, v12
	s_cbranch_scc0 .LBB7_12
; %bb.7:
	v_mov_b32_e32 v9, 0
	v_mov_b32_e32 v10, 0
	;; [unrolled: 1-line block ×3, first 2 shown]
	s_and_saveexec_b32 s3, s0
	s_cbranch_execz .LBB7_11
; %bb.8:
	v_mad_u64_u32 v[3:4], null, v2, 6, 5
	v_mov_b32_e32 v6, 0
	v_mov_b32_e32 v7, v2
	;; [unrolled: 1-line block ×5, first 2 shown]
	s_mov_b32 s6, 0
.LBB7_9:                                ; =>This Inner Loop Header: Depth=1
	v_ashrrev_i32_e32 v8, 31, v7
	v_mov_b32_e32 v14, v6
	v_lshlrev_b64 v[4:5], 2, v[7:8]
	v_add_nc_u32_e32 v7, 16, v7
	v_add_co_u32 v4, vcc_lo, s10, v4
	v_add_co_ci_u32_e64 v5, null, s11, v5, vcc_lo
	global_load_dword v8, v[4:5], off
	v_add_nc_u32_e32 v5, -5, v3
	v_mov_b32_e32 v4, v6
	v_lshlrev_b64 v[15:16], 2, v[5:6]
	v_add_nc_u32_e32 v5, -3, v3
	v_lshlrev_b64 v[17:18], 2, v[3:4]
	v_lshlrev_b64 v[19:20], 2, v[5:6]
	v_add_nc_u32_e32 v5, -2, v3
	v_add_co_u32 v15, vcc_lo, s12, v15
	v_add_co_ci_u32_e64 v16, null, s13, v16, vcc_lo
	v_add_co_u32 v17, vcc_lo, s12, v17
	v_lshlrev_b64 v[21:22], 2, v[5:6]
	v_add_nc_u32_e32 v5, -1, v3
	v_add_co_ci_u32_e64 v18, null, s13, v18, vcc_lo
	v_add_co_u32 v19, vcc_lo, s12, v19
	v_add_co_ci_u32_e64 v20, null, s13, v20, vcc_lo
	v_lshlrev_b64 v[4:5], 2, v[5:6]
	global_load_dwordx2 v[15:16], v[15:16], off
	v_add_nc_u32_e32 v3, 0x60, v3
	global_load_dword v23, v[19:20], off
	v_add_co_u32 v19, vcc_lo, s12, v21
	v_add_co_ci_u32_e64 v20, null, s13, v22, vcc_lo
	v_add_co_u32 v4, vcc_lo, s12, v4
	v_add_co_ci_u32_e64 v5, null, s13, v5, vcc_lo
	v_cmp_ge_i32_e32 vcc_lo, v7, v12
	s_or_b32 s6, vcc_lo, s6
	s_waitcnt vmcnt(2)
	v_subrev_nc_u32_e32 v8, s18, v8
	v_lshlrev_b32_e32 v13, 1, v8
	v_lshlrev_b64 v[13:14], 2, v[13:14]
	v_add_co_u32 v13, s1, s14, v13
	v_add_co_ci_u32_e64 v14, null, s15, v14, s1
	global_load_dwordx2 v[13:14], v[13:14], off
	s_clause 0x2
	global_load_dword v8, v[19:20], off
	global_load_dword v4, v[4:5], off
	;; [unrolled: 1-line block ×3, first 2 shown]
	s_waitcnt vmcnt(3)
	v_fmac_f32_e32 v9, v15, v13
	v_fmac_f32_e32 v11, v16, v13
	;; [unrolled: 1-line block ×3, first 2 shown]
	s_waitcnt vmcnt(2)
	v_fmac_f32_e32 v9, v8, v14
	s_waitcnt vmcnt(1)
	v_fmac_f32_e32 v11, v4, v14
	;; [unrolled: 2-line block ×3, first 2 shown]
	s_andn2_b32 exec_lo, exec_lo, s6
	s_cbranch_execnz .LBB7_9
; %bb.10:
	s_or_b32 exec_lo, exec_lo, s6
.LBB7_11:
	s_or_b32 exec_lo, exec_lo, s3
	s_cbranch_execz .LBB7_13
	s_branch .LBB7_18
.LBB7_12:
                                        ; implicit-def: $vgpr9
                                        ; implicit-def: $vgpr10
                                        ; implicit-def: $vgpr11
.LBB7_13:
	v_mov_b32_e32 v9, 0
	v_mov_b32_e32 v10, 0
	;; [unrolled: 1-line block ×3, first 2 shown]
	s_and_saveexec_b32 s1, s0
	s_cbranch_execz .LBB7_17
; %bb.14:
	v_mad_u64_u32 v[4:5], null, v2, 6, 5
	v_mov_b32_e32 v7, 0
	v_mov_b32_e32 v9, 0
	;; [unrolled: 1-line block ×4, first 2 shown]
	s_mov_b32 s3, 0
.LBB7_15:                               ; =>This Inner Loop Header: Depth=1
	v_ashrrev_i32_e32 v3, 31, v2
	v_add_nc_u32_e32 v13, -3, v4
	v_mov_b32_e32 v14, v7
	v_add_nc_u32_e32 v15, -1, v4
	v_mov_b32_e32 v16, v7
	v_lshlrev_b64 v[5:6], 2, v[2:3]
	v_mov_b32_e32 v17, v7
	v_lshlrev_b64 v[13:14], 2, v[13:14]
	v_add_nc_u32_e32 v2, 16, v2
	v_lshlrev_b64 v[15:16], 2, v[15:16]
	v_add_co_u32 v5, vcc_lo, s10, v5
	v_add_co_ci_u32_e64 v6, null, s11, v6, vcc_lo
	global_load_dword v3, v[5:6], off
	v_add_nc_u32_e32 v6, -5, v4
	v_mov_b32_e32 v5, v7
	v_lshlrev_b64 v[18:19], 2, v[6:7]
	v_add_nc_u32_e32 v6, -2, v4
	v_lshlrev_b64 v[20:21], 2, v[4:5]
	v_add_nc_u32_e32 v4, 0x60, v4
	v_lshlrev_b64 v[5:6], 2, v[6:7]
	v_add_co_u32 v18, vcc_lo, s12, v18
	v_add_co_ci_u32_e64 v19, null, s13, v19, vcc_lo
	v_add_co_u32 v13, vcc_lo, s12, v13
	v_add_co_ci_u32_e64 v14, null, s13, v14, vcc_lo
	;; [unrolled: 2-line block ×3, first 2 shown]
	s_clause 0x2
	global_load_dwordx2 v[18:19], v[18:19], off
	global_load_dword v8, v[13:14], off
	global_load_dword v15, v[15:16], off
	v_add_co_u32 v20, vcc_lo, s12, v20
	v_add_co_ci_u32_e64 v21, null, s13, v21, vcc_lo
	v_add_co_u32 v5, vcc_lo, s12, v5
	v_add_co_ci_u32_e64 v6, null, s13, v6, vcc_lo
	v_cmp_ge_i32_e32 vcc_lo, v2, v12
	s_or_b32 s3, vcc_lo, s3
	s_waitcnt vmcnt(3)
	v_subrev_nc_u32_e32 v3, s18, v3
	v_lshlrev_b32_e32 v16, 1, v3
	v_lshlrev_b64 v[13:14], 2, v[16:17]
	v_add_co_u32 v13, s0, s14, v13
	v_add_co_ci_u32_e64 v14, null, s15, v14, s0
	global_load_dwordx2 v[13:14], v[13:14], off
	s_clause 0x1
	global_load_dword v3, v[5:6], off
	global_load_dword v5, v[20:21], off
	s_waitcnt vmcnt(2)
	v_fmac_f32_e32 v9, v18, v13
	v_fmac_f32_e32 v11, v8, v13
	v_fmac_f32_e32 v10, v15, v13
	v_fmac_f32_e32 v9, v19, v14
	s_waitcnt vmcnt(1)
	v_fmac_f32_e32 v11, v3, v14
	s_waitcnt vmcnt(0)
	v_fmac_f32_e32 v10, v5, v14
	s_andn2_b32 exec_lo, exec_lo, s3
	s_cbranch_execnz .LBB7_15
; %bb.16:
	s_or_b32 exec_lo, exec_lo, s3
.LBB7_17:
	s_or_b32 exec_lo, exec_lo, s1
.LBB7_18:
	v_mbcnt_lo_u32_b32 v2, -1, 0
	s_mov_b32 s3, -1
	v_xor_b32_e32 v3, 8, v2
	v_xor_b32_e32 v6, 4, v2
	v_cmp_gt_i32_e32 vcc_lo, 32, v3
	v_cndmask_b32_e32 v3, v2, v3, vcc_lo
	v_cmp_gt_i32_e32 vcc_lo, 32, v6
	v_lshlrev_b32_e32 v3, 2, v3
	v_cndmask_b32_e32 v6, v2, v6, vcc_lo
	ds_bpermute_b32 v4, v3, v9
	ds_bpermute_b32 v5, v3, v11
	ds_bpermute_b32 v3, v3, v10
	v_lshlrev_b32_e32 v6, 2, v6
	s_waitcnt lgkmcnt(2)
	v_add_f32_e32 v4, v9, v4
	s_waitcnt lgkmcnt(1)
	v_add_f32_e32 v5, v11, v5
	;; [unrolled: 2-line block ×3, first 2 shown]
	v_xor_b32_e32 v9, 2, v2
	ds_bpermute_b32 v7, v6, v4
	ds_bpermute_b32 v8, v6, v5
	;; [unrolled: 1-line block ×3, first 2 shown]
	v_cmp_gt_i32_e32 vcc_lo, 32, v9
	v_cndmask_b32_e32 v9, v2, v9, vcc_lo
	v_lshlrev_b32_e32 v9, 2, v9
	s_waitcnt lgkmcnt(2)
	v_add_f32_e32 v4, v4, v7
	s_waitcnt lgkmcnt(1)
	v_add_f32_e32 v5, v5, v8
	s_waitcnt lgkmcnt(0)
	v_add_f32_e32 v6, v3, v6
	ds_bpermute_b32 v3, v9, v4
	ds_bpermute_b32 v7, v9, v5
	;; [unrolled: 1-line block ×3, first 2 shown]
	v_xor_b32_e32 v9, 1, v2
	v_cmp_gt_i32_e32 vcc_lo, 32, v9
	v_cndmask_b32_e32 v2, v2, v9, vcc_lo
	v_cmp_eq_u32_e32 vcc_lo, 15, v0
	v_lshlrev_b32_e32 v9, 2, v2
	s_waitcnt lgkmcnt(2)
	v_add_f32_e32 v2, v4, v3
	s_waitcnt lgkmcnt(1)
	v_add_f32_e32 v3, v5, v7
	;; [unrolled: 2-line block ×3, first 2 shown]
	ds_bpermute_b32 v5, v9, v2
	ds_bpermute_b32 v6, v9, v3
	;; [unrolled: 1-line block ×3, first 2 shown]
	s_and_b32 exec_lo, exec_lo, vcc_lo
	s_cbranch_execz .LBB7_23
; %bb.19:
	s_load_dwordx2 s[0:1], s[4:5], 0x38
	s_waitcnt lgkmcnt(0)
	v_add_f32_e32 v0, v2, v5
	v_add_f32_e32 v2, v3, v6
	;; [unrolled: 1-line block ×3, first 2 shown]
	v_lshl_add_u32 v3, v1, 1, v1
	v_cmp_eq_f32_e64 s4, s2, 0
	v_mul_f32_e32 v0, s16, v0
	v_mul_f32_e32 v1, s16, v2
	;; [unrolled: 1-line block ×3, first 2 shown]
	v_ashrrev_i32_e32 v4, 31, v3
	s_and_b32 vcc_lo, exec_lo, s4
	s_cbranch_vccz .LBB7_21
; %bb.20:
	v_lshlrev_b64 v[5:6], 2, v[3:4]
	s_mov_b32 s3, 0
	v_add_co_u32 v5, vcc_lo, s0, v5
	v_add_co_ci_u32_e64 v6, null, s1, v6, vcc_lo
	global_store_dwordx3 v[5:6], v[0:2], off
.LBB7_21:
	s_andn2_b32 vcc_lo, exec_lo, s3
	s_cbranch_vccnz .LBB7_23
; %bb.22:
	v_lshlrev_b64 v[3:4], 2, v[3:4]
	v_add_co_u32 v6, vcc_lo, s0, v3
	v_add_co_ci_u32_e64 v7, null, s1, v4, vcc_lo
	global_load_dwordx3 v[3:5], v[6:7], off
	s_waitcnt vmcnt(0)
	v_fmac_f32_e32 v0, s2, v3
	v_fmac_f32_e32 v1, s2, v4
	;; [unrolled: 1-line block ×3, first 2 shown]
	global_store_dwordx3 v[6:7], v[0:2], off
.LBB7_23:
	s_endpgm
	.section	.rodata,"a",@progbits
	.p2align	6, 0x0
	.amdhsa_kernel _ZN9rocsparseL19gebsrmvn_3xn_kernelILj128ELj2ELj16EfEEvi20rocsparse_direction_NS_24const_host_device_scalarIT2_EEPKiS6_PKS3_S8_S4_PS3_21rocsparse_index_base_b
		.amdhsa_group_segment_fixed_size 0
		.amdhsa_private_segment_fixed_size 0
		.amdhsa_kernarg_size 72
		.amdhsa_user_sgpr_count 6
		.amdhsa_user_sgpr_private_segment_buffer 1
		.amdhsa_user_sgpr_dispatch_ptr 0
		.amdhsa_user_sgpr_queue_ptr 0
		.amdhsa_user_sgpr_kernarg_segment_ptr 1
		.amdhsa_user_sgpr_dispatch_id 0
		.amdhsa_user_sgpr_flat_scratch_init 0
		.amdhsa_user_sgpr_private_segment_size 0
		.amdhsa_wavefront_size32 1
		.amdhsa_uses_dynamic_stack 0
		.amdhsa_system_sgpr_private_segment_wavefront_offset 0
		.amdhsa_system_sgpr_workgroup_id_x 1
		.amdhsa_system_sgpr_workgroup_id_y 0
		.amdhsa_system_sgpr_workgroup_id_z 0
		.amdhsa_system_sgpr_workgroup_info 0
		.amdhsa_system_vgpr_workitem_id 0
		.amdhsa_next_free_vgpr 24
		.amdhsa_next_free_sgpr 20
		.amdhsa_reserve_vcc 1
		.amdhsa_reserve_flat_scratch 0
		.amdhsa_float_round_mode_32 0
		.amdhsa_float_round_mode_16_64 0
		.amdhsa_float_denorm_mode_32 3
		.amdhsa_float_denorm_mode_16_64 3
		.amdhsa_dx10_clamp 1
		.amdhsa_ieee_mode 1
		.amdhsa_fp16_overflow 0
		.amdhsa_workgroup_processor_mode 1
		.amdhsa_memory_ordered 1
		.amdhsa_forward_progress 1
		.amdhsa_shared_vgpr_count 0
		.amdhsa_exception_fp_ieee_invalid_op 0
		.amdhsa_exception_fp_denorm_src 0
		.amdhsa_exception_fp_ieee_div_zero 0
		.amdhsa_exception_fp_ieee_overflow 0
		.amdhsa_exception_fp_ieee_underflow 0
		.amdhsa_exception_fp_ieee_inexact 0
		.amdhsa_exception_int_div_zero 0
	.end_amdhsa_kernel
	.section	.text._ZN9rocsparseL19gebsrmvn_3xn_kernelILj128ELj2ELj16EfEEvi20rocsparse_direction_NS_24const_host_device_scalarIT2_EEPKiS6_PKS3_S8_S4_PS3_21rocsparse_index_base_b,"axG",@progbits,_ZN9rocsparseL19gebsrmvn_3xn_kernelILj128ELj2ELj16EfEEvi20rocsparse_direction_NS_24const_host_device_scalarIT2_EEPKiS6_PKS3_S8_S4_PS3_21rocsparse_index_base_b,comdat
.Lfunc_end7:
	.size	_ZN9rocsparseL19gebsrmvn_3xn_kernelILj128ELj2ELj16EfEEvi20rocsparse_direction_NS_24const_host_device_scalarIT2_EEPKiS6_PKS3_S8_S4_PS3_21rocsparse_index_base_b, .Lfunc_end7-_ZN9rocsparseL19gebsrmvn_3xn_kernelILj128ELj2ELj16EfEEvi20rocsparse_direction_NS_24const_host_device_scalarIT2_EEPKiS6_PKS3_S8_S4_PS3_21rocsparse_index_base_b
                                        ; -- End function
	.set _ZN9rocsparseL19gebsrmvn_3xn_kernelILj128ELj2ELj16EfEEvi20rocsparse_direction_NS_24const_host_device_scalarIT2_EEPKiS6_PKS3_S8_S4_PS3_21rocsparse_index_base_b.num_vgpr, 24
	.set _ZN9rocsparseL19gebsrmvn_3xn_kernelILj128ELj2ELj16EfEEvi20rocsparse_direction_NS_24const_host_device_scalarIT2_EEPKiS6_PKS3_S8_S4_PS3_21rocsparse_index_base_b.num_agpr, 0
	.set _ZN9rocsparseL19gebsrmvn_3xn_kernelILj128ELj2ELj16EfEEvi20rocsparse_direction_NS_24const_host_device_scalarIT2_EEPKiS6_PKS3_S8_S4_PS3_21rocsparse_index_base_b.numbered_sgpr, 20
	.set _ZN9rocsparseL19gebsrmvn_3xn_kernelILj128ELj2ELj16EfEEvi20rocsparse_direction_NS_24const_host_device_scalarIT2_EEPKiS6_PKS3_S8_S4_PS3_21rocsparse_index_base_b.num_named_barrier, 0
	.set _ZN9rocsparseL19gebsrmvn_3xn_kernelILj128ELj2ELj16EfEEvi20rocsparse_direction_NS_24const_host_device_scalarIT2_EEPKiS6_PKS3_S8_S4_PS3_21rocsparse_index_base_b.private_seg_size, 0
	.set _ZN9rocsparseL19gebsrmvn_3xn_kernelILj128ELj2ELj16EfEEvi20rocsparse_direction_NS_24const_host_device_scalarIT2_EEPKiS6_PKS3_S8_S4_PS3_21rocsparse_index_base_b.uses_vcc, 1
	.set _ZN9rocsparseL19gebsrmvn_3xn_kernelILj128ELj2ELj16EfEEvi20rocsparse_direction_NS_24const_host_device_scalarIT2_EEPKiS6_PKS3_S8_S4_PS3_21rocsparse_index_base_b.uses_flat_scratch, 0
	.set _ZN9rocsparseL19gebsrmvn_3xn_kernelILj128ELj2ELj16EfEEvi20rocsparse_direction_NS_24const_host_device_scalarIT2_EEPKiS6_PKS3_S8_S4_PS3_21rocsparse_index_base_b.has_dyn_sized_stack, 0
	.set _ZN9rocsparseL19gebsrmvn_3xn_kernelILj128ELj2ELj16EfEEvi20rocsparse_direction_NS_24const_host_device_scalarIT2_EEPKiS6_PKS3_S8_S4_PS3_21rocsparse_index_base_b.has_recursion, 0
	.set _ZN9rocsparseL19gebsrmvn_3xn_kernelILj128ELj2ELj16EfEEvi20rocsparse_direction_NS_24const_host_device_scalarIT2_EEPKiS6_PKS3_S8_S4_PS3_21rocsparse_index_base_b.has_indirect_call, 0
	.section	.AMDGPU.csdata,"",@progbits
; Kernel info:
; codeLenInByte = 1456
; TotalNumSgprs: 22
; NumVgprs: 24
; ScratchSize: 0
; MemoryBound: 0
; FloatMode: 240
; IeeeMode: 1
; LDSByteSize: 0 bytes/workgroup (compile time only)
; SGPRBlocks: 0
; VGPRBlocks: 2
; NumSGPRsForWavesPerEU: 22
; NumVGPRsForWavesPerEU: 24
; Occupancy: 16
; WaveLimiterHint : 1
; COMPUTE_PGM_RSRC2:SCRATCH_EN: 0
; COMPUTE_PGM_RSRC2:USER_SGPR: 6
; COMPUTE_PGM_RSRC2:TRAP_HANDLER: 0
; COMPUTE_PGM_RSRC2:TGID_X_EN: 1
; COMPUTE_PGM_RSRC2:TGID_Y_EN: 0
; COMPUTE_PGM_RSRC2:TGID_Z_EN: 0
; COMPUTE_PGM_RSRC2:TIDIG_COMP_CNT: 0
	.section	.text._ZN9rocsparseL19gebsrmvn_3xn_kernelILj128ELj2ELj32EfEEvi20rocsparse_direction_NS_24const_host_device_scalarIT2_EEPKiS6_PKS3_S8_S4_PS3_21rocsparse_index_base_b,"axG",@progbits,_ZN9rocsparseL19gebsrmvn_3xn_kernelILj128ELj2ELj32EfEEvi20rocsparse_direction_NS_24const_host_device_scalarIT2_EEPKiS6_PKS3_S8_S4_PS3_21rocsparse_index_base_b,comdat
	.globl	_ZN9rocsparseL19gebsrmvn_3xn_kernelILj128ELj2ELj32EfEEvi20rocsparse_direction_NS_24const_host_device_scalarIT2_EEPKiS6_PKS3_S8_S4_PS3_21rocsparse_index_base_b ; -- Begin function _ZN9rocsparseL19gebsrmvn_3xn_kernelILj128ELj2ELj32EfEEvi20rocsparse_direction_NS_24const_host_device_scalarIT2_EEPKiS6_PKS3_S8_S4_PS3_21rocsparse_index_base_b
	.p2align	8
	.type	_ZN9rocsparseL19gebsrmvn_3xn_kernelILj128ELj2ELj32EfEEvi20rocsparse_direction_NS_24const_host_device_scalarIT2_EEPKiS6_PKS3_S8_S4_PS3_21rocsparse_index_base_b,@function
_ZN9rocsparseL19gebsrmvn_3xn_kernelILj128ELj2ELj32EfEEvi20rocsparse_direction_NS_24const_host_device_scalarIT2_EEPKiS6_PKS3_S8_S4_PS3_21rocsparse_index_base_b: ; @_ZN9rocsparseL19gebsrmvn_3xn_kernelILj128ELj2ELj32EfEEvi20rocsparse_direction_NS_24const_host_device_scalarIT2_EEPKiS6_PKS3_S8_S4_PS3_21rocsparse_index_base_b
; %bb.0:
	s_clause 0x2
	s_load_dwordx2 s[18:19], s[4:5], 0x40
	s_load_dwordx2 s[16:17], s[4:5], 0x8
	;; [unrolled: 1-line block ×3, first 2 shown]
	s_waitcnt lgkmcnt(0)
	s_bitcmp1_b32 s19, 0
	s_cselect_b32 s0, -1, 0
	s_and_b32 vcc_lo, exec_lo, s0
	s_xor_b32 s0, s0, -1
	s_cbranch_vccnz .LBB8_2
; %bb.1:
	s_load_dword s16, s[16:17], 0x0
.LBB8_2:
	s_andn2_b32 vcc_lo, exec_lo, s0
	s_cbranch_vccnz .LBB8_4
; %bb.3:
	s_load_dword s2, s[2:3], 0x0
.LBB8_4:
	s_waitcnt lgkmcnt(0)
	v_cmp_eq_f32_e64 s0, s16, 0
	v_cmp_eq_f32_e64 s1, s2, 1.0
	s_and_b32 s0, s0, s1
	s_and_b32 vcc_lo, exec_lo, s0
	s_cbranch_vccnz .LBB8_23
; %bb.5:
	s_load_dwordx2 s[0:1], s[4:5], 0x0
	v_lshrrev_b32_e32 v1, 5, v0
	v_lshl_or_b32 v1, s6, 2, v1
	s_waitcnt lgkmcnt(0)
	v_cmp_gt_i32_e32 vcc_lo, s0, v1
	s_and_saveexec_b32 s0, vcc_lo
	s_cbranch_execz .LBB8_23
; %bb.6:
	s_load_dwordx8 s[8:15], s[4:5], 0x10
	v_ashrrev_i32_e32 v2, 31, v1
	v_and_b32_e32 v0, 31, v0
	s_cmp_lg_u32 s1, 0
	v_lshlrev_b64 v[2:3], 2, v[1:2]
	s_waitcnt lgkmcnt(0)
	v_add_co_u32 v2, vcc_lo, s8, v2
	v_add_co_ci_u32_e64 v3, null, s9, v3, vcc_lo
	global_load_dwordx2 v[2:3], v[2:3], off
	s_waitcnt vmcnt(0)
	v_subrev_nc_u32_e32 v2, s18, v2
	v_subrev_nc_u32_e32 v12, s18, v3
	v_add_nc_u32_e32 v2, v2, v0
	v_cmp_lt_i32_e64 s0, v2, v12
	s_cbranch_scc0 .LBB8_12
; %bb.7:
	v_mov_b32_e32 v9, 0
	v_mov_b32_e32 v10, 0
	v_mov_b32_e32 v11, 0
	s_and_saveexec_b32 s3, s0
	s_cbranch_execz .LBB8_11
; %bb.8:
	v_mad_u64_u32 v[3:4], null, v2, 6, 5
	v_mov_b32_e32 v6, 0
	v_mov_b32_e32 v7, v2
	;; [unrolled: 1-line block ×5, first 2 shown]
	s_mov_b32 s6, 0
.LBB8_9:                                ; =>This Inner Loop Header: Depth=1
	v_ashrrev_i32_e32 v8, 31, v7
	v_mov_b32_e32 v14, v6
	v_lshlrev_b64 v[4:5], 2, v[7:8]
	v_add_nc_u32_e32 v7, 32, v7
	v_add_co_u32 v4, vcc_lo, s10, v4
	v_add_co_ci_u32_e64 v5, null, s11, v5, vcc_lo
	global_load_dword v8, v[4:5], off
	v_add_nc_u32_e32 v5, -5, v3
	v_mov_b32_e32 v4, v6
	v_lshlrev_b64 v[15:16], 2, v[5:6]
	v_add_nc_u32_e32 v5, -3, v3
	v_lshlrev_b64 v[17:18], 2, v[3:4]
	v_lshlrev_b64 v[19:20], 2, v[5:6]
	v_add_nc_u32_e32 v5, -2, v3
	v_add_co_u32 v15, vcc_lo, s12, v15
	v_add_co_ci_u32_e64 v16, null, s13, v16, vcc_lo
	v_add_co_u32 v17, vcc_lo, s12, v17
	v_lshlrev_b64 v[21:22], 2, v[5:6]
	v_add_nc_u32_e32 v5, -1, v3
	v_add_co_ci_u32_e64 v18, null, s13, v18, vcc_lo
	v_add_co_u32 v19, vcc_lo, s12, v19
	v_add_co_ci_u32_e64 v20, null, s13, v20, vcc_lo
	v_lshlrev_b64 v[4:5], 2, v[5:6]
	global_load_dwordx2 v[15:16], v[15:16], off
	v_add_nc_u32_e32 v3, 0xc0, v3
	global_load_dword v23, v[19:20], off
	v_add_co_u32 v19, vcc_lo, s12, v21
	v_add_co_ci_u32_e64 v20, null, s13, v22, vcc_lo
	v_add_co_u32 v4, vcc_lo, s12, v4
	v_add_co_ci_u32_e64 v5, null, s13, v5, vcc_lo
	v_cmp_ge_i32_e32 vcc_lo, v7, v12
	s_or_b32 s6, vcc_lo, s6
	s_waitcnt vmcnt(2)
	v_subrev_nc_u32_e32 v8, s18, v8
	v_lshlrev_b32_e32 v13, 1, v8
	v_lshlrev_b64 v[13:14], 2, v[13:14]
	v_add_co_u32 v13, s1, s14, v13
	v_add_co_ci_u32_e64 v14, null, s15, v14, s1
	global_load_dwordx2 v[13:14], v[13:14], off
	s_clause 0x2
	global_load_dword v8, v[19:20], off
	global_load_dword v4, v[4:5], off
	;; [unrolled: 1-line block ×3, first 2 shown]
	s_waitcnt vmcnt(3)
	v_fmac_f32_e32 v9, v15, v13
	v_fmac_f32_e32 v11, v16, v13
	;; [unrolled: 1-line block ×3, first 2 shown]
	s_waitcnt vmcnt(2)
	v_fmac_f32_e32 v9, v8, v14
	s_waitcnt vmcnt(1)
	v_fmac_f32_e32 v11, v4, v14
	;; [unrolled: 2-line block ×3, first 2 shown]
	s_andn2_b32 exec_lo, exec_lo, s6
	s_cbranch_execnz .LBB8_9
; %bb.10:
	s_or_b32 exec_lo, exec_lo, s6
.LBB8_11:
	s_or_b32 exec_lo, exec_lo, s3
	s_cbranch_execz .LBB8_13
	s_branch .LBB8_18
.LBB8_12:
                                        ; implicit-def: $vgpr9
                                        ; implicit-def: $vgpr10
                                        ; implicit-def: $vgpr11
.LBB8_13:
	v_mov_b32_e32 v9, 0
	v_mov_b32_e32 v10, 0
	v_mov_b32_e32 v11, 0
	s_and_saveexec_b32 s1, s0
	s_cbranch_execz .LBB8_17
; %bb.14:
	v_mad_u64_u32 v[4:5], null, v2, 6, 5
	v_mov_b32_e32 v7, 0
	v_mov_b32_e32 v9, 0
	;; [unrolled: 1-line block ×4, first 2 shown]
	s_mov_b32 s3, 0
.LBB8_15:                               ; =>This Inner Loop Header: Depth=1
	v_ashrrev_i32_e32 v3, 31, v2
	v_add_nc_u32_e32 v13, -3, v4
	v_mov_b32_e32 v14, v7
	v_add_nc_u32_e32 v15, -1, v4
	v_mov_b32_e32 v16, v7
	v_lshlrev_b64 v[5:6], 2, v[2:3]
	v_mov_b32_e32 v17, v7
	v_lshlrev_b64 v[13:14], 2, v[13:14]
	v_add_nc_u32_e32 v2, 32, v2
	v_lshlrev_b64 v[15:16], 2, v[15:16]
	v_add_co_u32 v5, vcc_lo, s10, v5
	v_add_co_ci_u32_e64 v6, null, s11, v6, vcc_lo
	global_load_dword v3, v[5:6], off
	v_add_nc_u32_e32 v6, -5, v4
	v_mov_b32_e32 v5, v7
	v_lshlrev_b64 v[18:19], 2, v[6:7]
	v_add_nc_u32_e32 v6, -2, v4
	v_lshlrev_b64 v[20:21], 2, v[4:5]
	v_add_nc_u32_e32 v4, 0xc0, v4
	v_lshlrev_b64 v[5:6], 2, v[6:7]
	v_add_co_u32 v18, vcc_lo, s12, v18
	v_add_co_ci_u32_e64 v19, null, s13, v19, vcc_lo
	v_add_co_u32 v13, vcc_lo, s12, v13
	v_add_co_ci_u32_e64 v14, null, s13, v14, vcc_lo
	v_add_co_u32 v15, vcc_lo, s12, v15
	v_add_co_ci_u32_e64 v16, null, s13, v16, vcc_lo
	s_clause 0x2
	global_load_dwordx2 v[18:19], v[18:19], off
	global_load_dword v8, v[13:14], off
	global_load_dword v15, v[15:16], off
	v_add_co_u32 v20, vcc_lo, s12, v20
	v_add_co_ci_u32_e64 v21, null, s13, v21, vcc_lo
	v_add_co_u32 v5, vcc_lo, s12, v5
	v_add_co_ci_u32_e64 v6, null, s13, v6, vcc_lo
	v_cmp_ge_i32_e32 vcc_lo, v2, v12
	s_or_b32 s3, vcc_lo, s3
	s_waitcnt vmcnt(3)
	v_subrev_nc_u32_e32 v3, s18, v3
	v_lshlrev_b32_e32 v16, 1, v3
	v_lshlrev_b64 v[13:14], 2, v[16:17]
	v_add_co_u32 v13, s0, s14, v13
	v_add_co_ci_u32_e64 v14, null, s15, v14, s0
	global_load_dwordx2 v[13:14], v[13:14], off
	s_clause 0x1
	global_load_dword v3, v[5:6], off
	global_load_dword v5, v[20:21], off
	s_waitcnt vmcnt(2)
	v_fmac_f32_e32 v9, v18, v13
	v_fmac_f32_e32 v11, v8, v13
	v_fmac_f32_e32 v10, v15, v13
	v_fmac_f32_e32 v9, v19, v14
	s_waitcnt vmcnt(1)
	v_fmac_f32_e32 v11, v3, v14
	s_waitcnt vmcnt(0)
	v_fmac_f32_e32 v10, v5, v14
	s_andn2_b32 exec_lo, exec_lo, s3
	s_cbranch_execnz .LBB8_15
; %bb.16:
	s_or_b32 exec_lo, exec_lo, s3
.LBB8_17:
	s_or_b32 exec_lo, exec_lo, s1
.LBB8_18:
	v_mbcnt_lo_u32_b32 v2, -1, 0
	s_mov_b32 s3, -1
	v_xor_b32_e32 v3, 16, v2
	v_xor_b32_e32 v6, 8, v2
	v_cmp_gt_i32_e32 vcc_lo, 32, v3
	v_cndmask_b32_e32 v3, v2, v3, vcc_lo
	v_cmp_gt_i32_e32 vcc_lo, 32, v6
	v_lshlrev_b32_e32 v3, 2, v3
	v_cndmask_b32_e32 v6, v2, v6, vcc_lo
	ds_bpermute_b32 v4, v3, v9
	ds_bpermute_b32 v5, v3, v11
	;; [unrolled: 1-line block ×3, first 2 shown]
	v_lshlrev_b32_e32 v6, 2, v6
	s_waitcnt lgkmcnt(2)
	v_add_f32_e32 v4, v9, v4
	s_waitcnt lgkmcnt(1)
	v_add_f32_e32 v5, v11, v5
	;; [unrolled: 2-line block ×3, first 2 shown]
	v_xor_b32_e32 v9, 4, v2
	ds_bpermute_b32 v7, v6, v4
	ds_bpermute_b32 v8, v6, v5
	ds_bpermute_b32 v6, v6, v3
	v_cmp_gt_i32_e32 vcc_lo, 32, v9
	v_cndmask_b32_e32 v9, v2, v9, vcc_lo
	v_lshlrev_b32_e32 v9, 2, v9
	s_waitcnt lgkmcnt(2)
	v_add_f32_e32 v4, v4, v7
	s_waitcnt lgkmcnt(1)
	v_add_f32_e32 v5, v5, v8
	;; [unrolled: 2-line block ×3, first 2 shown]
	ds_bpermute_b32 v6, v9, v4
	ds_bpermute_b32 v7, v9, v5
	;; [unrolled: 1-line block ×3, first 2 shown]
	v_xor_b32_e32 v9, 2, v2
	v_cmp_gt_i32_e32 vcc_lo, 32, v9
	v_cndmask_b32_e32 v9, v2, v9, vcc_lo
	v_lshlrev_b32_e32 v9, 2, v9
	s_waitcnt lgkmcnt(2)
	v_add_f32_e32 v4, v4, v6
	s_waitcnt lgkmcnt(1)
	v_add_f32_e32 v5, v5, v7
	;; [unrolled: 2-line block ×3, first 2 shown]
	ds_bpermute_b32 v3, v9, v4
	ds_bpermute_b32 v7, v9, v5
	;; [unrolled: 1-line block ×3, first 2 shown]
	v_xor_b32_e32 v9, 1, v2
	v_cmp_gt_i32_e32 vcc_lo, 32, v9
	v_cndmask_b32_e32 v2, v2, v9, vcc_lo
	v_cmp_eq_u32_e32 vcc_lo, 31, v0
	v_lshlrev_b32_e32 v9, 2, v2
	s_waitcnt lgkmcnt(2)
	v_add_f32_e32 v2, v4, v3
	s_waitcnt lgkmcnt(1)
	v_add_f32_e32 v3, v5, v7
	s_waitcnt lgkmcnt(0)
	v_add_f32_e32 v4, v6, v8
	ds_bpermute_b32 v5, v9, v2
	ds_bpermute_b32 v6, v9, v3
	ds_bpermute_b32 v7, v9, v4
	s_and_b32 exec_lo, exec_lo, vcc_lo
	s_cbranch_execz .LBB8_23
; %bb.19:
	s_load_dwordx2 s[0:1], s[4:5], 0x38
	s_waitcnt lgkmcnt(0)
	v_add_f32_e32 v0, v2, v5
	v_add_f32_e32 v2, v3, v6
	;; [unrolled: 1-line block ×3, first 2 shown]
	v_lshl_add_u32 v3, v1, 1, v1
	v_cmp_eq_f32_e64 s4, s2, 0
	v_mul_f32_e32 v0, s16, v0
	v_mul_f32_e32 v1, s16, v2
	;; [unrolled: 1-line block ×3, first 2 shown]
	v_ashrrev_i32_e32 v4, 31, v3
	s_and_b32 vcc_lo, exec_lo, s4
	s_cbranch_vccz .LBB8_21
; %bb.20:
	v_lshlrev_b64 v[5:6], 2, v[3:4]
	s_mov_b32 s3, 0
	v_add_co_u32 v5, vcc_lo, s0, v5
	v_add_co_ci_u32_e64 v6, null, s1, v6, vcc_lo
	global_store_dwordx3 v[5:6], v[0:2], off
.LBB8_21:
	s_andn2_b32 vcc_lo, exec_lo, s3
	s_cbranch_vccnz .LBB8_23
; %bb.22:
	v_lshlrev_b64 v[3:4], 2, v[3:4]
	v_add_co_u32 v6, vcc_lo, s0, v3
	v_add_co_ci_u32_e64 v7, null, s1, v4, vcc_lo
	global_load_dwordx3 v[3:5], v[6:7], off
	s_waitcnt vmcnt(0)
	v_fmac_f32_e32 v0, s2, v3
	v_fmac_f32_e32 v1, s2, v4
	;; [unrolled: 1-line block ×3, first 2 shown]
	global_store_dwordx3 v[6:7], v[0:2], off
.LBB8_23:
	s_endpgm
	.section	.rodata,"a",@progbits
	.p2align	6, 0x0
	.amdhsa_kernel _ZN9rocsparseL19gebsrmvn_3xn_kernelILj128ELj2ELj32EfEEvi20rocsparse_direction_NS_24const_host_device_scalarIT2_EEPKiS6_PKS3_S8_S4_PS3_21rocsparse_index_base_b
		.amdhsa_group_segment_fixed_size 0
		.amdhsa_private_segment_fixed_size 0
		.amdhsa_kernarg_size 72
		.amdhsa_user_sgpr_count 6
		.amdhsa_user_sgpr_private_segment_buffer 1
		.amdhsa_user_sgpr_dispatch_ptr 0
		.amdhsa_user_sgpr_queue_ptr 0
		.amdhsa_user_sgpr_kernarg_segment_ptr 1
		.amdhsa_user_sgpr_dispatch_id 0
		.amdhsa_user_sgpr_flat_scratch_init 0
		.amdhsa_user_sgpr_private_segment_size 0
		.amdhsa_wavefront_size32 1
		.amdhsa_uses_dynamic_stack 0
		.amdhsa_system_sgpr_private_segment_wavefront_offset 0
		.amdhsa_system_sgpr_workgroup_id_x 1
		.amdhsa_system_sgpr_workgroup_id_y 0
		.amdhsa_system_sgpr_workgroup_id_z 0
		.amdhsa_system_sgpr_workgroup_info 0
		.amdhsa_system_vgpr_workitem_id 0
		.amdhsa_next_free_vgpr 24
		.amdhsa_next_free_sgpr 20
		.amdhsa_reserve_vcc 1
		.amdhsa_reserve_flat_scratch 0
		.amdhsa_float_round_mode_32 0
		.amdhsa_float_round_mode_16_64 0
		.amdhsa_float_denorm_mode_32 3
		.amdhsa_float_denorm_mode_16_64 3
		.amdhsa_dx10_clamp 1
		.amdhsa_ieee_mode 1
		.amdhsa_fp16_overflow 0
		.amdhsa_workgroup_processor_mode 1
		.amdhsa_memory_ordered 1
		.amdhsa_forward_progress 1
		.amdhsa_shared_vgpr_count 0
		.amdhsa_exception_fp_ieee_invalid_op 0
		.amdhsa_exception_fp_denorm_src 0
		.amdhsa_exception_fp_ieee_div_zero 0
		.amdhsa_exception_fp_ieee_overflow 0
		.amdhsa_exception_fp_ieee_underflow 0
		.amdhsa_exception_fp_ieee_inexact 0
		.amdhsa_exception_int_div_zero 0
	.end_amdhsa_kernel
	.section	.text._ZN9rocsparseL19gebsrmvn_3xn_kernelILj128ELj2ELj32EfEEvi20rocsparse_direction_NS_24const_host_device_scalarIT2_EEPKiS6_PKS3_S8_S4_PS3_21rocsparse_index_base_b,"axG",@progbits,_ZN9rocsparseL19gebsrmvn_3xn_kernelILj128ELj2ELj32EfEEvi20rocsparse_direction_NS_24const_host_device_scalarIT2_EEPKiS6_PKS3_S8_S4_PS3_21rocsparse_index_base_b,comdat
.Lfunc_end8:
	.size	_ZN9rocsparseL19gebsrmvn_3xn_kernelILj128ELj2ELj32EfEEvi20rocsparse_direction_NS_24const_host_device_scalarIT2_EEPKiS6_PKS3_S8_S4_PS3_21rocsparse_index_base_b, .Lfunc_end8-_ZN9rocsparseL19gebsrmvn_3xn_kernelILj128ELj2ELj32EfEEvi20rocsparse_direction_NS_24const_host_device_scalarIT2_EEPKiS6_PKS3_S8_S4_PS3_21rocsparse_index_base_b
                                        ; -- End function
	.set _ZN9rocsparseL19gebsrmvn_3xn_kernelILj128ELj2ELj32EfEEvi20rocsparse_direction_NS_24const_host_device_scalarIT2_EEPKiS6_PKS3_S8_S4_PS3_21rocsparse_index_base_b.num_vgpr, 24
	.set _ZN9rocsparseL19gebsrmvn_3xn_kernelILj128ELj2ELj32EfEEvi20rocsparse_direction_NS_24const_host_device_scalarIT2_EEPKiS6_PKS3_S8_S4_PS3_21rocsparse_index_base_b.num_agpr, 0
	.set _ZN9rocsparseL19gebsrmvn_3xn_kernelILj128ELj2ELj32EfEEvi20rocsparse_direction_NS_24const_host_device_scalarIT2_EEPKiS6_PKS3_S8_S4_PS3_21rocsparse_index_base_b.numbered_sgpr, 20
	.set _ZN9rocsparseL19gebsrmvn_3xn_kernelILj128ELj2ELj32EfEEvi20rocsparse_direction_NS_24const_host_device_scalarIT2_EEPKiS6_PKS3_S8_S4_PS3_21rocsparse_index_base_b.num_named_barrier, 0
	.set _ZN9rocsparseL19gebsrmvn_3xn_kernelILj128ELj2ELj32EfEEvi20rocsparse_direction_NS_24const_host_device_scalarIT2_EEPKiS6_PKS3_S8_S4_PS3_21rocsparse_index_base_b.private_seg_size, 0
	.set _ZN9rocsparseL19gebsrmvn_3xn_kernelILj128ELj2ELj32EfEEvi20rocsparse_direction_NS_24const_host_device_scalarIT2_EEPKiS6_PKS3_S8_S4_PS3_21rocsparse_index_base_b.uses_vcc, 1
	.set _ZN9rocsparseL19gebsrmvn_3xn_kernelILj128ELj2ELj32EfEEvi20rocsparse_direction_NS_24const_host_device_scalarIT2_EEPKiS6_PKS3_S8_S4_PS3_21rocsparse_index_base_b.uses_flat_scratch, 0
	.set _ZN9rocsparseL19gebsrmvn_3xn_kernelILj128ELj2ELj32EfEEvi20rocsparse_direction_NS_24const_host_device_scalarIT2_EEPKiS6_PKS3_S8_S4_PS3_21rocsparse_index_base_b.has_dyn_sized_stack, 0
	.set _ZN9rocsparseL19gebsrmvn_3xn_kernelILj128ELj2ELj32EfEEvi20rocsparse_direction_NS_24const_host_device_scalarIT2_EEPKiS6_PKS3_S8_S4_PS3_21rocsparse_index_base_b.has_recursion, 0
	.set _ZN9rocsparseL19gebsrmvn_3xn_kernelILj128ELj2ELj32EfEEvi20rocsparse_direction_NS_24const_host_device_scalarIT2_EEPKiS6_PKS3_S8_S4_PS3_21rocsparse_index_base_b.has_indirect_call, 0
	.section	.AMDGPU.csdata,"",@progbits
; Kernel info:
; codeLenInByte = 1520
; TotalNumSgprs: 22
; NumVgprs: 24
; ScratchSize: 0
; MemoryBound: 0
; FloatMode: 240
; IeeeMode: 1
; LDSByteSize: 0 bytes/workgroup (compile time only)
; SGPRBlocks: 0
; VGPRBlocks: 2
; NumSGPRsForWavesPerEU: 22
; NumVGPRsForWavesPerEU: 24
; Occupancy: 16
; WaveLimiterHint : 1
; COMPUTE_PGM_RSRC2:SCRATCH_EN: 0
; COMPUTE_PGM_RSRC2:USER_SGPR: 6
; COMPUTE_PGM_RSRC2:TRAP_HANDLER: 0
; COMPUTE_PGM_RSRC2:TGID_X_EN: 1
; COMPUTE_PGM_RSRC2:TGID_Y_EN: 0
; COMPUTE_PGM_RSRC2:TGID_Z_EN: 0
; COMPUTE_PGM_RSRC2:TIDIG_COMP_CNT: 0
	.section	.text._ZN9rocsparseL19gebsrmvn_3xn_kernelILj128ELj2ELj64EfEEvi20rocsparse_direction_NS_24const_host_device_scalarIT2_EEPKiS6_PKS3_S8_S4_PS3_21rocsparse_index_base_b,"axG",@progbits,_ZN9rocsparseL19gebsrmvn_3xn_kernelILj128ELj2ELj64EfEEvi20rocsparse_direction_NS_24const_host_device_scalarIT2_EEPKiS6_PKS3_S8_S4_PS3_21rocsparse_index_base_b,comdat
	.globl	_ZN9rocsparseL19gebsrmvn_3xn_kernelILj128ELj2ELj64EfEEvi20rocsparse_direction_NS_24const_host_device_scalarIT2_EEPKiS6_PKS3_S8_S4_PS3_21rocsparse_index_base_b ; -- Begin function _ZN9rocsparseL19gebsrmvn_3xn_kernelILj128ELj2ELj64EfEEvi20rocsparse_direction_NS_24const_host_device_scalarIT2_EEPKiS6_PKS3_S8_S4_PS3_21rocsparse_index_base_b
	.p2align	8
	.type	_ZN9rocsparseL19gebsrmvn_3xn_kernelILj128ELj2ELj64EfEEvi20rocsparse_direction_NS_24const_host_device_scalarIT2_EEPKiS6_PKS3_S8_S4_PS3_21rocsparse_index_base_b,@function
_ZN9rocsparseL19gebsrmvn_3xn_kernelILj128ELj2ELj64EfEEvi20rocsparse_direction_NS_24const_host_device_scalarIT2_EEPKiS6_PKS3_S8_S4_PS3_21rocsparse_index_base_b: ; @_ZN9rocsparseL19gebsrmvn_3xn_kernelILj128ELj2ELj64EfEEvi20rocsparse_direction_NS_24const_host_device_scalarIT2_EEPKiS6_PKS3_S8_S4_PS3_21rocsparse_index_base_b
; %bb.0:
	s_clause 0x2
	s_load_dwordx2 s[18:19], s[4:5], 0x40
	s_load_dwordx2 s[16:17], s[4:5], 0x8
	;; [unrolled: 1-line block ×3, first 2 shown]
	s_waitcnt lgkmcnt(0)
	s_bitcmp1_b32 s19, 0
	s_cselect_b32 s0, -1, 0
	s_and_b32 vcc_lo, exec_lo, s0
	s_xor_b32 s0, s0, -1
	s_cbranch_vccnz .LBB9_2
; %bb.1:
	s_load_dword s16, s[16:17], 0x0
.LBB9_2:
	s_andn2_b32 vcc_lo, exec_lo, s0
	s_cbranch_vccnz .LBB9_4
; %bb.3:
	s_load_dword s2, s[2:3], 0x0
.LBB9_4:
	s_waitcnt lgkmcnt(0)
	v_cmp_eq_f32_e64 s0, s16, 0
	v_cmp_eq_f32_e64 s1, s2, 1.0
	s_and_b32 s0, s0, s1
	s_and_b32 vcc_lo, exec_lo, s0
	s_cbranch_vccnz .LBB9_23
; %bb.5:
	s_load_dwordx2 s[0:1], s[4:5], 0x0
	v_lshrrev_b32_e32 v1, 6, v0
	v_lshl_or_b32 v1, s6, 1, v1
	s_waitcnt lgkmcnt(0)
	v_cmp_gt_i32_e32 vcc_lo, s0, v1
	s_and_saveexec_b32 s0, vcc_lo
	s_cbranch_execz .LBB9_23
; %bb.6:
	s_load_dwordx8 s[8:15], s[4:5], 0x10
	v_ashrrev_i32_e32 v2, 31, v1
	v_and_b32_e32 v0, 63, v0
	s_cmp_lg_u32 s1, 0
	v_lshlrev_b64 v[2:3], 2, v[1:2]
	s_waitcnt lgkmcnt(0)
	v_add_co_u32 v2, vcc_lo, s8, v2
	v_add_co_ci_u32_e64 v3, null, s9, v3, vcc_lo
	global_load_dwordx2 v[2:3], v[2:3], off
	s_waitcnt vmcnt(0)
	v_subrev_nc_u32_e32 v2, s18, v2
	v_subrev_nc_u32_e32 v12, s18, v3
	v_add_nc_u32_e32 v2, v2, v0
	v_cmp_lt_i32_e64 s0, v2, v12
	s_cbranch_scc0 .LBB9_12
; %bb.7:
	v_mov_b32_e32 v9, 0
	v_mov_b32_e32 v10, 0
	;; [unrolled: 1-line block ×3, first 2 shown]
	s_and_saveexec_b32 s3, s0
	s_cbranch_execz .LBB9_11
; %bb.8:
	v_mad_u64_u32 v[3:4], null, v2, 6, 5
	v_mov_b32_e32 v6, 0
	v_mov_b32_e32 v7, v2
	;; [unrolled: 1-line block ×5, first 2 shown]
	s_mov_b32 s6, 0
.LBB9_9:                                ; =>This Inner Loop Header: Depth=1
	v_ashrrev_i32_e32 v8, 31, v7
	v_mov_b32_e32 v14, v6
	v_lshlrev_b64 v[4:5], 2, v[7:8]
	v_add_nc_u32_e32 v7, 64, v7
	v_add_co_u32 v4, vcc_lo, s10, v4
	v_add_co_ci_u32_e64 v5, null, s11, v5, vcc_lo
	global_load_dword v8, v[4:5], off
	v_add_nc_u32_e32 v5, -5, v3
	v_mov_b32_e32 v4, v6
	v_lshlrev_b64 v[15:16], 2, v[5:6]
	v_add_nc_u32_e32 v5, -3, v3
	v_lshlrev_b64 v[17:18], 2, v[3:4]
	v_lshlrev_b64 v[19:20], 2, v[5:6]
	v_add_nc_u32_e32 v5, -2, v3
	v_add_co_u32 v15, vcc_lo, s12, v15
	v_add_co_ci_u32_e64 v16, null, s13, v16, vcc_lo
	v_add_co_u32 v17, vcc_lo, s12, v17
	v_lshlrev_b64 v[21:22], 2, v[5:6]
	v_add_nc_u32_e32 v5, -1, v3
	v_add_co_ci_u32_e64 v18, null, s13, v18, vcc_lo
	v_add_co_u32 v19, vcc_lo, s12, v19
	v_add_co_ci_u32_e64 v20, null, s13, v20, vcc_lo
	v_lshlrev_b64 v[4:5], 2, v[5:6]
	global_load_dwordx2 v[15:16], v[15:16], off
	v_add_nc_u32_e32 v3, 0x180, v3
	global_load_dword v23, v[19:20], off
	v_add_co_u32 v19, vcc_lo, s12, v21
	v_add_co_ci_u32_e64 v20, null, s13, v22, vcc_lo
	v_add_co_u32 v4, vcc_lo, s12, v4
	v_add_co_ci_u32_e64 v5, null, s13, v5, vcc_lo
	v_cmp_ge_i32_e32 vcc_lo, v7, v12
	s_or_b32 s6, vcc_lo, s6
	s_waitcnt vmcnt(2)
	v_subrev_nc_u32_e32 v8, s18, v8
	v_lshlrev_b32_e32 v13, 1, v8
	v_lshlrev_b64 v[13:14], 2, v[13:14]
	v_add_co_u32 v13, s1, s14, v13
	v_add_co_ci_u32_e64 v14, null, s15, v14, s1
	global_load_dwordx2 v[13:14], v[13:14], off
	s_clause 0x2
	global_load_dword v8, v[19:20], off
	global_load_dword v4, v[4:5], off
	;; [unrolled: 1-line block ×3, first 2 shown]
	s_waitcnt vmcnt(3)
	v_fmac_f32_e32 v9, v15, v13
	v_fmac_f32_e32 v11, v16, v13
	;; [unrolled: 1-line block ×3, first 2 shown]
	s_waitcnt vmcnt(2)
	v_fmac_f32_e32 v9, v8, v14
	s_waitcnt vmcnt(1)
	v_fmac_f32_e32 v11, v4, v14
	;; [unrolled: 2-line block ×3, first 2 shown]
	s_andn2_b32 exec_lo, exec_lo, s6
	s_cbranch_execnz .LBB9_9
; %bb.10:
	s_or_b32 exec_lo, exec_lo, s6
.LBB9_11:
	s_or_b32 exec_lo, exec_lo, s3
	s_cbranch_execz .LBB9_13
	s_branch .LBB9_18
.LBB9_12:
                                        ; implicit-def: $vgpr9
                                        ; implicit-def: $vgpr10
                                        ; implicit-def: $vgpr11
.LBB9_13:
	v_mov_b32_e32 v9, 0
	v_mov_b32_e32 v10, 0
	;; [unrolled: 1-line block ×3, first 2 shown]
	s_and_saveexec_b32 s1, s0
	s_cbranch_execz .LBB9_17
; %bb.14:
	v_mad_u64_u32 v[4:5], null, v2, 6, 5
	v_mov_b32_e32 v7, 0
	v_mov_b32_e32 v9, 0
	;; [unrolled: 1-line block ×4, first 2 shown]
	s_mov_b32 s3, 0
.LBB9_15:                               ; =>This Inner Loop Header: Depth=1
	v_ashrrev_i32_e32 v3, 31, v2
	v_add_nc_u32_e32 v13, -3, v4
	v_mov_b32_e32 v14, v7
	v_add_nc_u32_e32 v15, -1, v4
	v_mov_b32_e32 v16, v7
	v_lshlrev_b64 v[5:6], 2, v[2:3]
	v_mov_b32_e32 v17, v7
	v_lshlrev_b64 v[13:14], 2, v[13:14]
	v_add_nc_u32_e32 v2, 64, v2
	v_lshlrev_b64 v[15:16], 2, v[15:16]
	v_add_co_u32 v5, vcc_lo, s10, v5
	v_add_co_ci_u32_e64 v6, null, s11, v6, vcc_lo
	global_load_dword v3, v[5:6], off
	v_add_nc_u32_e32 v6, -5, v4
	v_mov_b32_e32 v5, v7
	v_lshlrev_b64 v[18:19], 2, v[6:7]
	v_add_nc_u32_e32 v6, -2, v4
	v_lshlrev_b64 v[20:21], 2, v[4:5]
	v_add_nc_u32_e32 v4, 0x180, v4
	v_lshlrev_b64 v[5:6], 2, v[6:7]
	v_add_co_u32 v18, vcc_lo, s12, v18
	v_add_co_ci_u32_e64 v19, null, s13, v19, vcc_lo
	v_add_co_u32 v13, vcc_lo, s12, v13
	v_add_co_ci_u32_e64 v14, null, s13, v14, vcc_lo
	v_add_co_u32 v15, vcc_lo, s12, v15
	v_add_co_ci_u32_e64 v16, null, s13, v16, vcc_lo
	s_clause 0x2
	global_load_dwordx2 v[18:19], v[18:19], off
	global_load_dword v8, v[13:14], off
	global_load_dword v15, v[15:16], off
	v_add_co_u32 v20, vcc_lo, s12, v20
	v_add_co_ci_u32_e64 v21, null, s13, v21, vcc_lo
	v_add_co_u32 v5, vcc_lo, s12, v5
	v_add_co_ci_u32_e64 v6, null, s13, v6, vcc_lo
	v_cmp_ge_i32_e32 vcc_lo, v2, v12
	s_or_b32 s3, vcc_lo, s3
	s_waitcnt vmcnt(3)
	v_subrev_nc_u32_e32 v3, s18, v3
	v_lshlrev_b32_e32 v16, 1, v3
	v_lshlrev_b64 v[13:14], 2, v[16:17]
	v_add_co_u32 v13, s0, s14, v13
	v_add_co_ci_u32_e64 v14, null, s15, v14, s0
	global_load_dwordx2 v[13:14], v[13:14], off
	s_clause 0x1
	global_load_dword v3, v[5:6], off
	global_load_dword v5, v[20:21], off
	s_waitcnt vmcnt(2)
	v_fmac_f32_e32 v9, v18, v13
	v_fmac_f32_e32 v11, v8, v13
	;; [unrolled: 1-line block ×4, first 2 shown]
	s_waitcnt vmcnt(1)
	v_fmac_f32_e32 v11, v3, v14
	s_waitcnt vmcnt(0)
	v_fmac_f32_e32 v10, v5, v14
	s_andn2_b32 exec_lo, exec_lo, s3
	s_cbranch_execnz .LBB9_15
; %bb.16:
	s_or_b32 exec_lo, exec_lo, s3
.LBB9_17:
	s_or_b32 exec_lo, exec_lo, s1
.LBB9_18:
	v_mbcnt_lo_u32_b32 v2, -1, 0
	s_mov_b32 s3, -1
	v_or_b32_e32 v3, 32, v2
	v_xor_b32_e32 v6, 16, v2
	v_cmp_gt_i32_e32 vcc_lo, 32, v3
	v_cndmask_b32_e32 v3, v2, v3, vcc_lo
	v_cmp_gt_i32_e32 vcc_lo, 32, v6
	v_lshlrev_b32_e32 v3, 2, v3
	v_cndmask_b32_e32 v6, v2, v6, vcc_lo
	ds_bpermute_b32 v4, v3, v9
	ds_bpermute_b32 v5, v3, v11
	;; [unrolled: 1-line block ×3, first 2 shown]
	v_lshlrev_b32_e32 v6, 2, v6
	s_waitcnt lgkmcnt(2)
	v_add_f32_e32 v4, v9, v4
	s_waitcnt lgkmcnt(1)
	v_add_f32_e32 v5, v11, v5
	;; [unrolled: 2-line block ×3, first 2 shown]
	v_xor_b32_e32 v9, 8, v2
	ds_bpermute_b32 v7, v6, v4
	ds_bpermute_b32 v8, v6, v5
	;; [unrolled: 1-line block ×3, first 2 shown]
	v_cmp_gt_i32_e32 vcc_lo, 32, v9
	v_cndmask_b32_e32 v9, v2, v9, vcc_lo
	v_lshlrev_b32_e32 v9, 2, v9
	s_waitcnt lgkmcnt(2)
	v_add_f32_e32 v4, v4, v7
	s_waitcnt lgkmcnt(1)
	v_add_f32_e32 v5, v5, v8
	s_waitcnt lgkmcnt(0)
	v_add_f32_e32 v3, v3, v6
	ds_bpermute_b32 v6, v9, v4
	ds_bpermute_b32 v7, v9, v5
	ds_bpermute_b32 v8, v9, v3
	v_xor_b32_e32 v9, 4, v2
	v_cmp_gt_i32_e32 vcc_lo, 32, v9
	v_cndmask_b32_e32 v9, v2, v9, vcc_lo
	v_lshlrev_b32_e32 v9, 2, v9
	s_waitcnt lgkmcnt(2)
	v_add_f32_e32 v4, v4, v6
	s_waitcnt lgkmcnt(1)
	v_add_f32_e32 v5, v5, v7
	s_waitcnt lgkmcnt(0)
	v_add_f32_e32 v3, v3, v8
	ds_bpermute_b32 v6, v9, v4
	ds_bpermute_b32 v7, v9, v5
	ds_bpermute_b32 v8, v9, v3
	v_xor_b32_e32 v9, 2, v2
	;; [unrolled: 13-line block ×3, first 2 shown]
	v_cmp_gt_i32_e32 vcc_lo, 32, v9
	v_cndmask_b32_e32 v2, v2, v9, vcc_lo
	v_cmp_eq_u32_e32 vcc_lo, 63, v0
	v_lshlrev_b32_e32 v9, 2, v2
	s_waitcnt lgkmcnt(2)
	v_add_f32_e32 v2, v4, v3
	s_waitcnt lgkmcnt(1)
	v_add_f32_e32 v3, v5, v7
	;; [unrolled: 2-line block ×3, first 2 shown]
	ds_bpermute_b32 v5, v9, v2
	ds_bpermute_b32 v6, v9, v3
	;; [unrolled: 1-line block ×3, first 2 shown]
	s_and_b32 exec_lo, exec_lo, vcc_lo
	s_cbranch_execz .LBB9_23
; %bb.19:
	s_load_dwordx2 s[0:1], s[4:5], 0x38
	s_waitcnt lgkmcnt(0)
	v_add_f32_e32 v0, v2, v5
	v_add_f32_e32 v2, v3, v6
	;; [unrolled: 1-line block ×3, first 2 shown]
	v_lshl_add_u32 v3, v1, 1, v1
	v_cmp_eq_f32_e64 s4, s2, 0
	v_mul_f32_e32 v0, s16, v0
	v_mul_f32_e32 v1, s16, v2
	v_mul_f32_e32 v2, s16, v4
	v_ashrrev_i32_e32 v4, 31, v3
	s_and_b32 vcc_lo, exec_lo, s4
	s_cbranch_vccz .LBB9_21
; %bb.20:
	v_lshlrev_b64 v[5:6], 2, v[3:4]
	s_mov_b32 s3, 0
	v_add_co_u32 v5, vcc_lo, s0, v5
	v_add_co_ci_u32_e64 v6, null, s1, v6, vcc_lo
	global_store_dwordx3 v[5:6], v[0:2], off
.LBB9_21:
	s_andn2_b32 vcc_lo, exec_lo, s3
	s_cbranch_vccnz .LBB9_23
; %bb.22:
	v_lshlrev_b64 v[3:4], 2, v[3:4]
	v_add_co_u32 v6, vcc_lo, s0, v3
	v_add_co_ci_u32_e64 v7, null, s1, v4, vcc_lo
	global_load_dwordx3 v[3:5], v[6:7], off
	s_waitcnt vmcnt(0)
	v_fmac_f32_e32 v0, s2, v3
	v_fmac_f32_e32 v1, s2, v4
	v_fmac_f32_e32 v2, s2, v5
	global_store_dwordx3 v[6:7], v[0:2], off
.LBB9_23:
	s_endpgm
	.section	.rodata,"a",@progbits
	.p2align	6, 0x0
	.amdhsa_kernel _ZN9rocsparseL19gebsrmvn_3xn_kernelILj128ELj2ELj64EfEEvi20rocsparse_direction_NS_24const_host_device_scalarIT2_EEPKiS6_PKS3_S8_S4_PS3_21rocsparse_index_base_b
		.amdhsa_group_segment_fixed_size 0
		.amdhsa_private_segment_fixed_size 0
		.amdhsa_kernarg_size 72
		.amdhsa_user_sgpr_count 6
		.amdhsa_user_sgpr_private_segment_buffer 1
		.amdhsa_user_sgpr_dispatch_ptr 0
		.amdhsa_user_sgpr_queue_ptr 0
		.amdhsa_user_sgpr_kernarg_segment_ptr 1
		.amdhsa_user_sgpr_dispatch_id 0
		.amdhsa_user_sgpr_flat_scratch_init 0
		.amdhsa_user_sgpr_private_segment_size 0
		.amdhsa_wavefront_size32 1
		.amdhsa_uses_dynamic_stack 0
		.amdhsa_system_sgpr_private_segment_wavefront_offset 0
		.amdhsa_system_sgpr_workgroup_id_x 1
		.amdhsa_system_sgpr_workgroup_id_y 0
		.amdhsa_system_sgpr_workgroup_id_z 0
		.amdhsa_system_sgpr_workgroup_info 0
		.amdhsa_system_vgpr_workitem_id 0
		.amdhsa_next_free_vgpr 24
		.amdhsa_next_free_sgpr 20
		.amdhsa_reserve_vcc 1
		.amdhsa_reserve_flat_scratch 0
		.amdhsa_float_round_mode_32 0
		.amdhsa_float_round_mode_16_64 0
		.amdhsa_float_denorm_mode_32 3
		.amdhsa_float_denorm_mode_16_64 3
		.amdhsa_dx10_clamp 1
		.amdhsa_ieee_mode 1
		.amdhsa_fp16_overflow 0
		.amdhsa_workgroup_processor_mode 1
		.amdhsa_memory_ordered 1
		.amdhsa_forward_progress 1
		.amdhsa_shared_vgpr_count 0
		.amdhsa_exception_fp_ieee_invalid_op 0
		.amdhsa_exception_fp_denorm_src 0
		.amdhsa_exception_fp_ieee_div_zero 0
		.amdhsa_exception_fp_ieee_overflow 0
		.amdhsa_exception_fp_ieee_underflow 0
		.amdhsa_exception_fp_ieee_inexact 0
		.amdhsa_exception_int_div_zero 0
	.end_amdhsa_kernel
	.section	.text._ZN9rocsparseL19gebsrmvn_3xn_kernelILj128ELj2ELj64EfEEvi20rocsparse_direction_NS_24const_host_device_scalarIT2_EEPKiS6_PKS3_S8_S4_PS3_21rocsparse_index_base_b,"axG",@progbits,_ZN9rocsparseL19gebsrmvn_3xn_kernelILj128ELj2ELj64EfEEvi20rocsparse_direction_NS_24const_host_device_scalarIT2_EEPKiS6_PKS3_S8_S4_PS3_21rocsparse_index_base_b,comdat
.Lfunc_end9:
	.size	_ZN9rocsparseL19gebsrmvn_3xn_kernelILj128ELj2ELj64EfEEvi20rocsparse_direction_NS_24const_host_device_scalarIT2_EEPKiS6_PKS3_S8_S4_PS3_21rocsparse_index_base_b, .Lfunc_end9-_ZN9rocsparseL19gebsrmvn_3xn_kernelILj128ELj2ELj64EfEEvi20rocsparse_direction_NS_24const_host_device_scalarIT2_EEPKiS6_PKS3_S8_S4_PS3_21rocsparse_index_base_b
                                        ; -- End function
	.set _ZN9rocsparseL19gebsrmvn_3xn_kernelILj128ELj2ELj64EfEEvi20rocsparse_direction_NS_24const_host_device_scalarIT2_EEPKiS6_PKS3_S8_S4_PS3_21rocsparse_index_base_b.num_vgpr, 24
	.set _ZN9rocsparseL19gebsrmvn_3xn_kernelILj128ELj2ELj64EfEEvi20rocsparse_direction_NS_24const_host_device_scalarIT2_EEPKiS6_PKS3_S8_S4_PS3_21rocsparse_index_base_b.num_agpr, 0
	.set _ZN9rocsparseL19gebsrmvn_3xn_kernelILj128ELj2ELj64EfEEvi20rocsparse_direction_NS_24const_host_device_scalarIT2_EEPKiS6_PKS3_S8_S4_PS3_21rocsparse_index_base_b.numbered_sgpr, 20
	.set _ZN9rocsparseL19gebsrmvn_3xn_kernelILj128ELj2ELj64EfEEvi20rocsparse_direction_NS_24const_host_device_scalarIT2_EEPKiS6_PKS3_S8_S4_PS3_21rocsparse_index_base_b.num_named_barrier, 0
	.set _ZN9rocsparseL19gebsrmvn_3xn_kernelILj128ELj2ELj64EfEEvi20rocsparse_direction_NS_24const_host_device_scalarIT2_EEPKiS6_PKS3_S8_S4_PS3_21rocsparse_index_base_b.private_seg_size, 0
	.set _ZN9rocsparseL19gebsrmvn_3xn_kernelILj128ELj2ELj64EfEEvi20rocsparse_direction_NS_24const_host_device_scalarIT2_EEPKiS6_PKS3_S8_S4_PS3_21rocsparse_index_base_b.uses_vcc, 1
	.set _ZN9rocsparseL19gebsrmvn_3xn_kernelILj128ELj2ELj64EfEEvi20rocsparse_direction_NS_24const_host_device_scalarIT2_EEPKiS6_PKS3_S8_S4_PS3_21rocsparse_index_base_b.uses_flat_scratch, 0
	.set _ZN9rocsparseL19gebsrmvn_3xn_kernelILj128ELj2ELj64EfEEvi20rocsparse_direction_NS_24const_host_device_scalarIT2_EEPKiS6_PKS3_S8_S4_PS3_21rocsparse_index_base_b.has_dyn_sized_stack, 0
	.set _ZN9rocsparseL19gebsrmvn_3xn_kernelILj128ELj2ELj64EfEEvi20rocsparse_direction_NS_24const_host_device_scalarIT2_EEPKiS6_PKS3_S8_S4_PS3_21rocsparse_index_base_b.has_recursion, 0
	.set _ZN9rocsparseL19gebsrmvn_3xn_kernelILj128ELj2ELj64EfEEvi20rocsparse_direction_NS_24const_host_device_scalarIT2_EEPKiS6_PKS3_S8_S4_PS3_21rocsparse_index_base_b.has_indirect_call, 0
	.section	.AMDGPU.csdata,"",@progbits
; Kernel info:
; codeLenInByte = 1584
; TotalNumSgprs: 22
; NumVgprs: 24
; ScratchSize: 0
; MemoryBound: 0
; FloatMode: 240
; IeeeMode: 1
; LDSByteSize: 0 bytes/workgroup (compile time only)
; SGPRBlocks: 0
; VGPRBlocks: 2
; NumSGPRsForWavesPerEU: 22
; NumVGPRsForWavesPerEU: 24
; Occupancy: 16
; WaveLimiterHint : 1
; COMPUTE_PGM_RSRC2:SCRATCH_EN: 0
; COMPUTE_PGM_RSRC2:USER_SGPR: 6
; COMPUTE_PGM_RSRC2:TRAP_HANDLER: 0
; COMPUTE_PGM_RSRC2:TGID_X_EN: 1
; COMPUTE_PGM_RSRC2:TGID_Y_EN: 0
; COMPUTE_PGM_RSRC2:TGID_Z_EN: 0
; COMPUTE_PGM_RSRC2:TIDIG_COMP_CNT: 0
	.section	.text._ZN9rocsparseL19gebsrmvn_3xn_kernelILj128ELj4ELj4EfEEvi20rocsparse_direction_NS_24const_host_device_scalarIT2_EEPKiS6_PKS3_S8_S4_PS3_21rocsparse_index_base_b,"axG",@progbits,_ZN9rocsparseL19gebsrmvn_3xn_kernelILj128ELj4ELj4EfEEvi20rocsparse_direction_NS_24const_host_device_scalarIT2_EEPKiS6_PKS3_S8_S4_PS3_21rocsparse_index_base_b,comdat
	.globl	_ZN9rocsparseL19gebsrmvn_3xn_kernelILj128ELj4ELj4EfEEvi20rocsparse_direction_NS_24const_host_device_scalarIT2_EEPKiS6_PKS3_S8_S4_PS3_21rocsparse_index_base_b ; -- Begin function _ZN9rocsparseL19gebsrmvn_3xn_kernelILj128ELj4ELj4EfEEvi20rocsparse_direction_NS_24const_host_device_scalarIT2_EEPKiS6_PKS3_S8_S4_PS3_21rocsparse_index_base_b
	.p2align	8
	.type	_ZN9rocsparseL19gebsrmvn_3xn_kernelILj128ELj4ELj4EfEEvi20rocsparse_direction_NS_24const_host_device_scalarIT2_EEPKiS6_PKS3_S8_S4_PS3_21rocsparse_index_base_b,@function
_ZN9rocsparseL19gebsrmvn_3xn_kernelILj128ELj4ELj4EfEEvi20rocsparse_direction_NS_24const_host_device_scalarIT2_EEPKiS6_PKS3_S8_S4_PS3_21rocsparse_index_base_b: ; @_ZN9rocsparseL19gebsrmvn_3xn_kernelILj128ELj4ELj4EfEEvi20rocsparse_direction_NS_24const_host_device_scalarIT2_EEPKiS6_PKS3_S8_S4_PS3_21rocsparse_index_base_b
; %bb.0:
	s_clause 0x2
	s_load_dwordx2 s[18:19], s[4:5], 0x40
	s_load_dwordx2 s[16:17], s[4:5], 0x8
	;; [unrolled: 1-line block ×3, first 2 shown]
	s_waitcnt lgkmcnt(0)
	s_bitcmp1_b32 s19, 0
	s_cselect_b32 s0, -1, 0
	s_and_b32 vcc_lo, exec_lo, s0
	s_xor_b32 s0, s0, -1
	s_cbranch_vccnz .LBB10_2
; %bb.1:
	s_load_dword s16, s[16:17], 0x0
.LBB10_2:
	s_andn2_b32 vcc_lo, exec_lo, s0
	s_cbranch_vccnz .LBB10_4
; %bb.3:
	s_load_dword s2, s[2:3], 0x0
.LBB10_4:
	s_waitcnt lgkmcnt(0)
	v_cmp_eq_f32_e64 s0, s16, 0
	v_cmp_eq_f32_e64 s1, s2, 1.0
	s_and_b32 s0, s0, s1
	s_and_b32 vcc_lo, exec_lo, s0
	s_cbranch_vccnz .LBB10_23
; %bb.5:
	s_load_dwordx2 s[0:1], s[4:5], 0x0
	v_lshrrev_b32_e32 v1, 2, v0
	v_lshl_or_b32 v1, s6, 5, v1
	s_waitcnt lgkmcnt(0)
	v_cmp_gt_i32_e32 vcc_lo, s0, v1
	s_and_saveexec_b32 s0, vcc_lo
	s_cbranch_execz .LBB10_23
; %bb.6:
	s_load_dwordx8 s[8:15], s[4:5], 0x10
	v_ashrrev_i32_e32 v2, 31, v1
	v_and_b32_e32 v0, 3, v0
	s_cmp_lg_u32 s1, 0
	v_lshlrev_b64 v[2:3], 2, v[1:2]
	s_waitcnt lgkmcnt(0)
	v_add_co_u32 v2, vcc_lo, s8, v2
	v_add_co_ci_u32_e64 v3, null, s9, v3, vcc_lo
	global_load_dwordx2 v[2:3], v[2:3], off
	s_waitcnt vmcnt(0)
	v_subrev_nc_u32_e32 v2, s18, v2
	v_subrev_nc_u32_e32 v12, s18, v3
	v_add_nc_u32_e32 v2, v2, v0
	v_cmp_lt_i32_e64 s0, v2, v12
	s_cbranch_scc0 .LBB10_12
; %bb.7:
	v_mov_b32_e32 v9, 0
	v_mov_b32_e32 v10, 0
	;; [unrolled: 1-line block ×3, first 2 shown]
	s_and_saveexec_b32 s3, s0
	s_cbranch_execz .LBB10_11
; %bb.8:
	v_mad_u64_u32 v[3:4], null, v2, 12, 11
	v_mov_b32_e32 v6, 0
	v_mov_b32_e32 v7, v2
	v_mov_b32_e32 v9, 0
	v_mov_b32_e32 v10, 0
	v_mov_b32_e32 v11, 0
	s_mov_b32 s6, 0
.LBB10_9:                               ; =>This Inner Loop Header: Depth=1
	v_ashrrev_i32_e32 v8, 31, v7
	v_mov_b32_e32 v18, v6
	v_lshlrev_b64 v[4:5], 2, v[7:8]
	v_add_nc_u32_e32 v7, 4, v7
	v_add_co_u32 v4, vcc_lo, s10, v4
	v_add_co_ci_u32_e64 v5, null, s11, v5, vcc_lo
	global_load_dword v8, v[4:5], off
	v_add_nc_u32_e32 v5, -11, v3
	v_mov_b32_e32 v4, v6
	v_lshlrev_b64 v[13:14], 2, v[5:6]
	v_add_nc_u32_e32 v5, -7, v3
	v_lshlrev_b64 v[15:16], 2, v[3:4]
	v_lshlrev_b64 v[19:20], 2, v[5:6]
	v_add_nc_u32_e32 v5, -6, v3
	v_add_co_u32 v13, vcc_lo, s12, v13
	v_add_co_ci_u32_e64 v14, null, s13, v14, vcc_lo
	v_lshlrev_b64 v[23:24], 2, v[5:6]
	v_add_co_u32 v21, vcc_lo, s12, v15
	v_add_nc_u32_e32 v5, -5, v3
	v_add_co_ci_u32_e64 v22, null, s13, v16, vcc_lo
	v_add_co_u32 v19, vcc_lo, s12, v19
	v_add_co_ci_u32_e64 v20, null, s13, v20, vcc_lo
	v_add_co_u32 v23, vcc_lo, s12, v23
	v_lshlrev_b64 v[25:26], 2, v[5:6]
	v_add_nc_u32_e32 v5, -4, v3
	v_add_co_ci_u32_e64 v24, null, s13, v24, vcc_lo
	s_clause 0x2
	global_load_dwordx4 v[13:16], v[13:14], off
	global_load_dword v27, v[19:20], off
	global_load_dword v28, v[23:24], off
	v_lshlrev_b64 v[19:20], 2, v[5:6]
	v_add_nc_u32_e32 v5, -3, v3
	v_add_co_u32 v23, vcc_lo, s12, v25
	v_add_co_ci_u32_e64 v24, null, s13, v26, vcc_lo
	v_lshlrev_b64 v[25:26], 2, v[5:6]
	v_add_co_u32 v19, vcc_lo, s12, v19
	v_add_nc_u32_e32 v5, -2, v3
	v_add_co_ci_u32_e64 v20, null, s13, v20, vcc_lo
	v_add_co_u32 v25, vcc_lo, s12, v25
	v_add_co_ci_u32_e64 v26, null, s13, v26, vcc_lo
	s_clause 0x1
	global_load_dword v29, v[23:24], off
	global_load_dword v30, v[19:20], off
	v_lshlrev_b64 v[23:24], 2, v[5:6]
	v_add_nc_u32_e32 v5, -1, v3
	v_add_nc_u32_e32 v3, 48, v3
	v_add_co_u32 v23, vcc_lo, s12, v23
	v_add_co_ci_u32_e64 v24, null, s13, v24, vcc_lo
	s_waitcnt vmcnt(5)
	v_subrev_nc_u32_e32 v4, s18, v8
	v_lshlrev_b32_e32 v17, 2, v4
	v_lshlrev_b64 v[4:5], 2, v[5:6]
	v_lshlrev_b64 v[17:18], 2, v[17:18]
	v_add_co_u32 v4, vcc_lo, s12, v4
	v_add_co_ci_u32_e64 v5, null, s13, v5, vcc_lo
	v_add_co_u32 v17, s1, s14, v17
	v_add_co_ci_u32_e64 v18, null, s15, v18, s1
	v_cmp_ge_i32_e32 vcc_lo, v7, v12
	global_load_dwordx4 v[17:20], v[17:18], off
	s_clause 0x3
	global_load_dword v8, v[25:26], off
	global_load_dword v23, v[23:24], off
	;; [unrolled: 1-line block ×4, first 2 shown]
	s_or_b32 s6, vcc_lo, s6
	s_waitcnt vmcnt(4)
	v_fmac_f32_e32 v9, v13, v17
	v_fmac_f32_e32 v11, v14, v17
	;; [unrolled: 1-line block ×8, first 2 shown]
	s_waitcnt vmcnt(3)
	v_fmac_f32_e32 v10, v8, v19
	s_waitcnt vmcnt(2)
	v_fmac_f32_e32 v9, v23, v20
	;; [unrolled: 2-line block ×4, first 2 shown]
	s_andn2_b32 exec_lo, exec_lo, s6
	s_cbranch_execnz .LBB10_9
; %bb.10:
	s_or_b32 exec_lo, exec_lo, s6
.LBB10_11:
	s_or_b32 exec_lo, exec_lo, s3
	s_cbranch_execz .LBB10_13
	s_branch .LBB10_18
.LBB10_12:
                                        ; implicit-def: $vgpr9
                                        ; implicit-def: $vgpr10
                                        ; implicit-def: $vgpr11
.LBB10_13:
	v_mov_b32_e32 v9, 0
	v_mov_b32_e32 v10, 0
	v_mov_b32_e32 v11, 0
	s_and_saveexec_b32 s1, s0
	s_cbranch_execz .LBB10_17
; %bb.14:
	v_mad_u64_u32 v[4:5], null, v2, 12, 11
	v_mov_b32_e32 v7, 0
	v_mov_b32_e32 v9, 0
	;; [unrolled: 1-line block ×4, first 2 shown]
	s_mov_b32 s3, 0
.LBB10_15:                              ; =>This Inner Loop Header: Depth=1
	v_ashrrev_i32_e32 v3, 31, v2
	v_add_nc_u32_e32 v13, -7, v4
	v_mov_b32_e32 v14, v7
	v_add_nc_u32_e32 v15, -3, v4
	v_mov_b32_e32 v16, v7
	v_lshlrev_b64 v[5:6], 2, v[2:3]
	v_mov_b32_e32 v18, v7
	v_lshlrev_b64 v[13:14], 2, v[13:14]
	v_add_nc_u32_e32 v2, 4, v2
	v_lshlrev_b64 v[15:16], 2, v[15:16]
	v_add_co_u32 v5, vcc_lo, s10, v5
	v_add_co_ci_u32_e64 v6, null, s11, v6, vcc_lo
	global_load_dword v3, v[5:6], off
	v_add_nc_u32_e32 v6, -11, v4
	v_mov_b32_e32 v5, v7
	v_lshlrev_b64 v[19:20], 2, v[6:7]
	v_add_nc_u32_e32 v6, -6, v4
	v_lshlrev_b64 v[21:22], 2, v[4:5]
	v_lshlrev_b64 v[23:24], 2, v[6:7]
	v_add_co_u32 v19, vcc_lo, s12, v19
	v_add_nc_u32_e32 v6, -2, v4
	v_add_co_ci_u32_e64 v20, null, s13, v20, vcc_lo
	v_add_co_u32 v25, vcc_lo, s12, v13
	v_add_co_ci_u32_e64 v26, null, s13, v14, vcc_lo
	v_add_co_u32 v27, vcc_lo, s12, v15
	v_add_co_ci_u32_e64 v28, null, s13, v16, vcc_lo
	v_lshlrev_b64 v[29:30], 2, v[6:7]
	v_add_nc_u32_e32 v6, -5, v4
	v_add_co_u32 v21, vcc_lo, s12, v21
	v_add_co_ci_u32_e64 v22, null, s13, v22, vcc_lo
	s_clause 0x2
	global_load_dwordx4 v[13:16], v[19:20], off
	global_load_dword v8, v[25:26], off
	global_load_dword v31, v[27:28], off
	v_add_co_u32 v19, vcc_lo, s12, v23
	v_add_co_ci_u32_e64 v20, null, s13, v24, vcc_lo
	v_lshlrev_b64 v[23:24], 2, v[6:7]
	v_add_nc_u32_e32 v6, -1, v4
	v_add_co_u32 v25, vcc_lo, s12, v29
	v_add_co_ci_u32_e64 v26, null, s13, v30, vcc_lo
	v_lshlrev_b64 v[27:28], 2, v[6:7]
	v_add_nc_u32_e32 v6, -4, v4
	v_add_co_u32 v23, vcc_lo, s12, v23
	v_add_co_ci_u32_e64 v24, null, s13, v24, vcc_lo
	v_lshlrev_b64 v[5:6], 2, v[6:7]
	s_clause 0x1
	global_load_dword v29, v[19:20], off
	global_load_dword v25, v[25:26], off
	v_add_nc_u32_e32 v4, 48, v4
	s_waitcnt vmcnt(5)
	v_subrev_nc_u32_e32 v3, s18, v3
	v_lshlrev_b32_e32 v17, 2, v3
	v_lshlrev_b64 v[17:18], 2, v[17:18]
	v_add_co_u32 v17, s0, s14, v17
	v_add_co_ci_u32_e64 v18, null, s15, v18, s0
	global_load_dwordx4 v[17:20], v[17:18], off
	global_load_dword v3, v[23:24], off
	v_add_co_u32 v23, vcc_lo, s12, v27
	v_add_co_ci_u32_e64 v24, null, s13, v28, vcc_lo
	v_add_co_u32 v5, vcc_lo, s12, v5
	v_add_co_ci_u32_e64 v6, null, s13, v6, vcc_lo
	s_clause 0x2
	global_load_dword v23, v[23:24], off
	global_load_dword v5, v[5:6], off
	;; [unrolled: 1-line block ×3, first 2 shown]
	v_cmp_ge_i32_e32 vcc_lo, v2, v12
	s_or_b32 s3, vcc_lo, s3
	s_waitcnt vmcnt(4)
	v_fmac_f32_e32 v9, v13, v17
	v_fmac_f32_e32 v11, v8, v17
	;; [unrolled: 1-line block ×7, first 2 shown]
	s_waitcnt vmcnt(3)
	v_fmac_f32_e32 v11, v3, v19
	s_waitcnt vmcnt(2)
	v_fmac_f32_e32 v10, v23, v19
	v_fmac_f32_e32 v9, v16, v20
	s_waitcnt vmcnt(1)
	v_fmac_f32_e32 v11, v5, v20
	s_waitcnt vmcnt(0)
	v_fmac_f32_e32 v10, v6, v20
	s_andn2_b32 exec_lo, exec_lo, s3
	s_cbranch_execnz .LBB10_15
; %bb.16:
	s_or_b32 exec_lo, exec_lo, s3
.LBB10_17:
	s_or_b32 exec_lo, exec_lo, s1
.LBB10_18:
	v_mbcnt_lo_u32_b32 v2, -1, 0
	s_mov_b32 s3, -1
	v_xor_b32_e32 v3, 2, v2
	v_cmp_gt_i32_e32 vcc_lo, 32, v3
	v_cndmask_b32_e32 v3, v2, v3, vcc_lo
	v_lshlrev_b32_e32 v3, 2, v3
	ds_bpermute_b32 v4, v3, v9
	ds_bpermute_b32 v5, v3, v11
	;; [unrolled: 1-line block ×3, first 2 shown]
	v_xor_b32_e32 v3, 1, v2
	v_cmp_gt_i32_e32 vcc_lo, 32, v3
	v_cndmask_b32_e32 v2, v2, v3, vcc_lo
	v_cmp_eq_u32_e32 vcc_lo, 3, v0
	v_lshlrev_b32_e32 v7, 2, v2
	s_waitcnt lgkmcnt(2)
	v_add_f32_e32 v2, v9, v4
	s_waitcnt lgkmcnt(1)
	v_add_f32_e32 v3, v11, v5
	;; [unrolled: 2-line block ×3, first 2 shown]
	ds_bpermute_b32 v5, v7, v2
	ds_bpermute_b32 v6, v7, v3
	;; [unrolled: 1-line block ×3, first 2 shown]
	s_and_b32 exec_lo, exec_lo, vcc_lo
	s_cbranch_execz .LBB10_23
; %bb.19:
	s_load_dwordx2 s[0:1], s[4:5], 0x38
	s_waitcnt lgkmcnt(0)
	v_add_f32_e32 v0, v2, v5
	v_add_f32_e32 v2, v3, v6
	v_add_f32_e32 v4, v4, v7
	v_lshl_add_u32 v3, v1, 1, v1
	v_cmp_eq_f32_e64 s4, s2, 0
	v_mul_f32_e32 v0, s16, v0
	v_mul_f32_e32 v1, s16, v2
	;; [unrolled: 1-line block ×3, first 2 shown]
	v_ashrrev_i32_e32 v4, 31, v3
	s_and_b32 vcc_lo, exec_lo, s4
	s_cbranch_vccz .LBB10_21
; %bb.20:
	v_lshlrev_b64 v[5:6], 2, v[3:4]
	s_mov_b32 s3, 0
	v_add_co_u32 v5, vcc_lo, s0, v5
	v_add_co_ci_u32_e64 v6, null, s1, v6, vcc_lo
	global_store_dwordx3 v[5:6], v[0:2], off
.LBB10_21:
	s_andn2_b32 vcc_lo, exec_lo, s3
	s_cbranch_vccnz .LBB10_23
; %bb.22:
	v_lshlrev_b64 v[3:4], 2, v[3:4]
	v_add_co_u32 v6, vcc_lo, s0, v3
	v_add_co_ci_u32_e64 v7, null, s1, v4, vcc_lo
	global_load_dwordx3 v[3:5], v[6:7], off
	s_waitcnt vmcnt(0)
	v_fmac_f32_e32 v0, s2, v3
	v_fmac_f32_e32 v1, s2, v4
	;; [unrolled: 1-line block ×3, first 2 shown]
	global_store_dwordx3 v[6:7], v[0:2], off
.LBB10_23:
	s_endpgm
	.section	.rodata,"a",@progbits
	.p2align	6, 0x0
	.amdhsa_kernel _ZN9rocsparseL19gebsrmvn_3xn_kernelILj128ELj4ELj4EfEEvi20rocsparse_direction_NS_24const_host_device_scalarIT2_EEPKiS6_PKS3_S8_S4_PS3_21rocsparse_index_base_b
		.amdhsa_group_segment_fixed_size 0
		.amdhsa_private_segment_fixed_size 0
		.amdhsa_kernarg_size 72
		.amdhsa_user_sgpr_count 6
		.amdhsa_user_sgpr_private_segment_buffer 1
		.amdhsa_user_sgpr_dispatch_ptr 0
		.amdhsa_user_sgpr_queue_ptr 0
		.amdhsa_user_sgpr_kernarg_segment_ptr 1
		.amdhsa_user_sgpr_dispatch_id 0
		.amdhsa_user_sgpr_flat_scratch_init 0
		.amdhsa_user_sgpr_private_segment_size 0
		.amdhsa_wavefront_size32 1
		.amdhsa_uses_dynamic_stack 0
		.amdhsa_system_sgpr_private_segment_wavefront_offset 0
		.amdhsa_system_sgpr_workgroup_id_x 1
		.amdhsa_system_sgpr_workgroup_id_y 0
		.amdhsa_system_sgpr_workgroup_id_z 0
		.amdhsa_system_sgpr_workgroup_info 0
		.amdhsa_system_vgpr_workitem_id 0
		.amdhsa_next_free_vgpr 32
		.amdhsa_next_free_sgpr 20
		.amdhsa_reserve_vcc 1
		.amdhsa_reserve_flat_scratch 0
		.amdhsa_float_round_mode_32 0
		.amdhsa_float_round_mode_16_64 0
		.amdhsa_float_denorm_mode_32 3
		.amdhsa_float_denorm_mode_16_64 3
		.amdhsa_dx10_clamp 1
		.amdhsa_ieee_mode 1
		.amdhsa_fp16_overflow 0
		.amdhsa_workgroup_processor_mode 1
		.amdhsa_memory_ordered 1
		.amdhsa_forward_progress 1
		.amdhsa_shared_vgpr_count 0
		.amdhsa_exception_fp_ieee_invalid_op 0
		.amdhsa_exception_fp_denorm_src 0
		.amdhsa_exception_fp_ieee_div_zero 0
		.amdhsa_exception_fp_ieee_overflow 0
		.amdhsa_exception_fp_ieee_underflow 0
		.amdhsa_exception_fp_ieee_inexact 0
		.amdhsa_exception_int_div_zero 0
	.end_amdhsa_kernel
	.section	.text._ZN9rocsparseL19gebsrmvn_3xn_kernelILj128ELj4ELj4EfEEvi20rocsparse_direction_NS_24const_host_device_scalarIT2_EEPKiS6_PKS3_S8_S4_PS3_21rocsparse_index_base_b,"axG",@progbits,_ZN9rocsparseL19gebsrmvn_3xn_kernelILj128ELj4ELj4EfEEvi20rocsparse_direction_NS_24const_host_device_scalarIT2_EEPKiS6_PKS3_S8_S4_PS3_21rocsparse_index_base_b,comdat
.Lfunc_end10:
	.size	_ZN9rocsparseL19gebsrmvn_3xn_kernelILj128ELj4ELj4EfEEvi20rocsparse_direction_NS_24const_host_device_scalarIT2_EEPKiS6_PKS3_S8_S4_PS3_21rocsparse_index_base_b, .Lfunc_end10-_ZN9rocsparseL19gebsrmvn_3xn_kernelILj128ELj4ELj4EfEEvi20rocsparse_direction_NS_24const_host_device_scalarIT2_EEPKiS6_PKS3_S8_S4_PS3_21rocsparse_index_base_b
                                        ; -- End function
	.set _ZN9rocsparseL19gebsrmvn_3xn_kernelILj128ELj4ELj4EfEEvi20rocsparse_direction_NS_24const_host_device_scalarIT2_EEPKiS6_PKS3_S8_S4_PS3_21rocsparse_index_base_b.num_vgpr, 32
	.set _ZN9rocsparseL19gebsrmvn_3xn_kernelILj128ELj4ELj4EfEEvi20rocsparse_direction_NS_24const_host_device_scalarIT2_EEPKiS6_PKS3_S8_S4_PS3_21rocsparse_index_base_b.num_agpr, 0
	.set _ZN9rocsparseL19gebsrmvn_3xn_kernelILj128ELj4ELj4EfEEvi20rocsparse_direction_NS_24const_host_device_scalarIT2_EEPKiS6_PKS3_S8_S4_PS3_21rocsparse_index_base_b.numbered_sgpr, 20
	.set _ZN9rocsparseL19gebsrmvn_3xn_kernelILj128ELj4ELj4EfEEvi20rocsparse_direction_NS_24const_host_device_scalarIT2_EEPKiS6_PKS3_S8_S4_PS3_21rocsparse_index_base_b.num_named_barrier, 0
	.set _ZN9rocsparseL19gebsrmvn_3xn_kernelILj128ELj4ELj4EfEEvi20rocsparse_direction_NS_24const_host_device_scalarIT2_EEPKiS6_PKS3_S8_S4_PS3_21rocsparse_index_base_b.private_seg_size, 0
	.set _ZN9rocsparseL19gebsrmvn_3xn_kernelILj128ELj4ELj4EfEEvi20rocsparse_direction_NS_24const_host_device_scalarIT2_EEPKiS6_PKS3_S8_S4_PS3_21rocsparse_index_base_b.uses_vcc, 1
	.set _ZN9rocsparseL19gebsrmvn_3xn_kernelILj128ELj4ELj4EfEEvi20rocsparse_direction_NS_24const_host_device_scalarIT2_EEPKiS6_PKS3_S8_S4_PS3_21rocsparse_index_base_b.uses_flat_scratch, 0
	.set _ZN9rocsparseL19gebsrmvn_3xn_kernelILj128ELj4ELj4EfEEvi20rocsparse_direction_NS_24const_host_device_scalarIT2_EEPKiS6_PKS3_S8_S4_PS3_21rocsparse_index_base_b.has_dyn_sized_stack, 0
	.set _ZN9rocsparseL19gebsrmvn_3xn_kernelILj128ELj4ELj4EfEEvi20rocsparse_direction_NS_24const_host_device_scalarIT2_EEPKiS6_PKS3_S8_S4_PS3_21rocsparse_index_base_b.has_recursion, 0
	.set _ZN9rocsparseL19gebsrmvn_3xn_kernelILj128ELj4ELj4EfEEvi20rocsparse_direction_NS_24const_host_device_scalarIT2_EEPKiS6_PKS3_S8_S4_PS3_21rocsparse_index_base_b.has_indirect_call, 0
	.section	.AMDGPU.csdata,"",@progbits
; Kernel info:
; codeLenInByte = 1680
; TotalNumSgprs: 22
; NumVgprs: 32
; ScratchSize: 0
; MemoryBound: 0
; FloatMode: 240
; IeeeMode: 1
; LDSByteSize: 0 bytes/workgroup (compile time only)
; SGPRBlocks: 0
; VGPRBlocks: 3
; NumSGPRsForWavesPerEU: 22
; NumVGPRsForWavesPerEU: 32
; Occupancy: 16
; WaveLimiterHint : 1
; COMPUTE_PGM_RSRC2:SCRATCH_EN: 0
; COMPUTE_PGM_RSRC2:USER_SGPR: 6
; COMPUTE_PGM_RSRC2:TRAP_HANDLER: 0
; COMPUTE_PGM_RSRC2:TGID_X_EN: 1
; COMPUTE_PGM_RSRC2:TGID_Y_EN: 0
; COMPUTE_PGM_RSRC2:TGID_Z_EN: 0
; COMPUTE_PGM_RSRC2:TIDIG_COMP_CNT: 0
	.section	.text._ZN9rocsparseL19gebsrmvn_3xn_kernelILj128ELj4ELj8EfEEvi20rocsparse_direction_NS_24const_host_device_scalarIT2_EEPKiS6_PKS3_S8_S4_PS3_21rocsparse_index_base_b,"axG",@progbits,_ZN9rocsparseL19gebsrmvn_3xn_kernelILj128ELj4ELj8EfEEvi20rocsparse_direction_NS_24const_host_device_scalarIT2_EEPKiS6_PKS3_S8_S4_PS3_21rocsparse_index_base_b,comdat
	.globl	_ZN9rocsparseL19gebsrmvn_3xn_kernelILj128ELj4ELj8EfEEvi20rocsparse_direction_NS_24const_host_device_scalarIT2_EEPKiS6_PKS3_S8_S4_PS3_21rocsparse_index_base_b ; -- Begin function _ZN9rocsparseL19gebsrmvn_3xn_kernelILj128ELj4ELj8EfEEvi20rocsparse_direction_NS_24const_host_device_scalarIT2_EEPKiS6_PKS3_S8_S4_PS3_21rocsparse_index_base_b
	.p2align	8
	.type	_ZN9rocsparseL19gebsrmvn_3xn_kernelILj128ELj4ELj8EfEEvi20rocsparse_direction_NS_24const_host_device_scalarIT2_EEPKiS6_PKS3_S8_S4_PS3_21rocsparse_index_base_b,@function
_ZN9rocsparseL19gebsrmvn_3xn_kernelILj128ELj4ELj8EfEEvi20rocsparse_direction_NS_24const_host_device_scalarIT2_EEPKiS6_PKS3_S8_S4_PS3_21rocsparse_index_base_b: ; @_ZN9rocsparseL19gebsrmvn_3xn_kernelILj128ELj4ELj8EfEEvi20rocsparse_direction_NS_24const_host_device_scalarIT2_EEPKiS6_PKS3_S8_S4_PS3_21rocsparse_index_base_b
; %bb.0:
	s_clause 0x2
	s_load_dwordx2 s[18:19], s[4:5], 0x40
	s_load_dwordx2 s[16:17], s[4:5], 0x8
	;; [unrolled: 1-line block ×3, first 2 shown]
	s_waitcnt lgkmcnt(0)
	s_bitcmp1_b32 s19, 0
	s_cselect_b32 s0, -1, 0
	s_and_b32 vcc_lo, exec_lo, s0
	s_xor_b32 s0, s0, -1
	s_cbranch_vccnz .LBB11_2
; %bb.1:
	s_load_dword s16, s[16:17], 0x0
.LBB11_2:
	s_andn2_b32 vcc_lo, exec_lo, s0
	s_cbranch_vccnz .LBB11_4
; %bb.3:
	s_load_dword s2, s[2:3], 0x0
.LBB11_4:
	s_waitcnt lgkmcnt(0)
	v_cmp_eq_f32_e64 s0, s16, 0
	v_cmp_eq_f32_e64 s1, s2, 1.0
	s_and_b32 s0, s0, s1
	s_and_b32 vcc_lo, exec_lo, s0
	s_cbranch_vccnz .LBB11_23
; %bb.5:
	s_load_dwordx2 s[0:1], s[4:5], 0x0
	v_lshrrev_b32_e32 v1, 3, v0
	v_lshl_or_b32 v1, s6, 4, v1
	s_waitcnt lgkmcnt(0)
	v_cmp_gt_i32_e32 vcc_lo, s0, v1
	s_and_saveexec_b32 s0, vcc_lo
	s_cbranch_execz .LBB11_23
; %bb.6:
	s_load_dwordx8 s[8:15], s[4:5], 0x10
	v_ashrrev_i32_e32 v2, 31, v1
	v_and_b32_e32 v0, 7, v0
	s_cmp_lg_u32 s1, 0
	v_lshlrev_b64 v[2:3], 2, v[1:2]
	s_waitcnt lgkmcnt(0)
	v_add_co_u32 v2, vcc_lo, s8, v2
	v_add_co_ci_u32_e64 v3, null, s9, v3, vcc_lo
	global_load_dwordx2 v[2:3], v[2:3], off
	s_waitcnt vmcnt(0)
	v_subrev_nc_u32_e32 v2, s18, v2
	v_subrev_nc_u32_e32 v12, s18, v3
	v_add_nc_u32_e32 v2, v2, v0
	v_cmp_lt_i32_e64 s0, v2, v12
	s_cbranch_scc0 .LBB11_12
; %bb.7:
	v_mov_b32_e32 v9, 0
	v_mov_b32_e32 v10, 0
	;; [unrolled: 1-line block ×3, first 2 shown]
	s_and_saveexec_b32 s3, s0
	s_cbranch_execz .LBB11_11
; %bb.8:
	v_mad_u64_u32 v[3:4], null, v2, 12, 11
	v_mov_b32_e32 v6, 0
	v_mov_b32_e32 v7, v2
	;; [unrolled: 1-line block ×5, first 2 shown]
	s_mov_b32 s6, 0
.LBB11_9:                               ; =>This Inner Loop Header: Depth=1
	v_ashrrev_i32_e32 v8, 31, v7
	v_mov_b32_e32 v18, v6
	v_lshlrev_b64 v[4:5], 2, v[7:8]
	v_add_nc_u32_e32 v7, 8, v7
	v_add_co_u32 v4, vcc_lo, s10, v4
	v_add_co_ci_u32_e64 v5, null, s11, v5, vcc_lo
	global_load_dword v8, v[4:5], off
	v_add_nc_u32_e32 v5, -11, v3
	v_mov_b32_e32 v4, v6
	v_lshlrev_b64 v[13:14], 2, v[5:6]
	v_add_nc_u32_e32 v5, -7, v3
	v_lshlrev_b64 v[15:16], 2, v[3:4]
	v_lshlrev_b64 v[19:20], 2, v[5:6]
	v_add_nc_u32_e32 v5, -6, v3
	v_add_co_u32 v13, vcc_lo, s12, v13
	v_add_co_ci_u32_e64 v14, null, s13, v14, vcc_lo
	v_lshlrev_b64 v[23:24], 2, v[5:6]
	v_add_co_u32 v21, vcc_lo, s12, v15
	v_add_nc_u32_e32 v5, -5, v3
	v_add_co_ci_u32_e64 v22, null, s13, v16, vcc_lo
	v_add_co_u32 v19, vcc_lo, s12, v19
	v_add_co_ci_u32_e64 v20, null, s13, v20, vcc_lo
	v_add_co_u32 v23, vcc_lo, s12, v23
	v_lshlrev_b64 v[25:26], 2, v[5:6]
	v_add_nc_u32_e32 v5, -4, v3
	v_add_co_ci_u32_e64 v24, null, s13, v24, vcc_lo
	s_clause 0x2
	global_load_dwordx4 v[13:16], v[13:14], off
	global_load_dword v27, v[19:20], off
	global_load_dword v28, v[23:24], off
	v_lshlrev_b64 v[19:20], 2, v[5:6]
	v_add_nc_u32_e32 v5, -3, v3
	v_add_co_u32 v23, vcc_lo, s12, v25
	v_add_co_ci_u32_e64 v24, null, s13, v26, vcc_lo
	v_lshlrev_b64 v[25:26], 2, v[5:6]
	v_add_co_u32 v19, vcc_lo, s12, v19
	v_add_nc_u32_e32 v5, -2, v3
	v_add_co_ci_u32_e64 v20, null, s13, v20, vcc_lo
	v_add_co_u32 v25, vcc_lo, s12, v25
	v_add_co_ci_u32_e64 v26, null, s13, v26, vcc_lo
	s_clause 0x1
	global_load_dword v29, v[23:24], off
	global_load_dword v30, v[19:20], off
	v_lshlrev_b64 v[23:24], 2, v[5:6]
	v_add_nc_u32_e32 v5, -1, v3
	v_add_nc_u32_e32 v3, 0x60, v3
	v_add_co_u32 v23, vcc_lo, s12, v23
	v_add_co_ci_u32_e64 v24, null, s13, v24, vcc_lo
	s_waitcnt vmcnt(5)
	v_subrev_nc_u32_e32 v4, s18, v8
	v_lshlrev_b32_e32 v17, 2, v4
	v_lshlrev_b64 v[4:5], 2, v[5:6]
	v_lshlrev_b64 v[17:18], 2, v[17:18]
	v_add_co_u32 v4, vcc_lo, s12, v4
	v_add_co_ci_u32_e64 v5, null, s13, v5, vcc_lo
	v_add_co_u32 v17, s1, s14, v17
	v_add_co_ci_u32_e64 v18, null, s15, v18, s1
	v_cmp_ge_i32_e32 vcc_lo, v7, v12
	global_load_dwordx4 v[17:20], v[17:18], off
	s_clause 0x3
	global_load_dword v8, v[25:26], off
	global_load_dword v23, v[23:24], off
	;; [unrolled: 1-line block ×4, first 2 shown]
	s_or_b32 s6, vcc_lo, s6
	s_waitcnt vmcnt(4)
	v_fmac_f32_e32 v9, v13, v17
	v_fmac_f32_e32 v11, v14, v17
	v_fmac_f32_e32 v10, v15, v17
	v_fmac_f32_e32 v9, v16, v18
	v_fmac_f32_e32 v11, v27, v18
	v_fmac_f32_e32 v10, v28, v18
	v_fmac_f32_e32 v9, v29, v19
	v_fmac_f32_e32 v11, v30, v19
	s_waitcnt vmcnt(3)
	v_fmac_f32_e32 v10, v8, v19
	s_waitcnt vmcnt(2)
	v_fmac_f32_e32 v9, v23, v20
	s_waitcnt vmcnt(1)
	v_fmac_f32_e32 v11, v4, v20
	s_waitcnt vmcnt(0)
	v_fmac_f32_e32 v10, v5, v20
	s_andn2_b32 exec_lo, exec_lo, s6
	s_cbranch_execnz .LBB11_9
; %bb.10:
	s_or_b32 exec_lo, exec_lo, s6
.LBB11_11:
	s_or_b32 exec_lo, exec_lo, s3
	s_cbranch_execz .LBB11_13
	s_branch .LBB11_18
.LBB11_12:
                                        ; implicit-def: $vgpr9
                                        ; implicit-def: $vgpr10
                                        ; implicit-def: $vgpr11
.LBB11_13:
	v_mov_b32_e32 v9, 0
	v_mov_b32_e32 v10, 0
	;; [unrolled: 1-line block ×3, first 2 shown]
	s_and_saveexec_b32 s1, s0
	s_cbranch_execz .LBB11_17
; %bb.14:
	v_mad_u64_u32 v[4:5], null, v2, 12, 11
	v_mov_b32_e32 v7, 0
	v_mov_b32_e32 v9, 0
	;; [unrolled: 1-line block ×4, first 2 shown]
	s_mov_b32 s3, 0
.LBB11_15:                              ; =>This Inner Loop Header: Depth=1
	v_ashrrev_i32_e32 v3, 31, v2
	v_add_nc_u32_e32 v13, -7, v4
	v_mov_b32_e32 v14, v7
	v_add_nc_u32_e32 v15, -3, v4
	v_mov_b32_e32 v16, v7
	v_lshlrev_b64 v[5:6], 2, v[2:3]
	v_mov_b32_e32 v18, v7
	v_lshlrev_b64 v[13:14], 2, v[13:14]
	v_add_nc_u32_e32 v2, 8, v2
	v_lshlrev_b64 v[15:16], 2, v[15:16]
	v_add_co_u32 v5, vcc_lo, s10, v5
	v_add_co_ci_u32_e64 v6, null, s11, v6, vcc_lo
	global_load_dword v3, v[5:6], off
	v_add_nc_u32_e32 v6, -11, v4
	v_mov_b32_e32 v5, v7
	v_lshlrev_b64 v[19:20], 2, v[6:7]
	v_add_nc_u32_e32 v6, -6, v4
	v_lshlrev_b64 v[21:22], 2, v[4:5]
	v_lshlrev_b64 v[23:24], 2, v[6:7]
	v_add_co_u32 v19, vcc_lo, s12, v19
	v_add_nc_u32_e32 v6, -2, v4
	v_add_co_ci_u32_e64 v20, null, s13, v20, vcc_lo
	v_add_co_u32 v25, vcc_lo, s12, v13
	v_add_co_ci_u32_e64 v26, null, s13, v14, vcc_lo
	v_add_co_u32 v27, vcc_lo, s12, v15
	v_add_co_ci_u32_e64 v28, null, s13, v16, vcc_lo
	v_lshlrev_b64 v[29:30], 2, v[6:7]
	v_add_nc_u32_e32 v6, -5, v4
	v_add_co_u32 v21, vcc_lo, s12, v21
	v_add_co_ci_u32_e64 v22, null, s13, v22, vcc_lo
	s_clause 0x2
	global_load_dwordx4 v[13:16], v[19:20], off
	global_load_dword v8, v[25:26], off
	global_load_dword v31, v[27:28], off
	v_add_co_u32 v19, vcc_lo, s12, v23
	v_add_co_ci_u32_e64 v20, null, s13, v24, vcc_lo
	v_lshlrev_b64 v[23:24], 2, v[6:7]
	v_add_nc_u32_e32 v6, -1, v4
	v_add_co_u32 v25, vcc_lo, s12, v29
	v_add_co_ci_u32_e64 v26, null, s13, v30, vcc_lo
	v_lshlrev_b64 v[27:28], 2, v[6:7]
	v_add_nc_u32_e32 v6, -4, v4
	v_add_co_u32 v23, vcc_lo, s12, v23
	v_add_co_ci_u32_e64 v24, null, s13, v24, vcc_lo
	v_lshlrev_b64 v[5:6], 2, v[6:7]
	s_clause 0x1
	global_load_dword v29, v[19:20], off
	global_load_dword v25, v[25:26], off
	v_add_nc_u32_e32 v4, 0x60, v4
	s_waitcnt vmcnt(5)
	v_subrev_nc_u32_e32 v3, s18, v3
	v_lshlrev_b32_e32 v17, 2, v3
	v_lshlrev_b64 v[17:18], 2, v[17:18]
	v_add_co_u32 v17, s0, s14, v17
	v_add_co_ci_u32_e64 v18, null, s15, v18, s0
	global_load_dwordx4 v[17:20], v[17:18], off
	global_load_dword v3, v[23:24], off
	v_add_co_u32 v23, vcc_lo, s12, v27
	v_add_co_ci_u32_e64 v24, null, s13, v28, vcc_lo
	v_add_co_u32 v5, vcc_lo, s12, v5
	v_add_co_ci_u32_e64 v6, null, s13, v6, vcc_lo
	s_clause 0x2
	global_load_dword v23, v[23:24], off
	global_load_dword v5, v[5:6], off
	;; [unrolled: 1-line block ×3, first 2 shown]
	v_cmp_ge_i32_e32 vcc_lo, v2, v12
	s_or_b32 s3, vcc_lo, s3
	s_waitcnt vmcnt(4)
	v_fmac_f32_e32 v9, v13, v17
	v_fmac_f32_e32 v11, v8, v17
	;; [unrolled: 1-line block ×7, first 2 shown]
	s_waitcnt vmcnt(3)
	v_fmac_f32_e32 v11, v3, v19
	s_waitcnt vmcnt(2)
	v_fmac_f32_e32 v10, v23, v19
	v_fmac_f32_e32 v9, v16, v20
	s_waitcnt vmcnt(1)
	v_fmac_f32_e32 v11, v5, v20
	s_waitcnt vmcnt(0)
	v_fmac_f32_e32 v10, v6, v20
	s_andn2_b32 exec_lo, exec_lo, s3
	s_cbranch_execnz .LBB11_15
; %bb.16:
	s_or_b32 exec_lo, exec_lo, s3
.LBB11_17:
	s_or_b32 exec_lo, exec_lo, s1
.LBB11_18:
	v_mbcnt_lo_u32_b32 v2, -1, 0
	s_mov_b32 s3, -1
	v_xor_b32_e32 v3, 4, v2
	v_xor_b32_e32 v6, 2, v2
	v_cmp_gt_i32_e32 vcc_lo, 32, v3
	v_cndmask_b32_e32 v3, v2, v3, vcc_lo
	v_cmp_gt_i32_e32 vcc_lo, 32, v6
	v_lshlrev_b32_e32 v3, 2, v3
	v_cndmask_b32_e32 v6, v2, v6, vcc_lo
	ds_bpermute_b32 v4, v3, v9
	ds_bpermute_b32 v5, v3, v11
	ds_bpermute_b32 v3, v3, v10
	v_lshlrev_b32_e32 v6, 2, v6
	s_waitcnt lgkmcnt(2)
	v_add_f32_e32 v4, v9, v4
	s_waitcnt lgkmcnt(1)
	v_add_f32_e32 v5, v11, v5
	;; [unrolled: 2-line block ×3, first 2 shown]
	v_xor_b32_e32 v9, 1, v2
	ds_bpermute_b32 v3, v6, v4
	ds_bpermute_b32 v8, v6, v5
	;; [unrolled: 1-line block ×3, first 2 shown]
	v_cmp_gt_i32_e32 vcc_lo, 32, v9
	v_cndmask_b32_e32 v2, v2, v9, vcc_lo
	v_cmp_eq_u32_e32 vcc_lo, 7, v0
	v_lshlrev_b32_e32 v9, 2, v2
	s_waitcnt lgkmcnt(2)
	v_add_f32_e32 v2, v4, v3
	s_waitcnt lgkmcnt(1)
	v_add_f32_e32 v3, v5, v8
	;; [unrolled: 2-line block ×3, first 2 shown]
	ds_bpermute_b32 v5, v9, v2
	ds_bpermute_b32 v6, v9, v3
	;; [unrolled: 1-line block ×3, first 2 shown]
	s_and_b32 exec_lo, exec_lo, vcc_lo
	s_cbranch_execz .LBB11_23
; %bb.19:
	s_load_dwordx2 s[0:1], s[4:5], 0x38
	s_waitcnt lgkmcnt(0)
	v_add_f32_e32 v0, v2, v5
	v_add_f32_e32 v2, v3, v6
	v_add_f32_e32 v4, v4, v7
	v_lshl_add_u32 v3, v1, 1, v1
	v_cmp_eq_f32_e64 s4, s2, 0
	v_mul_f32_e32 v0, s16, v0
	v_mul_f32_e32 v1, s16, v2
	;; [unrolled: 1-line block ×3, first 2 shown]
	v_ashrrev_i32_e32 v4, 31, v3
	s_and_b32 vcc_lo, exec_lo, s4
	s_cbranch_vccz .LBB11_21
; %bb.20:
	v_lshlrev_b64 v[5:6], 2, v[3:4]
	s_mov_b32 s3, 0
	v_add_co_u32 v5, vcc_lo, s0, v5
	v_add_co_ci_u32_e64 v6, null, s1, v6, vcc_lo
	global_store_dwordx3 v[5:6], v[0:2], off
.LBB11_21:
	s_andn2_b32 vcc_lo, exec_lo, s3
	s_cbranch_vccnz .LBB11_23
; %bb.22:
	v_lshlrev_b64 v[3:4], 2, v[3:4]
	v_add_co_u32 v6, vcc_lo, s0, v3
	v_add_co_ci_u32_e64 v7, null, s1, v4, vcc_lo
	global_load_dwordx3 v[3:5], v[6:7], off
	s_waitcnt vmcnt(0)
	v_fmac_f32_e32 v0, s2, v3
	v_fmac_f32_e32 v1, s2, v4
	;; [unrolled: 1-line block ×3, first 2 shown]
	global_store_dwordx3 v[6:7], v[0:2], off
.LBB11_23:
	s_endpgm
	.section	.rodata,"a",@progbits
	.p2align	6, 0x0
	.amdhsa_kernel _ZN9rocsparseL19gebsrmvn_3xn_kernelILj128ELj4ELj8EfEEvi20rocsparse_direction_NS_24const_host_device_scalarIT2_EEPKiS6_PKS3_S8_S4_PS3_21rocsparse_index_base_b
		.amdhsa_group_segment_fixed_size 0
		.amdhsa_private_segment_fixed_size 0
		.amdhsa_kernarg_size 72
		.amdhsa_user_sgpr_count 6
		.amdhsa_user_sgpr_private_segment_buffer 1
		.amdhsa_user_sgpr_dispatch_ptr 0
		.amdhsa_user_sgpr_queue_ptr 0
		.amdhsa_user_sgpr_kernarg_segment_ptr 1
		.amdhsa_user_sgpr_dispatch_id 0
		.amdhsa_user_sgpr_flat_scratch_init 0
		.amdhsa_user_sgpr_private_segment_size 0
		.amdhsa_wavefront_size32 1
		.amdhsa_uses_dynamic_stack 0
		.amdhsa_system_sgpr_private_segment_wavefront_offset 0
		.amdhsa_system_sgpr_workgroup_id_x 1
		.amdhsa_system_sgpr_workgroup_id_y 0
		.amdhsa_system_sgpr_workgroup_id_z 0
		.amdhsa_system_sgpr_workgroup_info 0
		.amdhsa_system_vgpr_workitem_id 0
		.amdhsa_next_free_vgpr 32
		.amdhsa_next_free_sgpr 20
		.amdhsa_reserve_vcc 1
		.amdhsa_reserve_flat_scratch 0
		.amdhsa_float_round_mode_32 0
		.amdhsa_float_round_mode_16_64 0
		.amdhsa_float_denorm_mode_32 3
		.amdhsa_float_denorm_mode_16_64 3
		.amdhsa_dx10_clamp 1
		.amdhsa_ieee_mode 1
		.amdhsa_fp16_overflow 0
		.amdhsa_workgroup_processor_mode 1
		.amdhsa_memory_ordered 1
		.amdhsa_forward_progress 1
		.amdhsa_shared_vgpr_count 0
		.amdhsa_exception_fp_ieee_invalid_op 0
		.amdhsa_exception_fp_denorm_src 0
		.amdhsa_exception_fp_ieee_div_zero 0
		.amdhsa_exception_fp_ieee_overflow 0
		.amdhsa_exception_fp_ieee_underflow 0
		.amdhsa_exception_fp_ieee_inexact 0
		.amdhsa_exception_int_div_zero 0
	.end_amdhsa_kernel
	.section	.text._ZN9rocsparseL19gebsrmvn_3xn_kernelILj128ELj4ELj8EfEEvi20rocsparse_direction_NS_24const_host_device_scalarIT2_EEPKiS6_PKS3_S8_S4_PS3_21rocsparse_index_base_b,"axG",@progbits,_ZN9rocsparseL19gebsrmvn_3xn_kernelILj128ELj4ELj8EfEEvi20rocsparse_direction_NS_24const_host_device_scalarIT2_EEPKiS6_PKS3_S8_S4_PS3_21rocsparse_index_base_b,comdat
.Lfunc_end11:
	.size	_ZN9rocsparseL19gebsrmvn_3xn_kernelILj128ELj4ELj8EfEEvi20rocsparse_direction_NS_24const_host_device_scalarIT2_EEPKiS6_PKS3_S8_S4_PS3_21rocsparse_index_base_b, .Lfunc_end11-_ZN9rocsparseL19gebsrmvn_3xn_kernelILj128ELj4ELj8EfEEvi20rocsparse_direction_NS_24const_host_device_scalarIT2_EEPKiS6_PKS3_S8_S4_PS3_21rocsparse_index_base_b
                                        ; -- End function
	.set _ZN9rocsparseL19gebsrmvn_3xn_kernelILj128ELj4ELj8EfEEvi20rocsparse_direction_NS_24const_host_device_scalarIT2_EEPKiS6_PKS3_S8_S4_PS3_21rocsparse_index_base_b.num_vgpr, 32
	.set _ZN9rocsparseL19gebsrmvn_3xn_kernelILj128ELj4ELj8EfEEvi20rocsparse_direction_NS_24const_host_device_scalarIT2_EEPKiS6_PKS3_S8_S4_PS3_21rocsparse_index_base_b.num_agpr, 0
	.set _ZN9rocsparseL19gebsrmvn_3xn_kernelILj128ELj4ELj8EfEEvi20rocsparse_direction_NS_24const_host_device_scalarIT2_EEPKiS6_PKS3_S8_S4_PS3_21rocsparse_index_base_b.numbered_sgpr, 20
	.set _ZN9rocsparseL19gebsrmvn_3xn_kernelILj128ELj4ELj8EfEEvi20rocsparse_direction_NS_24const_host_device_scalarIT2_EEPKiS6_PKS3_S8_S4_PS3_21rocsparse_index_base_b.num_named_barrier, 0
	.set _ZN9rocsparseL19gebsrmvn_3xn_kernelILj128ELj4ELj8EfEEvi20rocsparse_direction_NS_24const_host_device_scalarIT2_EEPKiS6_PKS3_S8_S4_PS3_21rocsparse_index_base_b.private_seg_size, 0
	.set _ZN9rocsparseL19gebsrmvn_3xn_kernelILj128ELj4ELj8EfEEvi20rocsparse_direction_NS_24const_host_device_scalarIT2_EEPKiS6_PKS3_S8_S4_PS3_21rocsparse_index_base_b.uses_vcc, 1
	.set _ZN9rocsparseL19gebsrmvn_3xn_kernelILj128ELj4ELj8EfEEvi20rocsparse_direction_NS_24const_host_device_scalarIT2_EEPKiS6_PKS3_S8_S4_PS3_21rocsparse_index_base_b.uses_flat_scratch, 0
	.set _ZN9rocsparseL19gebsrmvn_3xn_kernelILj128ELj4ELj8EfEEvi20rocsparse_direction_NS_24const_host_device_scalarIT2_EEPKiS6_PKS3_S8_S4_PS3_21rocsparse_index_base_b.has_dyn_sized_stack, 0
	.set _ZN9rocsparseL19gebsrmvn_3xn_kernelILj128ELj4ELj8EfEEvi20rocsparse_direction_NS_24const_host_device_scalarIT2_EEPKiS6_PKS3_S8_S4_PS3_21rocsparse_index_base_b.has_recursion, 0
	.set _ZN9rocsparseL19gebsrmvn_3xn_kernelILj128ELj4ELj8EfEEvi20rocsparse_direction_NS_24const_host_device_scalarIT2_EEPKiS6_PKS3_S8_S4_PS3_21rocsparse_index_base_b.has_indirect_call, 0
	.section	.AMDGPU.csdata,"",@progbits
; Kernel info:
; codeLenInByte = 1752
; TotalNumSgprs: 22
; NumVgprs: 32
; ScratchSize: 0
; MemoryBound: 0
; FloatMode: 240
; IeeeMode: 1
; LDSByteSize: 0 bytes/workgroup (compile time only)
; SGPRBlocks: 0
; VGPRBlocks: 3
; NumSGPRsForWavesPerEU: 22
; NumVGPRsForWavesPerEU: 32
; Occupancy: 16
; WaveLimiterHint : 1
; COMPUTE_PGM_RSRC2:SCRATCH_EN: 0
; COMPUTE_PGM_RSRC2:USER_SGPR: 6
; COMPUTE_PGM_RSRC2:TRAP_HANDLER: 0
; COMPUTE_PGM_RSRC2:TGID_X_EN: 1
; COMPUTE_PGM_RSRC2:TGID_Y_EN: 0
; COMPUTE_PGM_RSRC2:TGID_Z_EN: 0
; COMPUTE_PGM_RSRC2:TIDIG_COMP_CNT: 0
	.section	.text._ZN9rocsparseL19gebsrmvn_3xn_kernelILj128ELj4ELj16EfEEvi20rocsparse_direction_NS_24const_host_device_scalarIT2_EEPKiS6_PKS3_S8_S4_PS3_21rocsparse_index_base_b,"axG",@progbits,_ZN9rocsparseL19gebsrmvn_3xn_kernelILj128ELj4ELj16EfEEvi20rocsparse_direction_NS_24const_host_device_scalarIT2_EEPKiS6_PKS3_S8_S4_PS3_21rocsparse_index_base_b,comdat
	.globl	_ZN9rocsparseL19gebsrmvn_3xn_kernelILj128ELj4ELj16EfEEvi20rocsparse_direction_NS_24const_host_device_scalarIT2_EEPKiS6_PKS3_S8_S4_PS3_21rocsparse_index_base_b ; -- Begin function _ZN9rocsparseL19gebsrmvn_3xn_kernelILj128ELj4ELj16EfEEvi20rocsparse_direction_NS_24const_host_device_scalarIT2_EEPKiS6_PKS3_S8_S4_PS3_21rocsparse_index_base_b
	.p2align	8
	.type	_ZN9rocsparseL19gebsrmvn_3xn_kernelILj128ELj4ELj16EfEEvi20rocsparse_direction_NS_24const_host_device_scalarIT2_EEPKiS6_PKS3_S8_S4_PS3_21rocsparse_index_base_b,@function
_ZN9rocsparseL19gebsrmvn_3xn_kernelILj128ELj4ELj16EfEEvi20rocsparse_direction_NS_24const_host_device_scalarIT2_EEPKiS6_PKS3_S8_S4_PS3_21rocsparse_index_base_b: ; @_ZN9rocsparseL19gebsrmvn_3xn_kernelILj128ELj4ELj16EfEEvi20rocsparse_direction_NS_24const_host_device_scalarIT2_EEPKiS6_PKS3_S8_S4_PS3_21rocsparse_index_base_b
; %bb.0:
	s_clause 0x2
	s_load_dwordx2 s[18:19], s[4:5], 0x40
	s_load_dwordx2 s[16:17], s[4:5], 0x8
	;; [unrolled: 1-line block ×3, first 2 shown]
	s_waitcnt lgkmcnt(0)
	s_bitcmp1_b32 s19, 0
	s_cselect_b32 s0, -1, 0
	s_and_b32 vcc_lo, exec_lo, s0
	s_xor_b32 s0, s0, -1
	s_cbranch_vccnz .LBB12_2
; %bb.1:
	s_load_dword s16, s[16:17], 0x0
.LBB12_2:
	s_andn2_b32 vcc_lo, exec_lo, s0
	s_cbranch_vccnz .LBB12_4
; %bb.3:
	s_load_dword s2, s[2:3], 0x0
.LBB12_4:
	s_waitcnt lgkmcnt(0)
	v_cmp_eq_f32_e64 s0, s16, 0
	v_cmp_eq_f32_e64 s1, s2, 1.0
	s_and_b32 s0, s0, s1
	s_and_b32 vcc_lo, exec_lo, s0
	s_cbranch_vccnz .LBB12_23
; %bb.5:
	s_load_dwordx2 s[0:1], s[4:5], 0x0
	v_lshrrev_b32_e32 v1, 4, v0
	v_lshl_or_b32 v1, s6, 3, v1
	s_waitcnt lgkmcnt(0)
	v_cmp_gt_i32_e32 vcc_lo, s0, v1
	s_and_saveexec_b32 s0, vcc_lo
	s_cbranch_execz .LBB12_23
; %bb.6:
	s_load_dwordx8 s[8:15], s[4:5], 0x10
	v_ashrrev_i32_e32 v2, 31, v1
	v_and_b32_e32 v0, 15, v0
	s_cmp_lg_u32 s1, 0
	v_lshlrev_b64 v[2:3], 2, v[1:2]
	s_waitcnt lgkmcnt(0)
	v_add_co_u32 v2, vcc_lo, s8, v2
	v_add_co_ci_u32_e64 v3, null, s9, v3, vcc_lo
	global_load_dwordx2 v[2:3], v[2:3], off
	s_waitcnt vmcnt(0)
	v_subrev_nc_u32_e32 v2, s18, v2
	v_subrev_nc_u32_e32 v12, s18, v3
	v_add_nc_u32_e32 v2, v2, v0
	v_cmp_lt_i32_e64 s0, v2, v12
	s_cbranch_scc0 .LBB12_12
; %bb.7:
	v_mov_b32_e32 v9, 0
	v_mov_b32_e32 v10, 0
	;; [unrolled: 1-line block ×3, first 2 shown]
	s_and_saveexec_b32 s3, s0
	s_cbranch_execz .LBB12_11
; %bb.8:
	v_mad_u64_u32 v[3:4], null, v2, 12, 11
	v_mov_b32_e32 v6, 0
	v_mov_b32_e32 v7, v2
	v_mov_b32_e32 v9, 0
	v_mov_b32_e32 v10, 0
	v_mov_b32_e32 v11, 0
	s_mov_b32 s6, 0
.LBB12_9:                               ; =>This Inner Loop Header: Depth=1
	v_ashrrev_i32_e32 v8, 31, v7
	v_mov_b32_e32 v18, v6
	v_lshlrev_b64 v[4:5], 2, v[7:8]
	v_add_nc_u32_e32 v7, 16, v7
	v_add_co_u32 v4, vcc_lo, s10, v4
	v_add_co_ci_u32_e64 v5, null, s11, v5, vcc_lo
	global_load_dword v8, v[4:5], off
	v_add_nc_u32_e32 v5, -11, v3
	v_mov_b32_e32 v4, v6
	v_lshlrev_b64 v[13:14], 2, v[5:6]
	v_add_nc_u32_e32 v5, -7, v3
	v_lshlrev_b64 v[15:16], 2, v[3:4]
	v_lshlrev_b64 v[19:20], 2, v[5:6]
	v_add_nc_u32_e32 v5, -6, v3
	v_add_co_u32 v13, vcc_lo, s12, v13
	v_add_co_ci_u32_e64 v14, null, s13, v14, vcc_lo
	v_lshlrev_b64 v[23:24], 2, v[5:6]
	v_add_co_u32 v21, vcc_lo, s12, v15
	v_add_nc_u32_e32 v5, -5, v3
	v_add_co_ci_u32_e64 v22, null, s13, v16, vcc_lo
	v_add_co_u32 v19, vcc_lo, s12, v19
	v_add_co_ci_u32_e64 v20, null, s13, v20, vcc_lo
	v_add_co_u32 v23, vcc_lo, s12, v23
	v_lshlrev_b64 v[25:26], 2, v[5:6]
	v_add_nc_u32_e32 v5, -4, v3
	v_add_co_ci_u32_e64 v24, null, s13, v24, vcc_lo
	s_clause 0x2
	global_load_dwordx4 v[13:16], v[13:14], off
	global_load_dword v27, v[19:20], off
	global_load_dword v28, v[23:24], off
	v_lshlrev_b64 v[19:20], 2, v[5:6]
	v_add_nc_u32_e32 v5, -3, v3
	v_add_co_u32 v23, vcc_lo, s12, v25
	v_add_co_ci_u32_e64 v24, null, s13, v26, vcc_lo
	v_lshlrev_b64 v[25:26], 2, v[5:6]
	v_add_co_u32 v19, vcc_lo, s12, v19
	v_add_nc_u32_e32 v5, -2, v3
	v_add_co_ci_u32_e64 v20, null, s13, v20, vcc_lo
	v_add_co_u32 v25, vcc_lo, s12, v25
	v_add_co_ci_u32_e64 v26, null, s13, v26, vcc_lo
	s_clause 0x1
	global_load_dword v29, v[23:24], off
	global_load_dword v30, v[19:20], off
	v_lshlrev_b64 v[23:24], 2, v[5:6]
	v_add_nc_u32_e32 v5, -1, v3
	v_add_nc_u32_e32 v3, 0xc0, v3
	v_add_co_u32 v23, vcc_lo, s12, v23
	v_add_co_ci_u32_e64 v24, null, s13, v24, vcc_lo
	s_waitcnt vmcnt(5)
	v_subrev_nc_u32_e32 v4, s18, v8
	v_lshlrev_b32_e32 v17, 2, v4
	v_lshlrev_b64 v[4:5], 2, v[5:6]
	v_lshlrev_b64 v[17:18], 2, v[17:18]
	v_add_co_u32 v4, vcc_lo, s12, v4
	v_add_co_ci_u32_e64 v5, null, s13, v5, vcc_lo
	v_add_co_u32 v17, s1, s14, v17
	v_add_co_ci_u32_e64 v18, null, s15, v18, s1
	v_cmp_ge_i32_e32 vcc_lo, v7, v12
	global_load_dwordx4 v[17:20], v[17:18], off
	s_clause 0x3
	global_load_dword v8, v[25:26], off
	global_load_dword v23, v[23:24], off
	;; [unrolled: 1-line block ×4, first 2 shown]
	s_or_b32 s6, vcc_lo, s6
	s_waitcnt vmcnt(4)
	v_fmac_f32_e32 v9, v13, v17
	v_fmac_f32_e32 v11, v14, v17
	;; [unrolled: 1-line block ×8, first 2 shown]
	s_waitcnt vmcnt(3)
	v_fmac_f32_e32 v10, v8, v19
	s_waitcnt vmcnt(2)
	v_fmac_f32_e32 v9, v23, v20
	s_waitcnt vmcnt(1)
	v_fmac_f32_e32 v11, v4, v20
	s_waitcnt vmcnt(0)
	v_fmac_f32_e32 v10, v5, v20
	s_andn2_b32 exec_lo, exec_lo, s6
	s_cbranch_execnz .LBB12_9
; %bb.10:
	s_or_b32 exec_lo, exec_lo, s6
.LBB12_11:
	s_or_b32 exec_lo, exec_lo, s3
	s_cbranch_execz .LBB12_13
	s_branch .LBB12_18
.LBB12_12:
                                        ; implicit-def: $vgpr9
                                        ; implicit-def: $vgpr10
                                        ; implicit-def: $vgpr11
.LBB12_13:
	v_mov_b32_e32 v9, 0
	v_mov_b32_e32 v10, 0
	;; [unrolled: 1-line block ×3, first 2 shown]
	s_and_saveexec_b32 s1, s0
	s_cbranch_execz .LBB12_17
; %bb.14:
	v_mad_u64_u32 v[4:5], null, v2, 12, 11
	v_mov_b32_e32 v7, 0
	v_mov_b32_e32 v9, 0
	;; [unrolled: 1-line block ×4, first 2 shown]
	s_mov_b32 s3, 0
.LBB12_15:                              ; =>This Inner Loop Header: Depth=1
	v_ashrrev_i32_e32 v3, 31, v2
	v_add_nc_u32_e32 v13, -7, v4
	v_mov_b32_e32 v14, v7
	v_add_nc_u32_e32 v15, -3, v4
	v_mov_b32_e32 v16, v7
	v_lshlrev_b64 v[5:6], 2, v[2:3]
	v_mov_b32_e32 v18, v7
	v_lshlrev_b64 v[13:14], 2, v[13:14]
	v_add_nc_u32_e32 v2, 16, v2
	v_lshlrev_b64 v[15:16], 2, v[15:16]
	v_add_co_u32 v5, vcc_lo, s10, v5
	v_add_co_ci_u32_e64 v6, null, s11, v6, vcc_lo
	global_load_dword v3, v[5:6], off
	v_add_nc_u32_e32 v6, -11, v4
	v_mov_b32_e32 v5, v7
	v_lshlrev_b64 v[19:20], 2, v[6:7]
	v_add_nc_u32_e32 v6, -6, v4
	v_lshlrev_b64 v[21:22], 2, v[4:5]
	v_lshlrev_b64 v[23:24], 2, v[6:7]
	v_add_co_u32 v19, vcc_lo, s12, v19
	v_add_nc_u32_e32 v6, -2, v4
	v_add_co_ci_u32_e64 v20, null, s13, v20, vcc_lo
	v_add_co_u32 v25, vcc_lo, s12, v13
	v_add_co_ci_u32_e64 v26, null, s13, v14, vcc_lo
	v_add_co_u32 v27, vcc_lo, s12, v15
	v_add_co_ci_u32_e64 v28, null, s13, v16, vcc_lo
	v_lshlrev_b64 v[29:30], 2, v[6:7]
	v_add_nc_u32_e32 v6, -5, v4
	v_add_co_u32 v21, vcc_lo, s12, v21
	v_add_co_ci_u32_e64 v22, null, s13, v22, vcc_lo
	s_clause 0x2
	global_load_dwordx4 v[13:16], v[19:20], off
	global_load_dword v8, v[25:26], off
	global_load_dword v31, v[27:28], off
	v_add_co_u32 v19, vcc_lo, s12, v23
	v_add_co_ci_u32_e64 v20, null, s13, v24, vcc_lo
	v_lshlrev_b64 v[23:24], 2, v[6:7]
	v_add_nc_u32_e32 v6, -1, v4
	v_add_co_u32 v25, vcc_lo, s12, v29
	v_add_co_ci_u32_e64 v26, null, s13, v30, vcc_lo
	v_lshlrev_b64 v[27:28], 2, v[6:7]
	v_add_nc_u32_e32 v6, -4, v4
	v_add_co_u32 v23, vcc_lo, s12, v23
	v_add_co_ci_u32_e64 v24, null, s13, v24, vcc_lo
	v_lshlrev_b64 v[5:6], 2, v[6:7]
	s_clause 0x1
	global_load_dword v29, v[19:20], off
	global_load_dword v25, v[25:26], off
	v_add_nc_u32_e32 v4, 0xc0, v4
	s_waitcnt vmcnt(5)
	v_subrev_nc_u32_e32 v3, s18, v3
	v_lshlrev_b32_e32 v17, 2, v3
	v_lshlrev_b64 v[17:18], 2, v[17:18]
	v_add_co_u32 v17, s0, s14, v17
	v_add_co_ci_u32_e64 v18, null, s15, v18, s0
	global_load_dwordx4 v[17:20], v[17:18], off
	global_load_dword v3, v[23:24], off
	v_add_co_u32 v23, vcc_lo, s12, v27
	v_add_co_ci_u32_e64 v24, null, s13, v28, vcc_lo
	v_add_co_u32 v5, vcc_lo, s12, v5
	v_add_co_ci_u32_e64 v6, null, s13, v6, vcc_lo
	s_clause 0x2
	global_load_dword v23, v[23:24], off
	global_load_dword v5, v[5:6], off
	;; [unrolled: 1-line block ×3, first 2 shown]
	v_cmp_ge_i32_e32 vcc_lo, v2, v12
	s_or_b32 s3, vcc_lo, s3
	s_waitcnt vmcnt(4)
	v_fmac_f32_e32 v9, v13, v17
	v_fmac_f32_e32 v11, v8, v17
	;; [unrolled: 1-line block ×7, first 2 shown]
	s_waitcnt vmcnt(3)
	v_fmac_f32_e32 v11, v3, v19
	s_waitcnt vmcnt(2)
	v_fmac_f32_e32 v10, v23, v19
	v_fmac_f32_e32 v9, v16, v20
	s_waitcnt vmcnt(1)
	v_fmac_f32_e32 v11, v5, v20
	s_waitcnt vmcnt(0)
	v_fmac_f32_e32 v10, v6, v20
	s_andn2_b32 exec_lo, exec_lo, s3
	s_cbranch_execnz .LBB12_15
; %bb.16:
	s_or_b32 exec_lo, exec_lo, s3
.LBB12_17:
	s_or_b32 exec_lo, exec_lo, s1
.LBB12_18:
	v_mbcnt_lo_u32_b32 v2, -1, 0
	s_mov_b32 s3, -1
	v_xor_b32_e32 v3, 8, v2
	v_xor_b32_e32 v6, 4, v2
	v_cmp_gt_i32_e32 vcc_lo, 32, v3
	v_cndmask_b32_e32 v3, v2, v3, vcc_lo
	v_cmp_gt_i32_e32 vcc_lo, 32, v6
	v_lshlrev_b32_e32 v3, 2, v3
	v_cndmask_b32_e32 v6, v2, v6, vcc_lo
	ds_bpermute_b32 v4, v3, v9
	ds_bpermute_b32 v5, v3, v11
	;; [unrolled: 1-line block ×3, first 2 shown]
	v_lshlrev_b32_e32 v6, 2, v6
	s_waitcnt lgkmcnt(2)
	v_add_f32_e32 v4, v9, v4
	s_waitcnt lgkmcnt(1)
	v_add_f32_e32 v5, v11, v5
	;; [unrolled: 2-line block ×3, first 2 shown]
	v_xor_b32_e32 v9, 2, v2
	ds_bpermute_b32 v7, v6, v4
	ds_bpermute_b32 v8, v6, v5
	;; [unrolled: 1-line block ×3, first 2 shown]
	v_cmp_gt_i32_e32 vcc_lo, 32, v9
	v_cndmask_b32_e32 v9, v2, v9, vcc_lo
	v_lshlrev_b32_e32 v9, 2, v9
	s_waitcnt lgkmcnt(2)
	v_add_f32_e32 v4, v4, v7
	s_waitcnt lgkmcnt(1)
	v_add_f32_e32 v5, v5, v8
	;; [unrolled: 2-line block ×3, first 2 shown]
	ds_bpermute_b32 v3, v9, v4
	ds_bpermute_b32 v7, v9, v5
	;; [unrolled: 1-line block ×3, first 2 shown]
	v_xor_b32_e32 v9, 1, v2
	v_cmp_gt_i32_e32 vcc_lo, 32, v9
	v_cndmask_b32_e32 v2, v2, v9, vcc_lo
	v_cmp_eq_u32_e32 vcc_lo, 15, v0
	v_lshlrev_b32_e32 v9, 2, v2
	s_waitcnt lgkmcnt(2)
	v_add_f32_e32 v2, v4, v3
	s_waitcnt lgkmcnt(1)
	v_add_f32_e32 v3, v5, v7
	;; [unrolled: 2-line block ×3, first 2 shown]
	ds_bpermute_b32 v5, v9, v2
	ds_bpermute_b32 v6, v9, v3
	;; [unrolled: 1-line block ×3, first 2 shown]
	s_and_b32 exec_lo, exec_lo, vcc_lo
	s_cbranch_execz .LBB12_23
; %bb.19:
	s_load_dwordx2 s[0:1], s[4:5], 0x38
	s_waitcnt lgkmcnt(0)
	v_add_f32_e32 v0, v2, v5
	v_add_f32_e32 v2, v3, v6
	;; [unrolled: 1-line block ×3, first 2 shown]
	v_lshl_add_u32 v3, v1, 1, v1
	v_cmp_eq_f32_e64 s4, s2, 0
	v_mul_f32_e32 v0, s16, v0
	v_mul_f32_e32 v1, s16, v2
	;; [unrolled: 1-line block ×3, first 2 shown]
	v_ashrrev_i32_e32 v4, 31, v3
	s_and_b32 vcc_lo, exec_lo, s4
	s_cbranch_vccz .LBB12_21
; %bb.20:
	v_lshlrev_b64 v[5:6], 2, v[3:4]
	s_mov_b32 s3, 0
	v_add_co_u32 v5, vcc_lo, s0, v5
	v_add_co_ci_u32_e64 v6, null, s1, v6, vcc_lo
	global_store_dwordx3 v[5:6], v[0:2], off
.LBB12_21:
	s_andn2_b32 vcc_lo, exec_lo, s3
	s_cbranch_vccnz .LBB12_23
; %bb.22:
	v_lshlrev_b64 v[3:4], 2, v[3:4]
	v_add_co_u32 v6, vcc_lo, s0, v3
	v_add_co_ci_u32_e64 v7, null, s1, v4, vcc_lo
	global_load_dwordx3 v[3:5], v[6:7], off
	s_waitcnt vmcnt(0)
	v_fmac_f32_e32 v0, s2, v3
	v_fmac_f32_e32 v1, s2, v4
	;; [unrolled: 1-line block ×3, first 2 shown]
	global_store_dwordx3 v[6:7], v[0:2], off
.LBB12_23:
	s_endpgm
	.section	.rodata,"a",@progbits
	.p2align	6, 0x0
	.amdhsa_kernel _ZN9rocsparseL19gebsrmvn_3xn_kernelILj128ELj4ELj16EfEEvi20rocsparse_direction_NS_24const_host_device_scalarIT2_EEPKiS6_PKS3_S8_S4_PS3_21rocsparse_index_base_b
		.amdhsa_group_segment_fixed_size 0
		.amdhsa_private_segment_fixed_size 0
		.amdhsa_kernarg_size 72
		.amdhsa_user_sgpr_count 6
		.amdhsa_user_sgpr_private_segment_buffer 1
		.amdhsa_user_sgpr_dispatch_ptr 0
		.amdhsa_user_sgpr_queue_ptr 0
		.amdhsa_user_sgpr_kernarg_segment_ptr 1
		.amdhsa_user_sgpr_dispatch_id 0
		.amdhsa_user_sgpr_flat_scratch_init 0
		.amdhsa_user_sgpr_private_segment_size 0
		.amdhsa_wavefront_size32 1
		.amdhsa_uses_dynamic_stack 0
		.amdhsa_system_sgpr_private_segment_wavefront_offset 0
		.amdhsa_system_sgpr_workgroup_id_x 1
		.amdhsa_system_sgpr_workgroup_id_y 0
		.amdhsa_system_sgpr_workgroup_id_z 0
		.amdhsa_system_sgpr_workgroup_info 0
		.amdhsa_system_vgpr_workitem_id 0
		.amdhsa_next_free_vgpr 32
		.amdhsa_next_free_sgpr 20
		.amdhsa_reserve_vcc 1
		.amdhsa_reserve_flat_scratch 0
		.amdhsa_float_round_mode_32 0
		.amdhsa_float_round_mode_16_64 0
		.amdhsa_float_denorm_mode_32 3
		.amdhsa_float_denorm_mode_16_64 3
		.amdhsa_dx10_clamp 1
		.amdhsa_ieee_mode 1
		.amdhsa_fp16_overflow 0
		.amdhsa_workgroup_processor_mode 1
		.amdhsa_memory_ordered 1
		.amdhsa_forward_progress 1
		.amdhsa_shared_vgpr_count 0
		.amdhsa_exception_fp_ieee_invalid_op 0
		.amdhsa_exception_fp_denorm_src 0
		.amdhsa_exception_fp_ieee_div_zero 0
		.amdhsa_exception_fp_ieee_overflow 0
		.amdhsa_exception_fp_ieee_underflow 0
		.amdhsa_exception_fp_ieee_inexact 0
		.amdhsa_exception_int_div_zero 0
	.end_amdhsa_kernel
	.section	.text._ZN9rocsparseL19gebsrmvn_3xn_kernelILj128ELj4ELj16EfEEvi20rocsparse_direction_NS_24const_host_device_scalarIT2_EEPKiS6_PKS3_S8_S4_PS3_21rocsparse_index_base_b,"axG",@progbits,_ZN9rocsparseL19gebsrmvn_3xn_kernelILj128ELj4ELj16EfEEvi20rocsparse_direction_NS_24const_host_device_scalarIT2_EEPKiS6_PKS3_S8_S4_PS3_21rocsparse_index_base_b,comdat
.Lfunc_end12:
	.size	_ZN9rocsparseL19gebsrmvn_3xn_kernelILj128ELj4ELj16EfEEvi20rocsparse_direction_NS_24const_host_device_scalarIT2_EEPKiS6_PKS3_S8_S4_PS3_21rocsparse_index_base_b, .Lfunc_end12-_ZN9rocsparseL19gebsrmvn_3xn_kernelILj128ELj4ELj16EfEEvi20rocsparse_direction_NS_24const_host_device_scalarIT2_EEPKiS6_PKS3_S8_S4_PS3_21rocsparse_index_base_b
                                        ; -- End function
	.set _ZN9rocsparseL19gebsrmvn_3xn_kernelILj128ELj4ELj16EfEEvi20rocsparse_direction_NS_24const_host_device_scalarIT2_EEPKiS6_PKS3_S8_S4_PS3_21rocsparse_index_base_b.num_vgpr, 32
	.set _ZN9rocsparseL19gebsrmvn_3xn_kernelILj128ELj4ELj16EfEEvi20rocsparse_direction_NS_24const_host_device_scalarIT2_EEPKiS6_PKS3_S8_S4_PS3_21rocsparse_index_base_b.num_agpr, 0
	.set _ZN9rocsparseL19gebsrmvn_3xn_kernelILj128ELj4ELj16EfEEvi20rocsparse_direction_NS_24const_host_device_scalarIT2_EEPKiS6_PKS3_S8_S4_PS3_21rocsparse_index_base_b.numbered_sgpr, 20
	.set _ZN9rocsparseL19gebsrmvn_3xn_kernelILj128ELj4ELj16EfEEvi20rocsparse_direction_NS_24const_host_device_scalarIT2_EEPKiS6_PKS3_S8_S4_PS3_21rocsparse_index_base_b.num_named_barrier, 0
	.set _ZN9rocsparseL19gebsrmvn_3xn_kernelILj128ELj4ELj16EfEEvi20rocsparse_direction_NS_24const_host_device_scalarIT2_EEPKiS6_PKS3_S8_S4_PS3_21rocsparse_index_base_b.private_seg_size, 0
	.set _ZN9rocsparseL19gebsrmvn_3xn_kernelILj128ELj4ELj16EfEEvi20rocsparse_direction_NS_24const_host_device_scalarIT2_EEPKiS6_PKS3_S8_S4_PS3_21rocsparse_index_base_b.uses_vcc, 1
	.set _ZN9rocsparseL19gebsrmvn_3xn_kernelILj128ELj4ELj16EfEEvi20rocsparse_direction_NS_24const_host_device_scalarIT2_EEPKiS6_PKS3_S8_S4_PS3_21rocsparse_index_base_b.uses_flat_scratch, 0
	.set _ZN9rocsparseL19gebsrmvn_3xn_kernelILj128ELj4ELj16EfEEvi20rocsparse_direction_NS_24const_host_device_scalarIT2_EEPKiS6_PKS3_S8_S4_PS3_21rocsparse_index_base_b.has_dyn_sized_stack, 0
	.set _ZN9rocsparseL19gebsrmvn_3xn_kernelILj128ELj4ELj16EfEEvi20rocsparse_direction_NS_24const_host_device_scalarIT2_EEPKiS6_PKS3_S8_S4_PS3_21rocsparse_index_base_b.has_recursion, 0
	.set _ZN9rocsparseL19gebsrmvn_3xn_kernelILj128ELj4ELj16EfEEvi20rocsparse_direction_NS_24const_host_device_scalarIT2_EEPKiS6_PKS3_S8_S4_PS3_21rocsparse_index_base_b.has_indirect_call, 0
	.section	.AMDGPU.csdata,"",@progbits
; Kernel info:
; codeLenInByte = 1816
; TotalNumSgprs: 22
; NumVgprs: 32
; ScratchSize: 0
; MemoryBound: 0
; FloatMode: 240
; IeeeMode: 1
; LDSByteSize: 0 bytes/workgroup (compile time only)
; SGPRBlocks: 0
; VGPRBlocks: 3
; NumSGPRsForWavesPerEU: 22
; NumVGPRsForWavesPerEU: 32
; Occupancy: 16
; WaveLimiterHint : 1
; COMPUTE_PGM_RSRC2:SCRATCH_EN: 0
; COMPUTE_PGM_RSRC2:USER_SGPR: 6
; COMPUTE_PGM_RSRC2:TRAP_HANDLER: 0
; COMPUTE_PGM_RSRC2:TGID_X_EN: 1
; COMPUTE_PGM_RSRC2:TGID_Y_EN: 0
; COMPUTE_PGM_RSRC2:TGID_Z_EN: 0
; COMPUTE_PGM_RSRC2:TIDIG_COMP_CNT: 0
	.section	.text._ZN9rocsparseL19gebsrmvn_3xn_kernelILj128ELj4ELj32EfEEvi20rocsparse_direction_NS_24const_host_device_scalarIT2_EEPKiS6_PKS3_S8_S4_PS3_21rocsparse_index_base_b,"axG",@progbits,_ZN9rocsparseL19gebsrmvn_3xn_kernelILj128ELj4ELj32EfEEvi20rocsparse_direction_NS_24const_host_device_scalarIT2_EEPKiS6_PKS3_S8_S4_PS3_21rocsparse_index_base_b,comdat
	.globl	_ZN9rocsparseL19gebsrmvn_3xn_kernelILj128ELj4ELj32EfEEvi20rocsparse_direction_NS_24const_host_device_scalarIT2_EEPKiS6_PKS3_S8_S4_PS3_21rocsparse_index_base_b ; -- Begin function _ZN9rocsparseL19gebsrmvn_3xn_kernelILj128ELj4ELj32EfEEvi20rocsparse_direction_NS_24const_host_device_scalarIT2_EEPKiS6_PKS3_S8_S4_PS3_21rocsparse_index_base_b
	.p2align	8
	.type	_ZN9rocsparseL19gebsrmvn_3xn_kernelILj128ELj4ELj32EfEEvi20rocsparse_direction_NS_24const_host_device_scalarIT2_EEPKiS6_PKS3_S8_S4_PS3_21rocsparse_index_base_b,@function
_ZN9rocsparseL19gebsrmvn_3xn_kernelILj128ELj4ELj32EfEEvi20rocsparse_direction_NS_24const_host_device_scalarIT2_EEPKiS6_PKS3_S8_S4_PS3_21rocsparse_index_base_b: ; @_ZN9rocsparseL19gebsrmvn_3xn_kernelILj128ELj4ELj32EfEEvi20rocsparse_direction_NS_24const_host_device_scalarIT2_EEPKiS6_PKS3_S8_S4_PS3_21rocsparse_index_base_b
; %bb.0:
	s_clause 0x2
	s_load_dwordx2 s[18:19], s[4:5], 0x40
	s_load_dwordx2 s[16:17], s[4:5], 0x8
	;; [unrolled: 1-line block ×3, first 2 shown]
	s_waitcnt lgkmcnt(0)
	s_bitcmp1_b32 s19, 0
	s_cselect_b32 s0, -1, 0
	s_and_b32 vcc_lo, exec_lo, s0
	s_xor_b32 s0, s0, -1
	s_cbranch_vccnz .LBB13_2
; %bb.1:
	s_load_dword s16, s[16:17], 0x0
.LBB13_2:
	s_andn2_b32 vcc_lo, exec_lo, s0
	s_cbranch_vccnz .LBB13_4
; %bb.3:
	s_load_dword s2, s[2:3], 0x0
.LBB13_4:
	s_waitcnt lgkmcnt(0)
	v_cmp_eq_f32_e64 s0, s16, 0
	v_cmp_eq_f32_e64 s1, s2, 1.0
	s_and_b32 s0, s0, s1
	s_and_b32 vcc_lo, exec_lo, s0
	s_cbranch_vccnz .LBB13_23
; %bb.5:
	s_load_dwordx2 s[0:1], s[4:5], 0x0
	v_lshrrev_b32_e32 v1, 5, v0
	v_lshl_or_b32 v1, s6, 2, v1
	s_waitcnt lgkmcnt(0)
	v_cmp_gt_i32_e32 vcc_lo, s0, v1
	s_and_saveexec_b32 s0, vcc_lo
	s_cbranch_execz .LBB13_23
; %bb.6:
	s_load_dwordx8 s[8:15], s[4:5], 0x10
	v_ashrrev_i32_e32 v2, 31, v1
	v_and_b32_e32 v0, 31, v0
	s_cmp_lg_u32 s1, 0
	v_lshlrev_b64 v[2:3], 2, v[1:2]
	s_waitcnt lgkmcnt(0)
	v_add_co_u32 v2, vcc_lo, s8, v2
	v_add_co_ci_u32_e64 v3, null, s9, v3, vcc_lo
	global_load_dwordx2 v[2:3], v[2:3], off
	s_waitcnt vmcnt(0)
	v_subrev_nc_u32_e32 v2, s18, v2
	v_subrev_nc_u32_e32 v12, s18, v3
	v_add_nc_u32_e32 v2, v2, v0
	v_cmp_lt_i32_e64 s0, v2, v12
	s_cbranch_scc0 .LBB13_12
; %bb.7:
	v_mov_b32_e32 v9, 0
	v_mov_b32_e32 v10, 0
	v_mov_b32_e32 v11, 0
	s_and_saveexec_b32 s3, s0
	s_cbranch_execz .LBB13_11
; %bb.8:
	v_mad_u64_u32 v[3:4], null, v2, 12, 11
	v_mov_b32_e32 v6, 0
	v_mov_b32_e32 v7, v2
	;; [unrolled: 1-line block ×5, first 2 shown]
	s_mov_b32 s6, 0
.LBB13_9:                               ; =>This Inner Loop Header: Depth=1
	v_ashrrev_i32_e32 v8, 31, v7
	v_mov_b32_e32 v18, v6
	v_lshlrev_b64 v[4:5], 2, v[7:8]
	v_add_nc_u32_e32 v7, 32, v7
	v_add_co_u32 v4, vcc_lo, s10, v4
	v_add_co_ci_u32_e64 v5, null, s11, v5, vcc_lo
	global_load_dword v8, v[4:5], off
	v_add_nc_u32_e32 v5, -11, v3
	v_mov_b32_e32 v4, v6
	v_lshlrev_b64 v[13:14], 2, v[5:6]
	v_add_nc_u32_e32 v5, -7, v3
	v_lshlrev_b64 v[15:16], 2, v[3:4]
	v_lshlrev_b64 v[19:20], 2, v[5:6]
	v_add_nc_u32_e32 v5, -6, v3
	v_add_co_u32 v13, vcc_lo, s12, v13
	v_add_co_ci_u32_e64 v14, null, s13, v14, vcc_lo
	v_lshlrev_b64 v[23:24], 2, v[5:6]
	v_add_co_u32 v21, vcc_lo, s12, v15
	v_add_nc_u32_e32 v5, -5, v3
	v_add_co_ci_u32_e64 v22, null, s13, v16, vcc_lo
	v_add_co_u32 v19, vcc_lo, s12, v19
	v_add_co_ci_u32_e64 v20, null, s13, v20, vcc_lo
	v_add_co_u32 v23, vcc_lo, s12, v23
	v_lshlrev_b64 v[25:26], 2, v[5:6]
	v_add_nc_u32_e32 v5, -4, v3
	v_add_co_ci_u32_e64 v24, null, s13, v24, vcc_lo
	s_clause 0x2
	global_load_dwordx4 v[13:16], v[13:14], off
	global_load_dword v27, v[19:20], off
	global_load_dword v28, v[23:24], off
	v_lshlrev_b64 v[19:20], 2, v[5:6]
	v_add_nc_u32_e32 v5, -3, v3
	v_add_co_u32 v23, vcc_lo, s12, v25
	v_add_co_ci_u32_e64 v24, null, s13, v26, vcc_lo
	v_lshlrev_b64 v[25:26], 2, v[5:6]
	v_add_co_u32 v19, vcc_lo, s12, v19
	v_add_nc_u32_e32 v5, -2, v3
	v_add_co_ci_u32_e64 v20, null, s13, v20, vcc_lo
	v_add_co_u32 v25, vcc_lo, s12, v25
	v_add_co_ci_u32_e64 v26, null, s13, v26, vcc_lo
	s_clause 0x1
	global_load_dword v29, v[23:24], off
	global_load_dword v30, v[19:20], off
	v_lshlrev_b64 v[23:24], 2, v[5:6]
	v_add_nc_u32_e32 v5, -1, v3
	v_add_nc_u32_e32 v3, 0x180, v3
	v_add_co_u32 v23, vcc_lo, s12, v23
	v_add_co_ci_u32_e64 v24, null, s13, v24, vcc_lo
	s_waitcnt vmcnt(5)
	v_subrev_nc_u32_e32 v4, s18, v8
	v_lshlrev_b32_e32 v17, 2, v4
	v_lshlrev_b64 v[4:5], 2, v[5:6]
	v_lshlrev_b64 v[17:18], 2, v[17:18]
	v_add_co_u32 v4, vcc_lo, s12, v4
	v_add_co_ci_u32_e64 v5, null, s13, v5, vcc_lo
	v_add_co_u32 v17, s1, s14, v17
	v_add_co_ci_u32_e64 v18, null, s15, v18, s1
	v_cmp_ge_i32_e32 vcc_lo, v7, v12
	global_load_dwordx4 v[17:20], v[17:18], off
	s_clause 0x3
	global_load_dword v8, v[25:26], off
	global_load_dword v23, v[23:24], off
	;; [unrolled: 1-line block ×4, first 2 shown]
	s_or_b32 s6, vcc_lo, s6
	s_waitcnt vmcnt(4)
	v_fmac_f32_e32 v9, v13, v17
	v_fmac_f32_e32 v11, v14, v17
	;; [unrolled: 1-line block ×8, first 2 shown]
	s_waitcnt vmcnt(3)
	v_fmac_f32_e32 v10, v8, v19
	s_waitcnt vmcnt(2)
	v_fmac_f32_e32 v9, v23, v20
	;; [unrolled: 2-line block ×4, first 2 shown]
	s_andn2_b32 exec_lo, exec_lo, s6
	s_cbranch_execnz .LBB13_9
; %bb.10:
	s_or_b32 exec_lo, exec_lo, s6
.LBB13_11:
	s_or_b32 exec_lo, exec_lo, s3
	s_cbranch_execz .LBB13_13
	s_branch .LBB13_18
.LBB13_12:
                                        ; implicit-def: $vgpr9
                                        ; implicit-def: $vgpr10
                                        ; implicit-def: $vgpr11
.LBB13_13:
	v_mov_b32_e32 v9, 0
	v_mov_b32_e32 v10, 0
	;; [unrolled: 1-line block ×3, first 2 shown]
	s_and_saveexec_b32 s1, s0
	s_cbranch_execz .LBB13_17
; %bb.14:
	v_mad_u64_u32 v[4:5], null, v2, 12, 11
	v_mov_b32_e32 v7, 0
	v_mov_b32_e32 v9, 0
	;; [unrolled: 1-line block ×4, first 2 shown]
	s_mov_b32 s3, 0
.LBB13_15:                              ; =>This Inner Loop Header: Depth=1
	v_ashrrev_i32_e32 v3, 31, v2
	v_add_nc_u32_e32 v13, -7, v4
	v_mov_b32_e32 v14, v7
	v_add_nc_u32_e32 v15, -3, v4
	v_mov_b32_e32 v16, v7
	v_lshlrev_b64 v[5:6], 2, v[2:3]
	v_mov_b32_e32 v18, v7
	v_lshlrev_b64 v[13:14], 2, v[13:14]
	v_add_nc_u32_e32 v2, 32, v2
	v_lshlrev_b64 v[15:16], 2, v[15:16]
	v_add_co_u32 v5, vcc_lo, s10, v5
	v_add_co_ci_u32_e64 v6, null, s11, v6, vcc_lo
	global_load_dword v3, v[5:6], off
	v_add_nc_u32_e32 v6, -11, v4
	v_mov_b32_e32 v5, v7
	v_lshlrev_b64 v[19:20], 2, v[6:7]
	v_add_nc_u32_e32 v6, -6, v4
	v_lshlrev_b64 v[21:22], 2, v[4:5]
	v_lshlrev_b64 v[23:24], 2, v[6:7]
	v_add_co_u32 v19, vcc_lo, s12, v19
	v_add_nc_u32_e32 v6, -2, v4
	v_add_co_ci_u32_e64 v20, null, s13, v20, vcc_lo
	v_add_co_u32 v25, vcc_lo, s12, v13
	v_add_co_ci_u32_e64 v26, null, s13, v14, vcc_lo
	v_add_co_u32 v27, vcc_lo, s12, v15
	v_add_co_ci_u32_e64 v28, null, s13, v16, vcc_lo
	v_lshlrev_b64 v[29:30], 2, v[6:7]
	v_add_nc_u32_e32 v6, -5, v4
	v_add_co_u32 v21, vcc_lo, s12, v21
	v_add_co_ci_u32_e64 v22, null, s13, v22, vcc_lo
	s_clause 0x2
	global_load_dwordx4 v[13:16], v[19:20], off
	global_load_dword v8, v[25:26], off
	global_load_dword v31, v[27:28], off
	v_add_co_u32 v19, vcc_lo, s12, v23
	v_add_co_ci_u32_e64 v20, null, s13, v24, vcc_lo
	v_lshlrev_b64 v[23:24], 2, v[6:7]
	v_add_nc_u32_e32 v6, -1, v4
	v_add_co_u32 v25, vcc_lo, s12, v29
	v_add_co_ci_u32_e64 v26, null, s13, v30, vcc_lo
	v_lshlrev_b64 v[27:28], 2, v[6:7]
	v_add_nc_u32_e32 v6, -4, v4
	v_add_co_u32 v23, vcc_lo, s12, v23
	v_add_co_ci_u32_e64 v24, null, s13, v24, vcc_lo
	v_lshlrev_b64 v[5:6], 2, v[6:7]
	s_clause 0x1
	global_load_dword v29, v[19:20], off
	global_load_dword v25, v[25:26], off
	v_add_nc_u32_e32 v4, 0x180, v4
	s_waitcnt vmcnt(5)
	v_subrev_nc_u32_e32 v3, s18, v3
	v_lshlrev_b32_e32 v17, 2, v3
	v_lshlrev_b64 v[17:18], 2, v[17:18]
	v_add_co_u32 v17, s0, s14, v17
	v_add_co_ci_u32_e64 v18, null, s15, v18, s0
	global_load_dwordx4 v[17:20], v[17:18], off
	global_load_dword v3, v[23:24], off
	v_add_co_u32 v23, vcc_lo, s12, v27
	v_add_co_ci_u32_e64 v24, null, s13, v28, vcc_lo
	v_add_co_u32 v5, vcc_lo, s12, v5
	v_add_co_ci_u32_e64 v6, null, s13, v6, vcc_lo
	s_clause 0x2
	global_load_dword v23, v[23:24], off
	global_load_dword v5, v[5:6], off
	;; [unrolled: 1-line block ×3, first 2 shown]
	v_cmp_ge_i32_e32 vcc_lo, v2, v12
	s_or_b32 s3, vcc_lo, s3
	s_waitcnt vmcnt(4)
	v_fmac_f32_e32 v9, v13, v17
	v_fmac_f32_e32 v11, v8, v17
	;; [unrolled: 1-line block ×7, first 2 shown]
	s_waitcnt vmcnt(3)
	v_fmac_f32_e32 v11, v3, v19
	s_waitcnt vmcnt(2)
	v_fmac_f32_e32 v10, v23, v19
	v_fmac_f32_e32 v9, v16, v20
	s_waitcnt vmcnt(1)
	v_fmac_f32_e32 v11, v5, v20
	s_waitcnt vmcnt(0)
	v_fmac_f32_e32 v10, v6, v20
	s_andn2_b32 exec_lo, exec_lo, s3
	s_cbranch_execnz .LBB13_15
; %bb.16:
	s_or_b32 exec_lo, exec_lo, s3
.LBB13_17:
	s_or_b32 exec_lo, exec_lo, s1
.LBB13_18:
	v_mbcnt_lo_u32_b32 v2, -1, 0
	s_mov_b32 s3, -1
	v_xor_b32_e32 v3, 16, v2
	v_xor_b32_e32 v6, 8, v2
	v_cmp_gt_i32_e32 vcc_lo, 32, v3
	v_cndmask_b32_e32 v3, v2, v3, vcc_lo
	v_cmp_gt_i32_e32 vcc_lo, 32, v6
	v_lshlrev_b32_e32 v3, 2, v3
	v_cndmask_b32_e32 v6, v2, v6, vcc_lo
	ds_bpermute_b32 v4, v3, v9
	ds_bpermute_b32 v5, v3, v11
	;; [unrolled: 1-line block ×3, first 2 shown]
	v_lshlrev_b32_e32 v6, 2, v6
	s_waitcnt lgkmcnt(2)
	v_add_f32_e32 v4, v9, v4
	s_waitcnt lgkmcnt(1)
	v_add_f32_e32 v5, v11, v5
	;; [unrolled: 2-line block ×3, first 2 shown]
	v_xor_b32_e32 v9, 4, v2
	ds_bpermute_b32 v7, v6, v4
	ds_bpermute_b32 v8, v6, v5
	;; [unrolled: 1-line block ×3, first 2 shown]
	v_cmp_gt_i32_e32 vcc_lo, 32, v9
	v_cndmask_b32_e32 v9, v2, v9, vcc_lo
	v_lshlrev_b32_e32 v9, 2, v9
	s_waitcnt lgkmcnt(2)
	v_add_f32_e32 v4, v4, v7
	s_waitcnt lgkmcnt(1)
	v_add_f32_e32 v5, v5, v8
	;; [unrolled: 2-line block ×3, first 2 shown]
	ds_bpermute_b32 v6, v9, v4
	ds_bpermute_b32 v7, v9, v5
	;; [unrolled: 1-line block ×3, first 2 shown]
	v_xor_b32_e32 v9, 2, v2
	v_cmp_gt_i32_e32 vcc_lo, 32, v9
	v_cndmask_b32_e32 v9, v2, v9, vcc_lo
	v_lshlrev_b32_e32 v9, 2, v9
	s_waitcnt lgkmcnt(2)
	v_add_f32_e32 v4, v4, v6
	s_waitcnt lgkmcnt(1)
	v_add_f32_e32 v5, v5, v7
	;; [unrolled: 2-line block ×3, first 2 shown]
	ds_bpermute_b32 v3, v9, v4
	ds_bpermute_b32 v7, v9, v5
	;; [unrolled: 1-line block ×3, first 2 shown]
	v_xor_b32_e32 v9, 1, v2
	v_cmp_gt_i32_e32 vcc_lo, 32, v9
	v_cndmask_b32_e32 v2, v2, v9, vcc_lo
	v_cmp_eq_u32_e32 vcc_lo, 31, v0
	v_lshlrev_b32_e32 v9, 2, v2
	s_waitcnt lgkmcnt(2)
	v_add_f32_e32 v2, v4, v3
	s_waitcnt lgkmcnt(1)
	v_add_f32_e32 v3, v5, v7
	;; [unrolled: 2-line block ×3, first 2 shown]
	ds_bpermute_b32 v5, v9, v2
	ds_bpermute_b32 v6, v9, v3
	;; [unrolled: 1-line block ×3, first 2 shown]
	s_and_b32 exec_lo, exec_lo, vcc_lo
	s_cbranch_execz .LBB13_23
; %bb.19:
	s_load_dwordx2 s[0:1], s[4:5], 0x38
	s_waitcnt lgkmcnt(0)
	v_add_f32_e32 v0, v2, v5
	v_add_f32_e32 v2, v3, v6
	;; [unrolled: 1-line block ×3, first 2 shown]
	v_lshl_add_u32 v3, v1, 1, v1
	v_cmp_eq_f32_e64 s4, s2, 0
	v_mul_f32_e32 v0, s16, v0
	v_mul_f32_e32 v1, s16, v2
	;; [unrolled: 1-line block ×3, first 2 shown]
	v_ashrrev_i32_e32 v4, 31, v3
	s_and_b32 vcc_lo, exec_lo, s4
	s_cbranch_vccz .LBB13_21
; %bb.20:
	v_lshlrev_b64 v[5:6], 2, v[3:4]
	s_mov_b32 s3, 0
	v_add_co_u32 v5, vcc_lo, s0, v5
	v_add_co_ci_u32_e64 v6, null, s1, v6, vcc_lo
	global_store_dwordx3 v[5:6], v[0:2], off
.LBB13_21:
	s_andn2_b32 vcc_lo, exec_lo, s3
	s_cbranch_vccnz .LBB13_23
; %bb.22:
	v_lshlrev_b64 v[3:4], 2, v[3:4]
	v_add_co_u32 v6, vcc_lo, s0, v3
	v_add_co_ci_u32_e64 v7, null, s1, v4, vcc_lo
	global_load_dwordx3 v[3:5], v[6:7], off
	s_waitcnt vmcnt(0)
	v_fmac_f32_e32 v0, s2, v3
	v_fmac_f32_e32 v1, s2, v4
	;; [unrolled: 1-line block ×3, first 2 shown]
	global_store_dwordx3 v[6:7], v[0:2], off
.LBB13_23:
	s_endpgm
	.section	.rodata,"a",@progbits
	.p2align	6, 0x0
	.amdhsa_kernel _ZN9rocsparseL19gebsrmvn_3xn_kernelILj128ELj4ELj32EfEEvi20rocsparse_direction_NS_24const_host_device_scalarIT2_EEPKiS6_PKS3_S8_S4_PS3_21rocsparse_index_base_b
		.amdhsa_group_segment_fixed_size 0
		.amdhsa_private_segment_fixed_size 0
		.amdhsa_kernarg_size 72
		.amdhsa_user_sgpr_count 6
		.amdhsa_user_sgpr_private_segment_buffer 1
		.amdhsa_user_sgpr_dispatch_ptr 0
		.amdhsa_user_sgpr_queue_ptr 0
		.amdhsa_user_sgpr_kernarg_segment_ptr 1
		.amdhsa_user_sgpr_dispatch_id 0
		.amdhsa_user_sgpr_flat_scratch_init 0
		.amdhsa_user_sgpr_private_segment_size 0
		.amdhsa_wavefront_size32 1
		.amdhsa_uses_dynamic_stack 0
		.amdhsa_system_sgpr_private_segment_wavefront_offset 0
		.amdhsa_system_sgpr_workgroup_id_x 1
		.amdhsa_system_sgpr_workgroup_id_y 0
		.amdhsa_system_sgpr_workgroup_id_z 0
		.amdhsa_system_sgpr_workgroup_info 0
		.amdhsa_system_vgpr_workitem_id 0
		.amdhsa_next_free_vgpr 32
		.amdhsa_next_free_sgpr 20
		.amdhsa_reserve_vcc 1
		.amdhsa_reserve_flat_scratch 0
		.amdhsa_float_round_mode_32 0
		.amdhsa_float_round_mode_16_64 0
		.amdhsa_float_denorm_mode_32 3
		.amdhsa_float_denorm_mode_16_64 3
		.amdhsa_dx10_clamp 1
		.amdhsa_ieee_mode 1
		.amdhsa_fp16_overflow 0
		.amdhsa_workgroup_processor_mode 1
		.amdhsa_memory_ordered 1
		.amdhsa_forward_progress 1
		.amdhsa_shared_vgpr_count 0
		.amdhsa_exception_fp_ieee_invalid_op 0
		.amdhsa_exception_fp_denorm_src 0
		.amdhsa_exception_fp_ieee_div_zero 0
		.amdhsa_exception_fp_ieee_overflow 0
		.amdhsa_exception_fp_ieee_underflow 0
		.amdhsa_exception_fp_ieee_inexact 0
		.amdhsa_exception_int_div_zero 0
	.end_amdhsa_kernel
	.section	.text._ZN9rocsparseL19gebsrmvn_3xn_kernelILj128ELj4ELj32EfEEvi20rocsparse_direction_NS_24const_host_device_scalarIT2_EEPKiS6_PKS3_S8_S4_PS3_21rocsparse_index_base_b,"axG",@progbits,_ZN9rocsparseL19gebsrmvn_3xn_kernelILj128ELj4ELj32EfEEvi20rocsparse_direction_NS_24const_host_device_scalarIT2_EEPKiS6_PKS3_S8_S4_PS3_21rocsparse_index_base_b,comdat
.Lfunc_end13:
	.size	_ZN9rocsparseL19gebsrmvn_3xn_kernelILj128ELj4ELj32EfEEvi20rocsparse_direction_NS_24const_host_device_scalarIT2_EEPKiS6_PKS3_S8_S4_PS3_21rocsparse_index_base_b, .Lfunc_end13-_ZN9rocsparseL19gebsrmvn_3xn_kernelILj128ELj4ELj32EfEEvi20rocsparse_direction_NS_24const_host_device_scalarIT2_EEPKiS6_PKS3_S8_S4_PS3_21rocsparse_index_base_b
                                        ; -- End function
	.set _ZN9rocsparseL19gebsrmvn_3xn_kernelILj128ELj4ELj32EfEEvi20rocsparse_direction_NS_24const_host_device_scalarIT2_EEPKiS6_PKS3_S8_S4_PS3_21rocsparse_index_base_b.num_vgpr, 32
	.set _ZN9rocsparseL19gebsrmvn_3xn_kernelILj128ELj4ELj32EfEEvi20rocsparse_direction_NS_24const_host_device_scalarIT2_EEPKiS6_PKS3_S8_S4_PS3_21rocsparse_index_base_b.num_agpr, 0
	.set _ZN9rocsparseL19gebsrmvn_3xn_kernelILj128ELj4ELj32EfEEvi20rocsparse_direction_NS_24const_host_device_scalarIT2_EEPKiS6_PKS3_S8_S4_PS3_21rocsparse_index_base_b.numbered_sgpr, 20
	.set _ZN9rocsparseL19gebsrmvn_3xn_kernelILj128ELj4ELj32EfEEvi20rocsparse_direction_NS_24const_host_device_scalarIT2_EEPKiS6_PKS3_S8_S4_PS3_21rocsparse_index_base_b.num_named_barrier, 0
	.set _ZN9rocsparseL19gebsrmvn_3xn_kernelILj128ELj4ELj32EfEEvi20rocsparse_direction_NS_24const_host_device_scalarIT2_EEPKiS6_PKS3_S8_S4_PS3_21rocsparse_index_base_b.private_seg_size, 0
	.set _ZN9rocsparseL19gebsrmvn_3xn_kernelILj128ELj4ELj32EfEEvi20rocsparse_direction_NS_24const_host_device_scalarIT2_EEPKiS6_PKS3_S8_S4_PS3_21rocsparse_index_base_b.uses_vcc, 1
	.set _ZN9rocsparseL19gebsrmvn_3xn_kernelILj128ELj4ELj32EfEEvi20rocsparse_direction_NS_24const_host_device_scalarIT2_EEPKiS6_PKS3_S8_S4_PS3_21rocsparse_index_base_b.uses_flat_scratch, 0
	.set _ZN9rocsparseL19gebsrmvn_3xn_kernelILj128ELj4ELj32EfEEvi20rocsparse_direction_NS_24const_host_device_scalarIT2_EEPKiS6_PKS3_S8_S4_PS3_21rocsparse_index_base_b.has_dyn_sized_stack, 0
	.set _ZN9rocsparseL19gebsrmvn_3xn_kernelILj128ELj4ELj32EfEEvi20rocsparse_direction_NS_24const_host_device_scalarIT2_EEPKiS6_PKS3_S8_S4_PS3_21rocsparse_index_base_b.has_recursion, 0
	.set _ZN9rocsparseL19gebsrmvn_3xn_kernelILj128ELj4ELj32EfEEvi20rocsparse_direction_NS_24const_host_device_scalarIT2_EEPKiS6_PKS3_S8_S4_PS3_21rocsparse_index_base_b.has_indirect_call, 0
	.section	.AMDGPU.csdata,"",@progbits
; Kernel info:
; codeLenInByte = 1880
; TotalNumSgprs: 22
; NumVgprs: 32
; ScratchSize: 0
; MemoryBound: 0
; FloatMode: 240
; IeeeMode: 1
; LDSByteSize: 0 bytes/workgroup (compile time only)
; SGPRBlocks: 0
; VGPRBlocks: 3
; NumSGPRsForWavesPerEU: 22
; NumVGPRsForWavesPerEU: 32
; Occupancy: 16
; WaveLimiterHint : 1
; COMPUTE_PGM_RSRC2:SCRATCH_EN: 0
; COMPUTE_PGM_RSRC2:USER_SGPR: 6
; COMPUTE_PGM_RSRC2:TRAP_HANDLER: 0
; COMPUTE_PGM_RSRC2:TGID_X_EN: 1
; COMPUTE_PGM_RSRC2:TGID_Y_EN: 0
; COMPUTE_PGM_RSRC2:TGID_Z_EN: 0
; COMPUTE_PGM_RSRC2:TIDIG_COMP_CNT: 0
	.section	.text._ZN9rocsparseL19gebsrmvn_3xn_kernelILj128ELj4ELj64EfEEvi20rocsparse_direction_NS_24const_host_device_scalarIT2_EEPKiS6_PKS3_S8_S4_PS3_21rocsparse_index_base_b,"axG",@progbits,_ZN9rocsparseL19gebsrmvn_3xn_kernelILj128ELj4ELj64EfEEvi20rocsparse_direction_NS_24const_host_device_scalarIT2_EEPKiS6_PKS3_S8_S4_PS3_21rocsparse_index_base_b,comdat
	.globl	_ZN9rocsparseL19gebsrmvn_3xn_kernelILj128ELj4ELj64EfEEvi20rocsparse_direction_NS_24const_host_device_scalarIT2_EEPKiS6_PKS3_S8_S4_PS3_21rocsparse_index_base_b ; -- Begin function _ZN9rocsparseL19gebsrmvn_3xn_kernelILj128ELj4ELj64EfEEvi20rocsparse_direction_NS_24const_host_device_scalarIT2_EEPKiS6_PKS3_S8_S4_PS3_21rocsparse_index_base_b
	.p2align	8
	.type	_ZN9rocsparseL19gebsrmvn_3xn_kernelILj128ELj4ELj64EfEEvi20rocsparse_direction_NS_24const_host_device_scalarIT2_EEPKiS6_PKS3_S8_S4_PS3_21rocsparse_index_base_b,@function
_ZN9rocsparseL19gebsrmvn_3xn_kernelILj128ELj4ELj64EfEEvi20rocsparse_direction_NS_24const_host_device_scalarIT2_EEPKiS6_PKS3_S8_S4_PS3_21rocsparse_index_base_b: ; @_ZN9rocsparseL19gebsrmvn_3xn_kernelILj128ELj4ELj64EfEEvi20rocsparse_direction_NS_24const_host_device_scalarIT2_EEPKiS6_PKS3_S8_S4_PS3_21rocsparse_index_base_b
; %bb.0:
	s_clause 0x2
	s_load_dwordx2 s[18:19], s[4:5], 0x40
	s_load_dwordx2 s[16:17], s[4:5], 0x8
	;; [unrolled: 1-line block ×3, first 2 shown]
	s_waitcnt lgkmcnt(0)
	s_bitcmp1_b32 s19, 0
	s_cselect_b32 s0, -1, 0
	s_and_b32 vcc_lo, exec_lo, s0
	s_xor_b32 s0, s0, -1
	s_cbranch_vccnz .LBB14_2
; %bb.1:
	s_load_dword s16, s[16:17], 0x0
.LBB14_2:
	s_andn2_b32 vcc_lo, exec_lo, s0
	s_cbranch_vccnz .LBB14_4
; %bb.3:
	s_load_dword s2, s[2:3], 0x0
.LBB14_4:
	s_waitcnt lgkmcnt(0)
	v_cmp_eq_f32_e64 s0, s16, 0
	v_cmp_eq_f32_e64 s1, s2, 1.0
	s_and_b32 s0, s0, s1
	s_and_b32 vcc_lo, exec_lo, s0
	s_cbranch_vccnz .LBB14_23
; %bb.5:
	s_load_dwordx2 s[0:1], s[4:5], 0x0
	v_lshrrev_b32_e32 v1, 6, v0
	v_lshl_or_b32 v1, s6, 1, v1
	s_waitcnt lgkmcnt(0)
	v_cmp_gt_i32_e32 vcc_lo, s0, v1
	s_and_saveexec_b32 s0, vcc_lo
	s_cbranch_execz .LBB14_23
; %bb.6:
	s_load_dwordx8 s[8:15], s[4:5], 0x10
	v_ashrrev_i32_e32 v2, 31, v1
	v_and_b32_e32 v0, 63, v0
	s_cmp_lg_u32 s1, 0
	v_lshlrev_b64 v[2:3], 2, v[1:2]
	s_waitcnt lgkmcnt(0)
	v_add_co_u32 v2, vcc_lo, s8, v2
	v_add_co_ci_u32_e64 v3, null, s9, v3, vcc_lo
	global_load_dwordx2 v[2:3], v[2:3], off
	s_waitcnt vmcnt(0)
	v_subrev_nc_u32_e32 v2, s18, v2
	v_subrev_nc_u32_e32 v12, s18, v3
	v_add_nc_u32_e32 v2, v2, v0
	v_cmp_lt_i32_e64 s0, v2, v12
	s_cbranch_scc0 .LBB14_12
; %bb.7:
	v_mov_b32_e32 v9, 0
	v_mov_b32_e32 v10, 0
	;; [unrolled: 1-line block ×3, first 2 shown]
	s_and_saveexec_b32 s3, s0
	s_cbranch_execz .LBB14_11
; %bb.8:
	v_mad_u64_u32 v[3:4], null, v2, 12, 11
	v_mov_b32_e32 v6, 0
	v_mov_b32_e32 v7, v2
	;; [unrolled: 1-line block ×5, first 2 shown]
	s_mov_b32 s6, 0
.LBB14_9:                               ; =>This Inner Loop Header: Depth=1
	v_ashrrev_i32_e32 v8, 31, v7
	v_mov_b32_e32 v18, v6
	v_lshlrev_b64 v[4:5], 2, v[7:8]
	v_add_nc_u32_e32 v7, 64, v7
	v_add_co_u32 v4, vcc_lo, s10, v4
	v_add_co_ci_u32_e64 v5, null, s11, v5, vcc_lo
	global_load_dword v8, v[4:5], off
	v_add_nc_u32_e32 v5, -11, v3
	v_mov_b32_e32 v4, v6
	v_lshlrev_b64 v[13:14], 2, v[5:6]
	v_add_nc_u32_e32 v5, -7, v3
	v_lshlrev_b64 v[15:16], 2, v[3:4]
	v_lshlrev_b64 v[19:20], 2, v[5:6]
	v_add_nc_u32_e32 v5, -6, v3
	v_add_co_u32 v13, vcc_lo, s12, v13
	v_add_co_ci_u32_e64 v14, null, s13, v14, vcc_lo
	v_lshlrev_b64 v[23:24], 2, v[5:6]
	v_add_co_u32 v21, vcc_lo, s12, v15
	v_add_nc_u32_e32 v5, -5, v3
	v_add_co_ci_u32_e64 v22, null, s13, v16, vcc_lo
	v_add_co_u32 v19, vcc_lo, s12, v19
	v_add_co_ci_u32_e64 v20, null, s13, v20, vcc_lo
	v_add_co_u32 v23, vcc_lo, s12, v23
	v_lshlrev_b64 v[25:26], 2, v[5:6]
	v_add_nc_u32_e32 v5, -4, v3
	v_add_co_ci_u32_e64 v24, null, s13, v24, vcc_lo
	s_clause 0x2
	global_load_dwordx4 v[13:16], v[13:14], off
	global_load_dword v27, v[19:20], off
	global_load_dword v28, v[23:24], off
	v_lshlrev_b64 v[19:20], 2, v[5:6]
	v_add_nc_u32_e32 v5, -3, v3
	v_add_co_u32 v23, vcc_lo, s12, v25
	v_add_co_ci_u32_e64 v24, null, s13, v26, vcc_lo
	v_lshlrev_b64 v[25:26], 2, v[5:6]
	v_add_co_u32 v19, vcc_lo, s12, v19
	v_add_nc_u32_e32 v5, -2, v3
	v_add_co_ci_u32_e64 v20, null, s13, v20, vcc_lo
	v_add_co_u32 v25, vcc_lo, s12, v25
	v_add_co_ci_u32_e64 v26, null, s13, v26, vcc_lo
	s_clause 0x1
	global_load_dword v29, v[23:24], off
	global_load_dword v30, v[19:20], off
	v_lshlrev_b64 v[23:24], 2, v[5:6]
	v_add_nc_u32_e32 v5, -1, v3
	v_add_nc_u32_e32 v3, 0x300, v3
	v_add_co_u32 v23, vcc_lo, s12, v23
	v_add_co_ci_u32_e64 v24, null, s13, v24, vcc_lo
	s_waitcnt vmcnt(5)
	v_subrev_nc_u32_e32 v4, s18, v8
	v_lshlrev_b32_e32 v17, 2, v4
	v_lshlrev_b64 v[4:5], 2, v[5:6]
	v_lshlrev_b64 v[17:18], 2, v[17:18]
	v_add_co_u32 v4, vcc_lo, s12, v4
	v_add_co_ci_u32_e64 v5, null, s13, v5, vcc_lo
	v_add_co_u32 v17, s1, s14, v17
	v_add_co_ci_u32_e64 v18, null, s15, v18, s1
	v_cmp_ge_i32_e32 vcc_lo, v7, v12
	global_load_dwordx4 v[17:20], v[17:18], off
	s_clause 0x3
	global_load_dword v8, v[25:26], off
	global_load_dword v23, v[23:24], off
	;; [unrolled: 1-line block ×4, first 2 shown]
	s_or_b32 s6, vcc_lo, s6
	s_waitcnt vmcnt(4)
	v_fmac_f32_e32 v9, v13, v17
	v_fmac_f32_e32 v11, v14, v17
	v_fmac_f32_e32 v10, v15, v17
	v_fmac_f32_e32 v9, v16, v18
	v_fmac_f32_e32 v11, v27, v18
	v_fmac_f32_e32 v10, v28, v18
	v_fmac_f32_e32 v9, v29, v19
	v_fmac_f32_e32 v11, v30, v19
	s_waitcnt vmcnt(3)
	v_fmac_f32_e32 v10, v8, v19
	s_waitcnt vmcnt(2)
	v_fmac_f32_e32 v9, v23, v20
	;; [unrolled: 2-line block ×4, first 2 shown]
	s_andn2_b32 exec_lo, exec_lo, s6
	s_cbranch_execnz .LBB14_9
; %bb.10:
	s_or_b32 exec_lo, exec_lo, s6
.LBB14_11:
	s_or_b32 exec_lo, exec_lo, s3
	s_cbranch_execz .LBB14_13
	s_branch .LBB14_18
.LBB14_12:
                                        ; implicit-def: $vgpr9
                                        ; implicit-def: $vgpr10
                                        ; implicit-def: $vgpr11
.LBB14_13:
	v_mov_b32_e32 v9, 0
	v_mov_b32_e32 v10, 0
	;; [unrolled: 1-line block ×3, first 2 shown]
	s_and_saveexec_b32 s1, s0
	s_cbranch_execz .LBB14_17
; %bb.14:
	v_mad_u64_u32 v[4:5], null, v2, 12, 11
	v_mov_b32_e32 v7, 0
	v_mov_b32_e32 v9, 0
	;; [unrolled: 1-line block ×4, first 2 shown]
	s_mov_b32 s3, 0
.LBB14_15:                              ; =>This Inner Loop Header: Depth=1
	v_ashrrev_i32_e32 v3, 31, v2
	v_add_nc_u32_e32 v13, -7, v4
	v_mov_b32_e32 v14, v7
	v_add_nc_u32_e32 v15, -3, v4
	v_mov_b32_e32 v16, v7
	v_lshlrev_b64 v[5:6], 2, v[2:3]
	v_mov_b32_e32 v18, v7
	v_lshlrev_b64 v[13:14], 2, v[13:14]
	v_add_nc_u32_e32 v2, 64, v2
	v_lshlrev_b64 v[15:16], 2, v[15:16]
	v_add_co_u32 v5, vcc_lo, s10, v5
	v_add_co_ci_u32_e64 v6, null, s11, v6, vcc_lo
	global_load_dword v3, v[5:6], off
	v_add_nc_u32_e32 v6, -11, v4
	v_mov_b32_e32 v5, v7
	v_lshlrev_b64 v[19:20], 2, v[6:7]
	v_add_nc_u32_e32 v6, -6, v4
	v_lshlrev_b64 v[21:22], 2, v[4:5]
	v_lshlrev_b64 v[23:24], 2, v[6:7]
	v_add_co_u32 v19, vcc_lo, s12, v19
	v_add_nc_u32_e32 v6, -2, v4
	v_add_co_ci_u32_e64 v20, null, s13, v20, vcc_lo
	v_add_co_u32 v25, vcc_lo, s12, v13
	v_add_co_ci_u32_e64 v26, null, s13, v14, vcc_lo
	v_add_co_u32 v27, vcc_lo, s12, v15
	v_add_co_ci_u32_e64 v28, null, s13, v16, vcc_lo
	v_lshlrev_b64 v[29:30], 2, v[6:7]
	v_add_nc_u32_e32 v6, -5, v4
	v_add_co_u32 v21, vcc_lo, s12, v21
	v_add_co_ci_u32_e64 v22, null, s13, v22, vcc_lo
	s_clause 0x2
	global_load_dwordx4 v[13:16], v[19:20], off
	global_load_dword v8, v[25:26], off
	global_load_dword v31, v[27:28], off
	v_add_co_u32 v19, vcc_lo, s12, v23
	v_add_co_ci_u32_e64 v20, null, s13, v24, vcc_lo
	v_lshlrev_b64 v[23:24], 2, v[6:7]
	v_add_nc_u32_e32 v6, -1, v4
	v_add_co_u32 v25, vcc_lo, s12, v29
	v_add_co_ci_u32_e64 v26, null, s13, v30, vcc_lo
	v_lshlrev_b64 v[27:28], 2, v[6:7]
	v_add_nc_u32_e32 v6, -4, v4
	v_add_co_u32 v23, vcc_lo, s12, v23
	v_add_co_ci_u32_e64 v24, null, s13, v24, vcc_lo
	v_lshlrev_b64 v[5:6], 2, v[6:7]
	s_clause 0x1
	global_load_dword v29, v[19:20], off
	global_load_dword v25, v[25:26], off
	v_add_nc_u32_e32 v4, 0x300, v4
	s_waitcnt vmcnt(5)
	v_subrev_nc_u32_e32 v3, s18, v3
	v_lshlrev_b32_e32 v17, 2, v3
	v_lshlrev_b64 v[17:18], 2, v[17:18]
	v_add_co_u32 v17, s0, s14, v17
	v_add_co_ci_u32_e64 v18, null, s15, v18, s0
	global_load_dwordx4 v[17:20], v[17:18], off
	global_load_dword v3, v[23:24], off
	v_add_co_u32 v23, vcc_lo, s12, v27
	v_add_co_ci_u32_e64 v24, null, s13, v28, vcc_lo
	v_add_co_u32 v5, vcc_lo, s12, v5
	v_add_co_ci_u32_e64 v6, null, s13, v6, vcc_lo
	s_clause 0x2
	global_load_dword v23, v[23:24], off
	global_load_dword v5, v[5:6], off
	;; [unrolled: 1-line block ×3, first 2 shown]
	v_cmp_ge_i32_e32 vcc_lo, v2, v12
	s_or_b32 s3, vcc_lo, s3
	s_waitcnt vmcnt(4)
	v_fmac_f32_e32 v9, v13, v17
	v_fmac_f32_e32 v11, v8, v17
	;; [unrolled: 1-line block ×7, first 2 shown]
	s_waitcnt vmcnt(3)
	v_fmac_f32_e32 v11, v3, v19
	s_waitcnt vmcnt(2)
	v_fmac_f32_e32 v10, v23, v19
	v_fmac_f32_e32 v9, v16, v20
	s_waitcnt vmcnt(1)
	v_fmac_f32_e32 v11, v5, v20
	s_waitcnt vmcnt(0)
	v_fmac_f32_e32 v10, v6, v20
	s_andn2_b32 exec_lo, exec_lo, s3
	s_cbranch_execnz .LBB14_15
; %bb.16:
	s_or_b32 exec_lo, exec_lo, s3
.LBB14_17:
	s_or_b32 exec_lo, exec_lo, s1
.LBB14_18:
	v_mbcnt_lo_u32_b32 v2, -1, 0
	s_mov_b32 s3, -1
	v_or_b32_e32 v3, 32, v2
	v_xor_b32_e32 v6, 16, v2
	v_cmp_gt_i32_e32 vcc_lo, 32, v3
	v_cndmask_b32_e32 v3, v2, v3, vcc_lo
	v_cmp_gt_i32_e32 vcc_lo, 32, v6
	v_lshlrev_b32_e32 v3, 2, v3
	v_cndmask_b32_e32 v6, v2, v6, vcc_lo
	ds_bpermute_b32 v4, v3, v9
	ds_bpermute_b32 v5, v3, v11
	ds_bpermute_b32 v3, v3, v10
	v_lshlrev_b32_e32 v6, 2, v6
	s_waitcnt lgkmcnt(2)
	v_add_f32_e32 v4, v9, v4
	s_waitcnt lgkmcnt(1)
	v_add_f32_e32 v5, v11, v5
	;; [unrolled: 2-line block ×3, first 2 shown]
	v_xor_b32_e32 v9, 8, v2
	ds_bpermute_b32 v7, v6, v4
	ds_bpermute_b32 v8, v6, v5
	;; [unrolled: 1-line block ×3, first 2 shown]
	v_cmp_gt_i32_e32 vcc_lo, 32, v9
	v_cndmask_b32_e32 v9, v2, v9, vcc_lo
	v_lshlrev_b32_e32 v9, 2, v9
	s_waitcnt lgkmcnt(2)
	v_add_f32_e32 v4, v4, v7
	s_waitcnt lgkmcnt(1)
	v_add_f32_e32 v5, v5, v8
	s_waitcnt lgkmcnt(0)
	v_add_f32_e32 v3, v3, v6
	ds_bpermute_b32 v6, v9, v4
	ds_bpermute_b32 v7, v9, v5
	ds_bpermute_b32 v8, v9, v3
	v_xor_b32_e32 v9, 4, v2
	v_cmp_gt_i32_e32 vcc_lo, 32, v9
	v_cndmask_b32_e32 v9, v2, v9, vcc_lo
	v_lshlrev_b32_e32 v9, 2, v9
	s_waitcnt lgkmcnt(2)
	v_add_f32_e32 v4, v4, v6
	s_waitcnt lgkmcnt(1)
	v_add_f32_e32 v5, v5, v7
	s_waitcnt lgkmcnt(0)
	v_add_f32_e32 v3, v3, v8
	ds_bpermute_b32 v6, v9, v4
	ds_bpermute_b32 v7, v9, v5
	ds_bpermute_b32 v8, v9, v3
	v_xor_b32_e32 v9, 2, v2
	;; [unrolled: 13-line block ×3, first 2 shown]
	v_cmp_gt_i32_e32 vcc_lo, 32, v9
	v_cndmask_b32_e32 v2, v2, v9, vcc_lo
	v_cmp_eq_u32_e32 vcc_lo, 63, v0
	v_lshlrev_b32_e32 v9, 2, v2
	s_waitcnt lgkmcnt(2)
	v_add_f32_e32 v2, v4, v3
	s_waitcnt lgkmcnt(1)
	v_add_f32_e32 v3, v5, v7
	;; [unrolled: 2-line block ×3, first 2 shown]
	ds_bpermute_b32 v5, v9, v2
	ds_bpermute_b32 v6, v9, v3
	;; [unrolled: 1-line block ×3, first 2 shown]
	s_and_b32 exec_lo, exec_lo, vcc_lo
	s_cbranch_execz .LBB14_23
; %bb.19:
	s_load_dwordx2 s[0:1], s[4:5], 0x38
	s_waitcnt lgkmcnt(0)
	v_add_f32_e32 v0, v2, v5
	v_add_f32_e32 v2, v3, v6
	;; [unrolled: 1-line block ×3, first 2 shown]
	v_lshl_add_u32 v3, v1, 1, v1
	v_cmp_eq_f32_e64 s4, s2, 0
	v_mul_f32_e32 v0, s16, v0
	v_mul_f32_e32 v1, s16, v2
	;; [unrolled: 1-line block ×3, first 2 shown]
	v_ashrrev_i32_e32 v4, 31, v3
	s_and_b32 vcc_lo, exec_lo, s4
	s_cbranch_vccz .LBB14_21
; %bb.20:
	v_lshlrev_b64 v[5:6], 2, v[3:4]
	s_mov_b32 s3, 0
	v_add_co_u32 v5, vcc_lo, s0, v5
	v_add_co_ci_u32_e64 v6, null, s1, v6, vcc_lo
	global_store_dwordx3 v[5:6], v[0:2], off
.LBB14_21:
	s_andn2_b32 vcc_lo, exec_lo, s3
	s_cbranch_vccnz .LBB14_23
; %bb.22:
	v_lshlrev_b64 v[3:4], 2, v[3:4]
	v_add_co_u32 v6, vcc_lo, s0, v3
	v_add_co_ci_u32_e64 v7, null, s1, v4, vcc_lo
	global_load_dwordx3 v[3:5], v[6:7], off
	s_waitcnt vmcnt(0)
	v_fmac_f32_e32 v0, s2, v3
	v_fmac_f32_e32 v1, s2, v4
	;; [unrolled: 1-line block ×3, first 2 shown]
	global_store_dwordx3 v[6:7], v[0:2], off
.LBB14_23:
	s_endpgm
	.section	.rodata,"a",@progbits
	.p2align	6, 0x0
	.amdhsa_kernel _ZN9rocsparseL19gebsrmvn_3xn_kernelILj128ELj4ELj64EfEEvi20rocsparse_direction_NS_24const_host_device_scalarIT2_EEPKiS6_PKS3_S8_S4_PS3_21rocsparse_index_base_b
		.amdhsa_group_segment_fixed_size 0
		.amdhsa_private_segment_fixed_size 0
		.amdhsa_kernarg_size 72
		.amdhsa_user_sgpr_count 6
		.amdhsa_user_sgpr_private_segment_buffer 1
		.amdhsa_user_sgpr_dispatch_ptr 0
		.amdhsa_user_sgpr_queue_ptr 0
		.amdhsa_user_sgpr_kernarg_segment_ptr 1
		.amdhsa_user_sgpr_dispatch_id 0
		.amdhsa_user_sgpr_flat_scratch_init 0
		.amdhsa_user_sgpr_private_segment_size 0
		.amdhsa_wavefront_size32 1
		.amdhsa_uses_dynamic_stack 0
		.amdhsa_system_sgpr_private_segment_wavefront_offset 0
		.amdhsa_system_sgpr_workgroup_id_x 1
		.amdhsa_system_sgpr_workgroup_id_y 0
		.amdhsa_system_sgpr_workgroup_id_z 0
		.amdhsa_system_sgpr_workgroup_info 0
		.amdhsa_system_vgpr_workitem_id 0
		.amdhsa_next_free_vgpr 32
		.amdhsa_next_free_sgpr 20
		.amdhsa_reserve_vcc 1
		.amdhsa_reserve_flat_scratch 0
		.amdhsa_float_round_mode_32 0
		.amdhsa_float_round_mode_16_64 0
		.amdhsa_float_denorm_mode_32 3
		.amdhsa_float_denorm_mode_16_64 3
		.amdhsa_dx10_clamp 1
		.amdhsa_ieee_mode 1
		.amdhsa_fp16_overflow 0
		.amdhsa_workgroup_processor_mode 1
		.amdhsa_memory_ordered 1
		.amdhsa_forward_progress 1
		.amdhsa_shared_vgpr_count 0
		.amdhsa_exception_fp_ieee_invalid_op 0
		.amdhsa_exception_fp_denorm_src 0
		.amdhsa_exception_fp_ieee_div_zero 0
		.amdhsa_exception_fp_ieee_overflow 0
		.amdhsa_exception_fp_ieee_underflow 0
		.amdhsa_exception_fp_ieee_inexact 0
		.amdhsa_exception_int_div_zero 0
	.end_amdhsa_kernel
	.section	.text._ZN9rocsparseL19gebsrmvn_3xn_kernelILj128ELj4ELj64EfEEvi20rocsparse_direction_NS_24const_host_device_scalarIT2_EEPKiS6_PKS3_S8_S4_PS3_21rocsparse_index_base_b,"axG",@progbits,_ZN9rocsparseL19gebsrmvn_3xn_kernelILj128ELj4ELj64EfEEvi20rocsparse_direction_NS_24const_host_device_scalarIT2_EEPKiS6_PKS3_S8_S4_PS3_21rocsparse_index_base_b,comdat
.Lfunc_end14:
	.size	_ZN9rocsparseL19gebsrmvn_3xn_kernelILj128ELj4ELj64EfEEvi20rocsparse_direction_NS_24const_host_device_scalarIT2_EEPKiS6_PKS3_S8_S4_PS3_21rocsparse_index_base_b, .Lfunc_end14-_ZN9rocsparseL19gebsrmvn_3xn_kernelILj128ELj4ELj64EfEEvi20rocsparse_direction_NS_24const_host_device_scalarIT2_EEPKiS6_PKS3_S8_S4_PS3_21rocsparse_index_base_b
                                        ; -- End function
	.set _ZN9rocsparseL19gebsrmvn_3xn_kernelILj128ELj4ELj64EfEEvi20rocsparse_direction_NS_24const_host_device_scalarIT2_EEPKiS6_PKS3_S8_S4_PS3_21rocsparse_index_base_b.num_vgpr, 32
	.set _ZN9rocsparseL19gebsrmvn_3xn_kernelILj128ELj4ELj64EfEEvi20rocsparse_direction_NS_24const_host_device_scalarIT2_EEPKiS6_PKS3_S8_S4_PS3_21rocsparse_index_base_b.num_agpr, 0
	.set _ZN9rocsparseL19gebsrmvn_3xn_kernelILj128ELj4ELj64EfEEvi20rocsparse_direction_NS_24const_host_device_scalarIT2_EEPKiS6_PKS3_S8_S4_PS3_21rocsparse_index_base_b.numbered_sgpr, 20
	.set _ZN9rocsparseL19gebsrmvn_3xn_kernelILj128ELj4ELj64EfEEvi20rocsparse_direction_NS_24const_host_device_scalarIT2_EEPKiS6_PKS3_S8_S4_PS3_21rocsparse_index_base_b.num_named_barrier, 0
	.set _ZN9rocsparseL19gebsrmvn_3xn_kernelILj128ELj4ELj64EfEEvi20rocsparse_direction_NS_24const_host_device_scalarIT2_EEPKiS6_PKS3_S8_S4_PS3_21rocsparse_index_base_b.private_seg_size, 0
	.set _ZN9rocsparseL19gebsrmvn_3xn_kernelILj128ELj4ELj64EfEEvi20rocsparse_direction_NS_24const_host_device_scalarIT2_EEPKiS6_PKS3_S8_S4_PS3_21rocsparse_index_base_b.uses_vcc, 1
	.set _ZN9rocsparseL19gebsrmvn_3xn_kernelILj128ELj4ELj64EfEEvi20rocsparse_direction_NS_24const_host_device_scalarIT2_EEPKiS6_PKS3_S8_S4_PS3_21rocsparse_index_base_b.uses_flat_scratch, 0
	.set _ZN9rocsparseL19gebsrmvn_3xn_kernelILj128ELj4ELj64EfEEvi20rocsparse_direction_NS_24const_host_device_scalarIT2_EEPKiS6_PKS3_S8_S4_PS3_21rocsparse_index_base_b.has_dyn_sized_stack, 0
	.set _ZN9rocsparseL19gebsrmvn_3xn_kernelILj128ELj4ELj64EfEEvi20rocsparse_direction_NS_24const_host_device_scalarIT2_EEPKiS6_PKS3_S8_S4_PS3_21rocsparse_index_base_b.has_recursion, 0
	.set _ZN9rocsparseL19gebsrmvn_3xn_kernelILj128ELj4ELj64EfEEvi20rocsparse_direction_NS_24const_host_device_scalarIT2_EEPKiS6_PKS3_S8_S4_PS3_21rocsparse_index_base_b.has_indirect_call, 0
	.section	.AMDGPU.csdata,"",@progbits
; Kernel info:
; codeLenInByte = 1944
; TotalNumSgprs: 22
; NumVgprs: 32
; ScratchSize: 0
; MemoryBound: 0
; FloatMode: 240
; IeeeMode: 1
; LDSByteSize: 0 bytes/workgroup (compile time only)
; SGPRBlocks: 0
; VGPRBlocks: 3
; NumSGPRsForWavesPerEU: 22
; NumVGPRsForWavesPerEU: 32
; Occupancy: 16
; WaveLimiterHint : 1
; COMPUTE_PGM_RSRC2:SCRATCH_EN: 0
; COMPUTE_PGM_RSRC2:USER_SGPR: 6
; COMPUTE_PGM_RSRC2:TRAP_HANDLER: 0
; COMPUTE_PGM_RSRC2:TGID_X_EN: 1
; COMPUTE_PGM_RSRC2:TGID_Y_EN: 0
; COMPUTE_PGM_RSRC2:TGID_Z_EN: 0
; COMPUTE_PGM_RSRC2:TIDIG_COMP_CNT: 0
	.section	.text._ZN9rocsparseL19gebsrmvn_3xn_kernelILj128ELj5ELj4EfEEvi20rocsparse_direction_NS_24const_host_device_scalarIT2_EEPKiS6_PKS3_S8_S4_PS3_21rocsparse_index_base_b,"axG",@progbits,_ZN9rocsparseL19gebsrmvn_3xn_kernelILj128ELj5ELj4EfEEvi20rocsparse_direction_NS_24const_host_device_scalarIT2_EEPKiS6_PKS3_S8_S4_PS3_21rocsparse_index_base_b,comdat
	.globl	_ZN9rocsparseL19gebsrmvn_3xn_kernelILj128ELj5ELj4EfEEvi20rocsparse_direction_NS_24const_host_device_scalarIT2_EEPKiS6_PKS3_S8_S4_PS3_21rocsparse_index_base_b ; -- Begin function _ZN9rocsparseL19gebsrmvn_3xn_kernelILj128ELj5ELj4EfEEvi20rocsparse_direction_NS_24const_host_device_scalarIT2_EEPKiS6_PKS3_S8_S4_PS3_21rocsparse_index_base_b
	.p2align	8
	.type	_ZN9rocsparseL19gebsrmvn_3xn_kernelILj128ELj5ELj4EfEEvi20rocsparse_direction_NS_24const_host_device_scalarIT2_EEPKiS6_PKS3_S8_S4_PS3_21rocsparse_index_base_b,@function
_ZN9rocsparseL19gebsrmvn_3xn_kernelILj128ELj5ELj4EfEEvi20rocsparse_direction_NS_24const_host_device_scalarIT2_EEPKiS6_PKS3_S8_S4_PS3_21rocsparse_index_base_b: ; @_ZN9rocsparseL19gebsrmvn_3xn_kernelILj128ELj5ELj4EfEEvi20rocsparse_direction_NS_24const_host_device_scalarIT2_EEPKiS6_PKS3_S8_S4_PS3_21rocsparse_index_base_b
; %bb.0:
	s_clause 0x2
	s_load_dwordx2 s[18:19], s[4:5], 0x40
	s_load_dwordx2 s[16:17], s[4:5], 0x8
	;; [unrolled: 1-line block ×3, first 2 shown]
	s_waitcnt lgkmcnt(0)
	s_bitcmp1_b32 s19, 0
	s_cselect_b32 s0, -1, 0
	s_and_b32 vcc_lo, exec_lo, s0
	s_xor_b32 s0, s0, -1
	s_cbranch_vccnz .LBB15_2
; %bb.1:
	s_load_dword s16, s[16:17], 0x0
.LBB15_2:
	s_andn2_b32 vcc_lo, exec_lo, s0
	s_cbranch_vccnz .LBB15_4
; %bb.3:
	s_load_dword s2, s[2:3], 0x0
.LBB15_4:
	s_waitcnt lgkmcnt(0)
	v_cmp_eq_f32_e64 s0, s16, 0
	v_cmp_eq_f32_e64 s1, s2, 1.0
	s_and_b32 s0, s0, s1
	s_and_b32 vcc_lo, exec_lo, s0
	s_cbranch_vccnz .LBB15_23
; %bb.5:
	s_load_dwordx2 s[0:1], s[4:5], 0x0
	v_lshrrev_b32_e32 v1, 2, v0
	v_lshl_or_b32 v1, s6, 5, v1
	s_waitcnt lgkmcnt(0)
	v_cmp_gt_i32_e32 vcc_lo, s0, v1
	s_and_saveexec_b32 s0, vcc_lo
	s_cbranch_execz .LBB15_23
; %bb.6:
	s_load_dwordx8 s[8:15], s[4:5], 0x10
	v_ashrrev_i32_e32 v2, 31, v1
	v_and_b32_e32 v0, 3, v0
	s_cmp_lg_u32 s1, 0
	v_lshlrev_b64 v[2:3], 2, v[1:2]
	s_waitcnt lgkmcnt(0)
	v_add_co_u32 v2, vcc_lo, s8, v2
	v_add_co_ci_u32_e64 v3, null, s9, v3, vcc_lo
	global_load_dwordx2 v[2:3], v[2:3], off
	s_waitcnt vmcnt(0)
	v_subrev_nc_u32_e32 v2, s18, v2
	v_subrev_nc_u32_e32 v12, s18, v3
	v_add_nc_u32_e32 v2, v2, v0
	v_cmp_lt_i32_e64 s0, v2, v12
	s_cbranch_scc0 .LBB15_12
; %bb.7:
	v_mov_b32_e32 v9, 0
	v_mov_b32_e32 v10, 0
	;; [unrolled: 1-line block ×3, first 2 shown]
	s_and_saveexec_b32 s1, s0
	s_cbranch_execz .LBB15_11
; %bb.8:
	v_mad_u64_u32 v[3:4], null, v2, 15, 14
	v_mov_b32_e32 v6, 0
	v_mov_b32_e32 v7, v2
	;; [unrolled: 1-line block ×5, first 2 shown]
	s_mov_b32 s3, 0
.LBB15_9:                               ; =>This Inner Loop Header: Depth=1
	v_ashrrev_i32_e32 v8, 31, v7
	v_mov_b32_e32 v14, v6
	v_lshlrev_b64 v[4:5], 2, v[7:8]
	v_add_nc_u32_e32 v7, 4, v7
	v_add_co_u32 v4, vcc_lo, s10, v4
	v_add_co_ci_u32_e64 v5, null, s11, v5, vcc_lo
	global_load_dword v8, v[4:5], off
	v_add_nc_u32_e32 v5, -14, v3
	v_mov_b32_e32 v4, v6
	v_lshlrev_b64 v[15:16], 2, v[5:6]
	v_add_nc_u32_e32 v5, -13, v3
	v_lshlrev_b64 v[17:18], 2, v[3:4]
	v_lshlrev_b64 v[19:20], 2, v[5:6]
	v_add_nc_u32_e32 v5, -12, v3
	v_add_co_u32 v15, vcc_lo, s12, v15
	v_add_co_ci_u32_e64 v16, null, s13, v16, vcc_lo
	v_add_co_u32 v17, vcc_lo, s12, v17
	v_lshlrev_b64 v[21:22], 2, v[5:6]
	v_add_nc_u32_e32 v5, -11, v3
	v_add_co_ci_u32_e64 v18, null, s13, v18, vcc_lo
	v_add_co_u32 v19, vcc_lo, s12, v19
	v_add_co_ci_u32_e64 v20, null, s13, v20, vcc_lo
	v_lshlrev_b64 v[4:5], 2, v[5:6]
	s_clause 0x1
	global_load_dword v23, v[15:16], off
	global_load_dword v24, v[19:20], off
	v_add_co_u32 v15, vcc_lo, s12, v21
	v_add_co_ci_u32_e64 v16, null, s13, v22, vcc_lo
	v_add_co_u32 v4, vcc_lo, s12, v4
	v_add_co_ci_u32_e64 v5, null, s13, v5, vcc_lo
	s_clause 0x1
	global_load_dword v25, v[15:16], off
	global_load_dword v26, v[4:5], off
	s_waitcnt vmcnt(4)
	v_subrev_nc_u32_e32 v4, s18, v8
	v_lshl_add_u32 v13, v4, 2, v4
	v_add_nc_u32_e32 v5, 1, v13
	v_lshlrev_b64 v[14:15], 2, v[13:14]
	v_lshlrev_b64 v[19:20], 2, v[5:6]
	v_add_nc_u32_e32 v5, -10, v3
	v_add_co_u32 v14, vcc_lo, s14, v14
	v_add_co_ci_u32_e64 v15, null, s15, v15, vcc_lo
	v_add_co_u32 v19, vcc_lo, s14, v19
	v_lshlrev_b64 v[21:22], 2, v[5:6]
	v_add_nc_u32_e32 v5, -9, v3
	v_add_co_ci_u32_e64 v20, null, s15, v20, vcc_lo
	s_clause 0x1
	global_load_dword v8, v[14:15], off
	global_load_dword v27, v[19:20], off
	v_lshlrev_b64 v[14:15], 2, v[5:6]
	v_add_nc_u32_e32 v5, -8, v3
	v_add_co_u32 v19, vcc_lo, s12, v21
	v_add_co_ci_u32_e64 v20, null, s13, v22, vcc_lo
	v_add_co_u32 v14, vcc_lo, s12, v14
	v_lshlrev_b64 v[21:22], 2, v[5:6]
	v_add_nc_u32_e32 v5, 2, v13
	v_add_co_ci_u32_e64 v15, null, s13, v15, vcc_lo
	s_clause 0x1
	global_load_dword v28, v[19:20], off
	global_load_dword v29, v[14:15], off
	v_lshlrev_b64 v[19:20], 2, v[5:6]
	v_add_nc_u32_e32 v5, -7, v3
	v_add_co_u32 v14, vcc_lo, s12, v21
	v_add_co_ci_u32_e64 v15, null, s13, v22, vcc_lo
	v_lshlrev_b64 v[21:22], 2, v[5:6]
	v_add_nc_u32_e32 v5, -6, v3
	v_add_co_u32 v19, vcc_lo, s14, v19
	v_add_co_ci_u32_e64 v20, null, s15, v20, vcc_lo
	global_load_dword v30, v[14:15], off
	v_lshlrev_b64 v[14:15], 2, v[5:6]
	v_add_nc_u32_e32 v5, -5, v3
	global_load_dword v31, v[19:20], off
	v_add_co_u32 v19, vcc_lo, s12, v21
	v_add_co_ci_u32_e64 v20, null, s13, v22, vcc_lo
	v_add_co_u32 v14, vcc_lo, s12, v14
	v_lshlrev_b64 v[21:22], 2, v[5:6]
	v_add_nc_u32_e32 v5, 3, v13
	v_add_co_ci_u32_e64 v15, null, s13, v15, vcc_lo
	s_clause 0x1
	global_load_dword v32, v[19:20], off
	global_load_dword v33, v[14:15], off
	v_lshlrev_b64 v[19:20], 2, v[5:6]
	v_add_nc_u32_e32 v5, -4, v3
	v_add_co_u32 v14, vcc_lo, s12, v21
	v_add_co_ci_u32_e64 v15, null, s13, v22, vcc_lo
	v_lshlrev_b64 v[21:22], 2, v[5:6]
	v_add_nc_u32_e32 v5, -3, v3
	v_add_co_u32 v19, vcc_lo, s14, v19
	v_add_co_ci_u32_e64 v20, null, s15, v20, vcc_lo
	global_load_dword v34, v[14:15], off
	v_lshlrev_b64 v[14:15], 2, v[5:6]
	v_add_nc_u32_e32 v5, -2, v3
	global_load_dword v35, v[19:20], off
	v_add_co_u32 v19, vcc_lo, s12, v21
	v_add_co_ci_u32_e64 v20, null, s13, v22, vcc_lo
	v_lshlrev_b64 v[21:22], 2, v[5:6]
	v_add_nc_u32_e32 v5, 4, v13
	v_add_co_u32 v13, vcc_lo, s12, v14
	v_add_co_ci_u32_e64 v14, null, s13, v15, vcc_lo
	v_lshlrev_b64 v[15:16], 2, v[5:6]
	v_add_nc_u32_e32 v5, -1, v3
	s_clause 0x1
	global_load_dword v19, v[19:20], off
	global_load_dword v20, v[13:14], off
	v_add_co_u32 v13, vcc_lo, s12, v21
	v_lshlrev_b64 v[4:5], 2, v[5:6]
	v_add_co_ci_u32_e64 v14, null, s13, v22, vcc_lo
	v_add_co_u32 v15, vcc_lo, s14, v15
	v_add_co_ci_u32_e64 v16, null, s15, v16, vcc_lo
	v_add_co_u32 v4, vcc_lo, s12, v4
	v_add_co_ci_u32_e64 v5, null, s13, v5, vcc_lo
	global_load_dword v13, v[13:14], off
	global_load_dword v14, v[15:16], off
	s_clause 0x1
	global_load_dword v4, v[4:5], off
	global_load_dword v5, v[17:18], off
	v_cmp_ge_i32_e32 vcc_lo, v7, v12
	v_add_nc_u32_e32 v3, 60, v3
	s_or_b32 s3, vcc_lo, s3
	s_waitcnt vmcnt(15)
	v_fmac_f32_e32 v9, v23, v8
	v_fmac_f32_e32 v11, v24, v8
	v_fmac_f32_e32 v10, v25, v8
	s_waitcnt vmcnt(14)
	v_fmac_f32_e32 v9, v26, v27
	s_waitcnt vmcnt(13)
	v_fmac_f32_e32 v11, v28, v27
	;; [unrolled: 2-line block ×12, first 2 shown]
	s_andn2_b32 exec_lo, exec_lo, s3
	s_cbranch_execnz .LBB15_9
; %bb.10:
	s_or_b32 exec_lo, exec_lo, s3
.LBB15_11:
	s_or_b32 exec_lo, exec_lo, s1
	s_cbranch_execz .LBB15_13
	s_branch .LBB15_18
.LBB15_12:
                                        ; implicit-def: $vgpr9
                                        ; implicit-def: $vgpr10
                                        ; implicit-def: $vgpr11
.LBB15_13:
	v_mov_b32_e32 v9, 0
	v_mov_b32_e32 v10, 0
	;; [unrolled: 1-line block ×3, first 2 shown]
	s_and_saveexec_b32 s1, s0
	s_cbranch_execz .LBB15_17
; %bb.14:
	v_mad_u64_u32 v[4:5], null, v2, 15, 14
	v_mov_b32_e32 v7, 0
	v_mov_b32_e32 v9, 0
	;; [unrolled: 1-line block ×4, first 2 shown]
	s_mov_b32 s0, 0
.LBB15_15:                              ; =>This Inner Loop Header: Depth=1
	v_ashrrev_i32_e32 v3, 31, v2
	v_add_nc_u32_e32 v13, -9, v4
	v_mov_b32_e32 v14, v7
	v_add_nc_u32_e32 v15, -4, v4
	v_mov_b32_e32 v16, v7
	v_lshlrev_b64 v[5:6], 2, v[2:3]
	v_mov_b32_e32 v17, v7
	v_lshlrev_b64 v[13:14], 2, v[13:14]
	v_add_nc_u32_e32 v2, 4, v2
	v_lshlrev_b64 v[15:16], 2, v[15:16]
	v_add_co_u32 v5, vcc_lo, s10, v5
	v_add_co_ci_u32_e64 v6, null, s11, v6, vcc_lo
	global_load_dword v3, v[5:6], off
	v_add_nc_u32_e32 v6, -14, v4
	v_mov_b32_e32 v5, v7
	v_lshlrev_b64 v[18:19], 2, v[6:7]
	v_add_nc_u32_e32 v6, -13, v4
	v_lshlrev_b64 v[20:21], 2, v[4:5]
	v_lshlrev_b64 v[5:6], 2, v[6:7]
	v_add_co_u32 v18, vcc_lo, s12, v18
	v_add_co_ci_u32_e64 v19, null, s13, v19, vcc_lo
	v_add_co_u32 v13, vcc_lo, s12, v13
	v_add_co_ci_u32_e64 v14, null, s13, v14, vcc_lo
	;; [unrolled: 2-line block ×5, first 2 shown]
	s_clause 0x3
	global_load_dword v8, v[18:19], off
	global_load_dword v19, v[13:14], off
	;; [unrolled: 1-line block ×4, first 2 shown]
	s_waitcnt vmcnt(4)
	v_subrev_nc_u32_e32 v3, s18, v3
	v_lshl_add_u32 v16, v3, 2, v3
	v_add_nc_u32_e32 v6, 1, v16
	v_lshlrev_b64 v[13:14], 2, v[16:17]
	v_lshlrev_b64 v[17:18], 2, v[6:7]
	v_add_nc_u32_e32 v6, -8, v4
	v_add_co_u32 v13, vcc_lo, s14, v13
	v_add_co_ci_u32_e64 v14, null, s15, v14, vcc_lo
	v_add_co_u32 v17, vcc_lo, s14, v17
	v_lshlrev_b64 v[22:23], 2, v[6:7]
	v_add_nc_u32_e32 v6, -3, v4
	v_add_co_ci_u32_e64 v18, null, s15, v18, vcc_lo
	s_clause 0x1
	global_load_dword v3, v[13:14], off
	global_load_dword v26, v[17:18], off
	v_lshlrev_b64 v[13:14], 2, v[6:7]
	v_add_nc_u32_e32 v6, -12, v4
	v_add_co_u32 v17, vcc_lo, s12, v22
	v_add_co_ci_u32_e64 v18, null, s13, v23, vcc_lo
	v_add_co_u32 v13, vcc_lo, s12, v13
	v_lshlrev_b64 v[22:23], 2, v[6:7]
	v_add_nc_u32_e32 v6, 2, v16
	v_add_co_ci_u32_e64 v14, null, s13, v14, vcc_lo
	s_clause 0x1
	global_load_dword v27, v[17:18], off
	global_load_dword v28, v[13:14], off
	v_lshlrev_b64 v[17:18], 2, v[6:7]
	v_add_nc_u32_e32 v6, -7, v4
	v_add_co_u32 v13, vcc_lo, s12, v22
	v_add_co_ci_u32_e64 v14, null, s13, v23, vcc_lo
	v_lshlrev_b64 v[22:23], 2, v[6:7]
	v_add_nc_u32_e32 v6, -2, v4
	v_add_co_u32 v17, vcc_lo, s14, v17
	v_add_co_ci_u32_e64 v18, null, s15, v18, vcc_lo
	global_load_dword v29, v[13:14], off
	v_lshlrev_b64 v[13:14], 2, v[6:7]
	v_add_nc_u32_e32 v6, -11, v4
	global_load_dword v30, v[17:18], off
	v_add_co_u32 v17, vcc_lo, s12, v22
	v_add_co_ci_u32_e64 v18, null, s13, v23, vcc_lo
	v_add_co_u32 v13, vcc_lo, s12, v13
	v_lshlrev_b64 v[22:23], 2, v[6:7]
	v_add_nc_u32_e32 v6, 3, v16
	v_add_co_ci_u32_e64 v14, null, s13, v14, vcc_lo
	s_clause 0x1
	global_load_dword v31, v[17:18], off
	global_load_dword v32, v[13:14], off
	v_lshlrev_b64 v[17:18], 2, v[6:7]
	v_add_nc_u32_e32 v6, -6, v4
	v_add_co_u32 v13, vcc_lo, s12, v22
	v_add_co_ci_u32_e64 v14, null, s13, v23, vcc_lo
	v_lshlrev_b64 v[22:23], 2, v[6:7]
	v_add_nc_u32_e32 v6, -1, v4
	v_add_co_u32 v17, vcc_lo, s14, v17
	v_add_co_ci_u32_e64 v18, null, s15, v18, vcc_lo
	global_load_dword v33, v[13:14], off
	v_lshlrev_b64 v[13:14], 2, v[6:7]
	v_add_nc_u32_e32 v6, -10, v4
	global_load_dword v34, v[17:18], off
	v_add_co_u32 v17, vcc_lo, s12, v22
	v_add_co_ci_u32_e64 v18, null, s13, v23, vcc_lo
	v_lshlrev_b64 v[22:23], 2, v[6:7]
	v_add_nc_u32_e32 v6, 4, v16
	v_add_co_u32 v13, vcc_lo, s12, v13
	v_add_co_ci_u32_e64 v14, null, s13, v14, vcc_lo
	v_lshlrev_b64 v[15:16], 2, v[6:7]
	v_add_nc_u32_e32 v6, -5, v4
	s_clause 0x1
	global_load_dword v17, v[17:18], off
	global_load_dword v18, v[13:14], off
	v_add_co_u32 v13, vcc_lo, s12, v22
	v_lshlrev_b64 v[5:6], 2, v[6:7]
	v_add_co_ci_u32_e64 v14, null, s13, v23, vcc_lo
	v_add_co_u32 v15, vcc_lo, s14, v15
	v_add_co_ci_u32_e64 v16, null, s15, v16, vcc_lo
	v_add_co_u32 v5, vcc_lo, s12, v5
	v_add_co_ci_u32_e64 v6, null, s13, v6, vcc_lo
	global_load_dword v13, v[13:14], off
	global_load_dword v14, v[15:16], off
	s_clause 0x1
	global_load_dword v5, v[5:6], off
	global_load_dword v6, v[20:21], off
	v_cmp_ge_i32_e32 vcc_lo, v2, v12
	v_add_nc_u32_e32 v4, 60, v4
	s_or_b32 s0, vcc_lo, s0
	s_waitcnt vmcnt(15)
	v_fmac_f32_e32 v9, v8, v3
	v_fmac_f32_e32 v11, v19, v3
	;; [unrolled: 1-line block ×3, first 2 shown]
	s_waitcnt vmcnt(14)
	v_fmac_f32_e32 v9, v25, v26
	s_waitcnt vmcnt(13)
	v_fmac_f32_e32 v11, v27, v26
	;; [unrolled: 2-line block ×12, first 2 shown]
	s_andn2_b32 exec_lo, exec_lo, s0
	s_cbranch_execnz .LBB15_15
; %bb.16:
	s_or_b32 exec_lo, exec_lo, s0
.LBB15_17:
	s_or_b32 exec_lo, exec_lo, s1
.LBB15_18:
	v_mbcnt_lo_u32_b32 v2, -1, 0
	s_mov_b32 s3, -1
	v_xor_b32_e32 v3, 2, v2
	v_cmp_gt_i32_e32 vcc_lo, 32, v3
	v_cndmask_b32_e32 v3, v2, v3, vcc_lo
	v_lshlrev_b32_e32 v3, 2, v3
	ds_bpermute_b32 v4, v3, v9
	ds_bpermute_b32 v5, v3, v11
	;; [unrolled: 1-line block ×3, first 2 shown]
	v_xor_b32_e32 v3, 1, v2
	v_cmp_gt_i32_e32 vcc_lo, 32, v3
	v_cndmask_b32_e32 v2, v2, v3, vcc_lo
	v_cmp_eq_u32_e32 vcc_lo, 3, v0
	v_lshlrev_b32_e32 v7, 2, v2
	s_waitcnt lgkmcnt(2)
	v_add_f32_e32 v2, v9, v4
	s_waitcnt lgkmcnt(1)
	v_add_f32_e32 v3, v11, v5
	;; [unrolled: 2-line block ×3, first 2 shown]
	ds_bpermute_b32 v5, v7, v2
	ds_bpermute_b32 v6, v7, v3
	ds_bpermute_b32 v7, v7, v4
	s_and_b32 exec_lo, exec_lo, vcc_lo
	s_cbranch_execz .LBB15_23
; %bb.19:
	s_load_dwordx2 s[0:1], s[4:5], 0x38
	s_waitcnt lgkmcnt(0)
	v_add_f32_e32 v0, v2, v5
	v_add_f32_e32 v2, v3, v6
	;; [unrolled: 1-line block ×3, first 2 shown]
	v_lshl_add_u32 v3, v1, 1, v1
	v_cmp_eq_f32_e64 s4, s2, 0
	v_mul_f32_e32 v0, s16, v0
	v_mul_f32_e32 v1, s16, v2
	;; [unrolled: 1-line block ×3, first 2 shown]
	v_ashrrev_i32_e32 v4, 31, v3
	s_and_b32 vcc_lo, exec_lo, s4
	s_cbranch_vccz .LBB15_21
; %bb.20:
	v_lshlrev_b64 v[5:6], 2, v[3:4]
	s_mov_b32 s3, 0
	v_add_co_u32 v5, vcc_lo, s0, v5
	v_add_co_ci_u32_e64 v6, null, s1, v6, vcc_lo
	global_store_dwordx3 v[5:6], v[0:2], off
.LBB15_21:
	s_andn2_b32 vcc_lo, exec_lo, s3
	s_cbranch_vccnz .LBB15_23
; %bb.22:
	v_lshlrev_b64 v[3:4], 2, v[3:4]
	v_add_co_u32 v6, vcc_lo, s0, v3
	v_add_co_ci_u32_e64 v7, null, s1, v4, vcc_lo
	global_load_dwordx3 v[3:5], v[6:7], off
	s_waitcnt vmcnt(0)
	v_fmac_f32_e32 v0, s2, v3
	v_fmac_f32_e32 v1, s2, v4
	;; [unrolled: 1-line block ×3, first 2 shown]
	global_store_dwordx3 v[6:7], v[0:2], off
.LBB15_23:
	s_endpgm
	.section	.rodata,"a",@progbits
	.p2align	6, 0x0
	.amdhsa_kernel _ZN9rocsparseL19gebsrmvn_3xn_kernelILj128ELj5ELj4EfEEvi20rocsparse_direction_NS_24const_host_device_scalarIT2_EEPKiS6_PKS3_S8_S4_PS3_21rocsparse_index_base_b
		.amdhsa_group_segment_fixed_size 0
		.amdhsa_private_segment_fixed_size 0
		.amdhsa_kernarg_size 72
		.amdhsa_user_sgpr_count 6
		.amdhsa_user_sgpr_private_segment_buffer 1
		.amdhsa_user_sgpr_dispatch_ptr 0
		.amdhsa_user_sgpr_queue_ptr 0
		.amdhsa_user_sgpr_kernarg_segment_ptr 1
		.amdhsa_user_sgpr_dispatch_id 0
		.amdhsa_user_sgpr_flat_scratch_init 0
		.amdhsa_user_sgpr_private_segment_size 0
		.amdhsa_wavefront_size32 1
		.amdhsa_uses_dynamic_stack 0
		.amdhsa_system_sgpr_private_segment_wavefront_offset 0
		.amdhsa_system_sgpr_workgroup_id_x 1
		.amdhsa_system_sgpr_workgroup_id_y 0
		.amdhsa_system_sgpr_workgroup_id_z 0
		.amdhsa_system_sgpr_workgroup_info 0
		.amdhsa_system_vgpr_workitem_id 0
		.amdhsa_next_free_vgpr 36
		.amdhsa_next_free_sgpr 20
		.amdhsa_reserve_vcc 1
		.amdhsa_reserve_flat_scratch 0
		.amdhsa_float_round_mode_32 0
		.amdhsa_float_round_mode_16_64 0
		.amdhsa_float_denorm_mode_32 3
		.amdhsa_float_denorm_mode_16_64 3
		.amdhsa_dx10_clamp 1
		.amdhsa_ieee_mode 1
		.amdhsa_fp16_overflow 0
		.amdhsa_workgroup_processor_mode 1
		.amdhsa_memory_ordered 1
		.amdhsa_forward_progress 1
		.amdhsa_shared_vgpr_count 0
		.amdhsa_exception_fp_ieee_invalid_op 0
		.amdhsa_exception_fp_denorm_src 0
		.amdhsa_exception_fp_ieee_div_zero 0
		.amdhsa_exception_fp_ieee_overflow 0
		.amdhsa_exception_fp_ieee_underflow 0
		.amdhsa_exception_fp_ieee_inexact 0
		.amdhsa_exception_int_div_zero 0
	.end_amdhsa_kernel
	.section	.text._ZN9rocsparseL19gebsrmvn_3xn_kernelILj128ELj5ELj4EfEEvi20rocsparse_direction_NS_24const_host_device_scalarIT2_EEPKiS6_PKS3_S8_S4_PS3_21rocsparse_index_base_b,"axG",@progbits,_ZN9rocsparseL19gebsrmvn_3xn_kernelILj128ELj5ELj4EfEEvi20rocsparse_direction_NS_24const_host_device_scalarIT2_EEPKiS6_PKS3_S8_S4_PS3_21rocsparse_index_base_b,comdat
.Lfunc_end15:
	.size	_ZN9rocsparseL19gebsrmvn_3xn_kernelILj128ELj5ELj4EfEEvi20rocsparse_direction_NS_24const_host_device_scalarIT2_EEPKiS6_PKS3_S8_S4_PS3_21rocsparse_index_base_b, .Lfunc_end15-_ZN9rocsparseL19gebsrmvn_3xn_kernelILj128ELj5ELj4EfEEvi20rocsparse_direction_NS_24const_host_device_scalarIT2_EEPKiS6_PKS3_S8_S4_PS3_21rocsparse_index_base_b
                                        ; -- End function
	.set _ZN9rocsparseL19gebsrmvn_3xn_kernelILj128ELj5ELj4EfEEvi20rocsparse_direction_NS_24const_host_device_scalarIT2_EEPKiS6_PKS3_S8_S4_PS3_21rocsparse_index_base_b.num_vgpr, 36
	.set _ZN9rocsparseL19gebsrmvn_3xn_kernelILj128ELj5ELj4EfEEvi20rocsparse_direction_NS_24const_host_device_scalarIT2_EEPKiS6_PKS3_S8_S4_PS3_21rocsparse_index_base_b.num_agpr, 0
	.set _ZN9rocsparseL19gebsrmvn_3xn_kernelILj128ELj5ELj4EfEEvi20rocsparse_direction_NS_24const_host_device_scalarIT2_EEPKiS6_PKS3_S8_S4_PS3_21rocsparse_index_base_b.numbered_sgpr, 20
	.set _ZN9rocsparseL19gebsrmvn_3xn_kernelILj128ELj5ELj4EfEEvi20rocsparse_direction_NS_24const_host_device_scalarIT2_EEPKiS6_PKS3_S8_S4_PS3_21rocsparse_index_base_b.num_named_barrier, 0
	.set _ZN9rocsparseL19gebsrmvn_3xn_kernelILj128ELj5ELj4EfEEvi20rocsparse_direction_NS_24const_host_device_scalarIT2_EEPKiS6_PKS3_S8_S4_PS3_21rocsparse_index_base_b.private_seg_size, 0
	.set _ZN9rocsparseL19gebsrmvn_3xn_kernelILj128ELj5ELj4EfEEvi20rocsparse_direction_NS_24const_host_device_scalarIT2_EEPKiS6_PKS3_S8_S4_PS3_21rocsparse_index_base_b.uses_vcc, 1
	.set _ZN9rocsparseL19gebsrmvn_3xn_kernelILj128ELj5ELj4EfEEvi20rocsparse_direction_NS_24const_host_device_scalarIT2_EEPKiS6_PKS3_S8_S4_PS3_21rocsparse_index_base_b.uses_flat_scratch, 0
	.set _ZN9rocsparseL19gebsrmvn_3xn_kernelILj128ELj5ELj4EfEEvi20rocsparse_direction_NS_24const_host_device_scalarIT2_EEPKiS6_PKS3_S8_S4_PS3_21rocsparse_index_base_b.has_dyn_sized_stack, 0
	.set _ZN9rocsparseL19gebsrmvn_3xn_kernelILj128ELj5ELj4EfEEvi20rocsparse_direction_NS_24const_host_device_scalarIT2_EEPKiS6_PKS3_S8_S4_PS3_21rocsparse_index_base_b.has_recursion, 0
	.set _ZN9rocsparseL19gebsrmvn_3xn_kernelILj128ELj5ELj4EfEEvi20rocsparse_direction_NS_24const_host_device_scalarIT2_EEPKiS6_PKS3_S8_S4_PS3_21rocsparse_index_base_b.has_indirect_call, 0
	.section	.AMDGPU.csdata,"",@progbits
; Kernel info:
; codeLenInByte = 2524
; TotalNumSgprs: 22
; NumVgprs: 36
; ScratchSize: 0
; MemoryBound: 0
; FloatMode: 240
; IeeeMode: 1
; LDSByteSize: 0 bytes/workgroup (compile time only)
; SGPRBlocks: 0
; VGPRBlocks: 4
; NumSGPRsForWavesPerEU: 22
; NumVGPRsForWavesPerEU: 36
; Occupancy: 16
; WaveLimiterHint : 1
; COMPUTE_PGM_RSRC2:SCRATCH_EN: 0
; COMPUTE_PGM_RSRC2:USER_SGPR: 6
; COMPUTE_PGM_RSRC2:TRAP_HANDLER: 0
; COMPUTE_PGM_RSRC2:TGID_X_EN: 1
; COMPUTE_PGM_RSRC2:TGID_Y_EN: 0
; COMPUTE_PGM_RSRC2:TGID_Z_EN: 0
; COMPUTE_PGM_RSRC2:TIDIG_COMP_CNT: 0
	.section	.text._ZN9rocsparseL19gebsrmvn_3xn_kernelILj128ELj5ELj8EfEEvi20rocsparse_direction_NS_24const_host_device_scalarIT2_EEPKiS6_PKS3_S8_S4_PS3_21rocsparse_index_base_b,"axG",@progbits,_ZN9rocsparseL19gebsrmvn_3xn_kernelILj128ELj5ELj8EfEEvi20rocsparse_direction_NS_24const_host_device_scalarIT2_EEPKiS6_PKS3_S8_S4_PS3_21rocsparse_index_base_b,comdat
	.globl	_ZN9rocsparseL19gebsrmvn_3xn_kernelILj128ELj5ELj8EfEEvi20rocsparse_direction_NS_24const_host_device_scalarIT2_EEPKiS6_PKS3_S8_S4_PS3_21rocsparse_index_base_b ; -- Begin function _ZN9rocsparseL19gebsrmvn_3xn_kernelILj128ELj5ELj8EfEEvi20rocsparse_direction_NS_24const_host_device_scalarIT2_EEPKiS6_PKS3_S8_S4_PS3_21rocsparse_index_base_b
	.p2align	8
	.type	_ZN9rocsparseL19gebsrmvn_3xn_kernelILj128ELj5ELj8EfEEvi20rocsparse_direction_NS_24const_host_device_scalarIT2_EEPKiS6_PKS3_S8_S4_PS3_21rocsparse_index_base_b,@function
_ZN9rocsparseL19gebsrmvn_3xn_kernelILj128ELj5ELj8EfEEvi20rocsparse_direction_NS_24const_host_device_scalarIT2_EEPKiS6_PKS3_S8_S4_PS3_21rocsparse_index_base_b: ; @_ZN9rocsparseL19gebsrmvn_3xn_kernelILj128ELj5ELj8EfEEvi20rocsparse_direction_NS_24const_host_device_scalarIT2_EEPKiS6_PKS3_S8_S4_PS3_21rocsparse_index_base_b
; %bb.0:
	s_clause 0x2
	s_load_dwordx2 s[18:19], s[4:5], 0x40
	s_load_dwordx2 s[16:17], s[4:5], 0x8
	;; [unrolled: 1-line block ×3, first 2 shown]
	s_waitcnt lgkmcnt(0)
	s_bitcmp1_b32 s19, 0
	s_cselect_b32 s0, -1, 0
	s_and_b32 vcc_lo, exec_lo, s0
	s_xor_b32 s0, s0, -1
	s_cbranch_vccnz .LBB16_2
; %bb.1:
	s_load_dword s16, s[16:17], 0x0
.LBB16_2:
	s_andn2_b32 vcc_lo, exec_lo, s0
	s_cbranch_vccnz .LBB16_4
; %bb.3:
	s_load_dword s2, s[2:3], 0x0
.LBB16_4:
	s_waitcnt lgkmcnt(0)
	v_cmp_eq_f32_e64 s0, s16, 0
	v_cmp_eq_f32_e64 s1, s2, 1.0
	s_and_b32 s0, s0, s1
	s_and_b32 vcc_lo, exec_lo, s0
	s_cbranch_vccnz .LBB16_23
; %bb.5:
	s_load_dwordx2 s[0:1], s[4:5], 0x0
	v_lshrrev_b32_e32 v1, 3, v0
	v_lshl_or_b32 v1, s6, 4, v1
	s_waitcnt lgkmcnt(0)
	v_cmp_gt_i32_e32 vcc_lo, s0, v1
	s_and_saveexec_b32 s0, vcc_lo
	s_cbranch_execz .LBB16_23
; %bb.6:
	s_load_dwordx8 s[8:15], s[4:5], 0x10
	v_ashrrev_i32_e32 v2, 31, v1
	v_and_b32_e32 v0, 7, v0
	s_cmp_lg_u32 s1, 0
	v_lshlrev_b64 v[2:3], 2, v[1:2]
	s_waitcnt lgkmcnt(0)
	v_add_co_u32 v2, vcc_lo, s8, v2
	v_add_co_ci_u32_e64 v3, null, s9, v3, vcc_lo
	global_load_dwordx2 v[2:3], v[2:3], off
	s_waitcnt vmcnt(0)
	v_subrev_nc_u32_e32 v2, s18, v2
	v_subrev_nc_u32_e32 v12, s18, v3
	v_add_nc_u32_e32 v2, v2, v0
	v_cmp_lt_i32_e64 s0, v2, v12
	s_cbranch_scc0 .LBB16_12
; %bb.7:
	v_mov_b32_e32 v9, 0
	v_mov_b32_e32 v10, 0
	v_mov_b32_e32 v11, 0
	s_and_saveexec_b32 s1, s0
	s_cbranch_execz .LBB16_11
; %bb.8:
	v_mad_u64_u32 v[3:4], null, v2, 15, 14
	v_mov_b32_e32 v6, 0
	v_mov_b32_e32 v7, v2
	;; [unrolled: 1-line block ×5, first 2 shown]
	s_mov_b32 s3, 0
.LBB16_9:                               ; =>This Inner Loop Header: Depth=1
	v_ashrrev_i32_e32 v8, 31, v7
	v_mov_b32_e32 v14, v6
	v_lshlrev_b64 v[4:5], 2, v[7:8]
	v_add_nc_u32_e32 v7, 8, v7
	v_add_co_u32 v4, vcc_lo, s10, v4
	v_add_co_ci_u32_e64 v5, null, s11, v5, vcc_lo
	global_load_dword v8, v[4:5], off
	v_add_nc_u32_e32 v5, -14, v3
	v_mov_b32_e32 v4, v6
	v_lshlrev_b64 v[15:16], 2, v[5:6]
	v_add_nc_u32_e32 v5, -13, v3
	v_lshlrev_b64 v[17:18], 2, v[3:4]
	v_lshlrev_b64 v[19:20], 2, v[5:6]
	v_add_nc_u32_e32 v5, -12, v3
	v_add_co_u32 v15, vcc_lo, s12, v15
	v_add_co_ci_u32_e64 v16, null, s13, v16, vcc_lo
	v_add_co_u32 v17, vcc_lo, s12, v17
	v_lshlrev_b64 v[21:22], 2, v[5:6]
	v_add_nc_u32_e32 v5, -11, v3
	v_add_co_ci_u32_e64 v18, null, s13, v18, vcc_lo
	v_add_co_u32 v19, vcc_lo, s12, v19
	v_add_co_ci_u32_e64 v20, null, s13, v20, vcc_lo
	v_lshlrev_b64 v[4:5], 2, v[5:6]
	s_clause 0x1
	global_load_dword v23, v[15:16], off
	global_load_dword v24, v[19:20], off
	v_add_co_u32 v15, vcc_lo, s12, v21
	v_add_co_ci_u32_e64 v16, null, s13, v22, vcc_lo
	v_add_co_u32 v4, vcc_lo, s12, v4
	v_add_co_ci_u32_e64 v5, null, s13, v5, vcc_lo
	s_clause 0x1
	global_load_dword v25, v[15:16], off
	global_load_dword v26, v[4:5], off
	s_waitcnt vmcnt(4)
	v_subrev_nc_u32_e32 v4, s18, v8
	v_lshl_add_u32 v13, v4, 2, v4
	v_add_nc_u32_e32 v5, 1, v13
	v_lshlrev_b64 v[14:15], 2, v[13:14]
	v_lshlrev_b64 v[19:20], 2, v[5:6]
	v_add_nc_u32_e32 v5, -10, v3
	v_add_co_u32 v14, vcc_lo, s14, v14
	v_add_co_ci_u32_e64 v15, null, s15, v15, vcc_lo
	v_add_co_u32 v19, vcc_lo, s14, v19
	v_lshlrev_b64 v[21:22], 2, v[5:6]
	v_add_nc_u32_e32 v5, -9, v3
	v_add_co_ci_u32_e64 v20, null, s15, v20, vcc_lo
	s_clause 0x1
	global_load_dword v8, v[14:15], off
	global_load_dword v27, v[19:20], off
	v_lshlrev_b64 v[14:15], 2, v[5:6]
	v_add_nc_u32_e32 v5, -8, v3
	v_add_co_u32 v19, vcc_lo, s12, v21
	v_add_co_ci_u32_e64 v20, null, s13, v22, vcc_lo
	v_add_co_u32 v14, vcc_lo, s12, v14
	v_lshlrev_b64 v[21:22], 2, v[5:6]
	v_add_nc_u32_e32 v5, 2, v13
	v_add_co_ci_u32_e64 v15, null, s13, v15, vcc_lo
	s_clause 0x1
	global_load_dword v28, v[19:20], off
	global_load_dword v29, v[14:15], off
	v_lshlrev_b64 v[19:20], 2, v[5:6]
	v_add_nc_u32_e32 v5, -7, v3
	v_add_co_u32 v14, vcc_lo, s12, v21
	v_add_co_ci_u32_e64 v15, null, s13, v22, vcc_lo
	v_lshlrev_b64 v[21:22], 2, v[5:6]
	v_add_nc_u32_e32 v5, -6, v3
	v_add_co_u32 v19, vcc_lo, s14, v19
	v_add_co_ci_u32_e64 v20, null, s15, v20, vcc_lo
	global_load_dword v30, v[14:15], off
	v_lshlrev_b64 v[14:15], 2, v[5:6]
	v_add_nc_u32_e32 v5, -5, v3
	global_load_dword v31, v[19:20], off
	v_add_co_u32 v19, vcc_lo, s12, v21
	v_add_co_ci_u32_e64 v20, null, s13, v22, vcc_lo
	v_add_co_u32 v14, vcc_lo, s12, v14
	v_lshlrev_b64 v[21:22], 2, v[5:6]
	v_add_nc_u32_e32 v5, 3, v13
	v_add_co_ci_u32_e64 v15, null, s13, v15, vcc_lo
	s_clause 0x1
	global_load_dword v32, v[19:20], off
	global_load_dword v33, v[14:15], off
	v_lshlrev_b64 v[19:20], 2, v[5:6]
	v_add_nc_u32_e32 v5, -4, v3
	v_add_co_u32 v14, vcc_lo, s12, v21
	v_add_co_ci_u32_e64 v15, null, s13, v22, vcc_lo
	v_lshlrev_b64 v[21:22], 2, v[5:6]
	v_add_nc_u32_e32 v5, -3, v3
	v_add_co_u32 v19, vcc_lo, s14, v19
	v_add_co_ci_u32_e64 v20, null, s15, v20, vcc_lo
	global_load_dword v34, v[14:15], off
	v_lshlrev_b64 v[14:15], 2, v[5:6]
	v_add_nc_u32_e32 v5, -2, v3
	global_load_dword v35, v[19:20], off
	v_add_co_u32 v19, vcc_lo, s12, v21
	v_add_co_ci_u32_e64 v20, null, s13, v22, vcc_lo
	v_lshlrev_b64 v[21:22], 2, v[5:6]
	v_add_nc_u32_e32 v5, 4, v13
	v_add_co_u32 v13, vcc_lo, s12, v14
	v_add_co_ci_u32_e64 v14, null, s13, v15, vcc_lo
	v_lshlrev_b64 v[15:16], 2, v[5:6]
	v_add_nc_u32_e32 v5, -1, v3
	s_clause 0x1
	global_load_dword v19, v[19:20], off
	global_load_dword v20, v[13:14], off
	v_add_co_u32 v13, vcc_lo, s12, v21
	v_lshlrev_b64 v[4:5], 2, v[5:6]
	v_add_co_ci_u32_e64 v14, null, s13, v22, vcc_lo
	v_add_co_u32 v15, vcc_lo, s14, v15
	v_add_co_ci_u32_e64 v16, null, s15, v16, vcc_lo
	v_add_co_u32 v4, vcc_lo, s12, v4
	v_add_co_ci_u32_e64 v5, null, s13, v5, vcc_lo
	global_load_dword v13, v[13:14], off
	global_load_dword v14, v[15:16], off
	s_clause 0x1
	global_load_dword v4, v[4:5], off
	global_load_dword v5, v[17:18], off
	v_cmp_ge_i32_e32 vcc_lo, v7, v12
	v_add_nc_u32_e32 v3, 0x78, v3
	s_or_b32 s3, vcc_lo, s3
	s_waitcnt vmcnt(15)
	v_fmac_f32_e32 v9, v23, v8
	v_fmac_f32_e32 v11, v24, v8
	;; [unrolled: 1-line block ×3, first 2 shown]
	s_waitcnt vmcnt(14)
	v_fmac_f32_e32 v9, v26, v27
	s_waitcnt vmcnt(13)
	v_fmac_f32_e32 v11, v28, v27
	;; [unrolled: 2-line block ×12, first 2 shown]
	s_andn2_b32 exec_lo, exec_lo, s3
	s_cbranch_execnz .LBB16_9
; %bb.10:
	s_or_b32 exec_lo, exec_lo, s3
.LBB16_11:
	s_or_b32 exec_lo, exec_lo, s1
	s_cbranch_execz .LBB16_13
	s_branch .LBB16_18
.LBB16_12:
                                        ; implicit-def: $vgpr9
                                        ; implicit-def: $vgpr10
                                        ; implicit-def: $vgpr11
.LBB16_13:
	v_mov_b32_e32 v9, 0
	v_mov_b32_e32 v10, 0
	;; [unrolled: 1-line block ×3, first 2 shown]
	s_and_saveexec_b32 s1, s0
	s_cbranch_execz .LBB16_17
; %bb.14:
	v_mad_u64_u32 v[4:5], null, v2, 15, 14
	v_mov_b32_e32 v7, 0
	v_mov_b32_e32 v9, 0
	;; [unrolled: 1-line block ×4, first 2 shown]
	s_mov_b32 s0, 0
.LBB16_15:                              ; =>This Inner Loop Header: Depth=1
	v_ashrrev_i32_e32 v3, 31, v2
	v_add_nc_u32_e32 v13, -9, v4
	v_mov_b32_e32 v14, v7
	v_add_nc_u32_e32 v15, -4, v4
	v_mov_b32_e32 v16, v7
	v_lshlrev_b64 v[5:6], 2, v[2:3]
	v_mov_b32_e32 v17, v7
	v_lshlrev_b64 v[13:14], 2, v[13:14]
	v_add_nc_u32_e32 v2, 8, v2
	v_lshlrev_b64 v[15:16], 2, v[15:16]
	v_add_co_u32 v5, vcc_lo, s10, v5
	v_add_co_ci_u32_e64 v6, null, s11, v6, vcc_lo
	global_load_dword v3, v[5:6], off
	v_add_nc_u32_e32 v6, -14, v4
	v_mov_b32_e32 v5, v7
	v_lshlrev_b64 v[18:19], 2, v[6:7]
	v_add_nc_u32_e32 v6, -13, v4
	v_lshlrev_b64 v[20:21], 2, v[4:5]
	v_lshlrev_b64 v[5:6], 2, v[6:7]
	v_add_co_u32 v18, vcc_lo, s12, v18
	v_add_co_ci_u32_e64 v19, null, s13, v19, vcc_lo
	v_add_co_u32 v13, vcc_lo, s12, v13
	v_add_co_ci_u32_e64 v14, null, s13, v14, vcc_lo
	;; [unrolled: 2-line block ×5, first 2 shown]
	s_clause 0x3
	global_load_dword v8, v[18:19], off
	global_load_dword v19, v[13:14], off
	;; [unrolled: 1-line block ×4, first 2 shown]
	s_waitcnt vmcnt(4)
	v_subrev_nc_u32_e32 v3, s18, v3
	v_lshl_add_u32 v16, v3, 2, v3
	v_add_nc_u32_e32 v6, 1, v16
	v_lshlrev_b64 v[13:14], 2, v[16:17]
	v_lshlrev_b64 v[17:18], 2, v[6:7]
	v_add_nc_u32_e32 v6, -8, v4
	v_add_co_u32 v13, vcc_lo, s14, v13
	v_add_co_ci_u32_e64 v14, null, s15, v14, vcc_lo
	v_add_co_u32 v17, vcc_lo, s14, v17
	v_lshlrev_b64 v[22:23], 2, v[6:7]
	v_add_nc_u32_e32 v6, -3, v4
	v_add_co_ci_u32_e64 v18, null, s15, v18, vcc_lo
	s_clause 0x1
	global_load_dword v3, v[13:14], off
	global_load_dword v26, v[17:18], off
	v_lshlrev_b64 v[13:14], 2, v[6:7]
	v_add_nc_u32_e32 v6, -12, v4
	v_add_co_u32 v17, vcc_lo, s12, v22
	v_add_co_ci_u32_e64 v18, null, s13, v23, vcc_lo
	v_add_co_u32 v13, vcc_lo, s12, v13
	v_lshlrev_b64 v[22:23], 2, v[6:7]
	v_add_nc_u32_e32 v6, 2, v16
	v_add_co_ci_u32_e64 v14, null, s13, v14, vcc_lo
	s_clause 0x1
	global_load_dword v27, v[17:18], off
	global_load_dword v28, v[13:14], off
	v_lshlrev_b64 v[17:18], 2, v[6:7]
	v_add_nc_u32_e32 v6, -7, v4
	v_add_co_u32 v13, vcc_lo, s12, v22
	v_add_co_ci_u32_e64 v14, null, s13, v23, vcc_lo
	v_lshlrev_b64 v[22:23], 2, v[6:7]
	v_add_nc_u32_e32 v6, -2, v4
	v_add_co_u32 v17, vcc_lo, s14, v17
	v_add_co_ci_u32_e64 v18, null, s15, v18, vcc_lo
	global_load_dword v29, v[13:14], off
	v_lshlrev_b64 v[13:14], 2, v[6:7]
	v_add_nc_u32_e32 v6, -11, v4
	global_load_dword v30, v[17:18], off
	v_add_co_u32 v17, vcc_lo, s12, v22
	v_add_co_ci_u32_e64 v18, null, s13, v23, vcc_lo
	v_add_co_u32 v13, vcc_lo, s12, v13
	v_lshlrev_b64 v[22:23], 2, v[6:7]
	v_add_nc_u32_e32 v6, 3, v16
	v_add_co_ci_u32_e64 v14, null, s13, v14, vcc_lo
	s_clause 0x1
	global_load_dword v31, v[17:18], off
	global_load_dword v32, v[13:14], off
	v_lshlrev_b64 v[17:18], 2, v[6:7]
	v_add_nc_u32_e32 v6, -6, v4
	v_add_co_u32 v13, vcc_lo, s12, v22
	v_add_co_ci_u32_e64 v14, null, s13, v23, vcc_lo
	v_lshlrev_b64 v[22:23], 2, v[6:7]
	v_add_nc_u32_e32 v6, -1, v4
	v_add_co_u32 v17, vcc_lo, s14, v17
	v_add_co_ci_u32_e64 v18, null, s15, v18, vcc_lo
	global_load_dword v33, v[13:14], off
	v_lshlrev_b64 v[13:14], 2, v[6:7]
	v_add_nc_u32_e32 v6, -10, v4
	global_load_dword v34, v[17:18], off
	v_add_co_u32 v17, vcc_lo, s12, v22
	v_add_co_ci_u32_e64 v18, null, s13, v23, vcc_lo
	v_lshlrev_b64 v[22:23], 2, v[6:7]
	v_add_nc_u32_e32 v6, 4, v16
	v_add_co_u32 v13, vcc_lo, s12, v13
	v_add_co_ci_u32_e64 v14, null, s13, v14, vcc_lo
	v_lshlrev_b64 v[15:16], 2, v[6:7]
	v_add_nc_u32_e32 v6, -5, v4
	s_clause 0x1
	global_load_dword v17, v[17:18], off
	global_load_dword v18, v[13:14], off
	v_add_co_u32 v13, vcc_lo, s12, v22
	v_lshlrev_b64 v[5:6], 2, v[6:7]
	v_add_co_ci_u32_e64 v14, null, s13, v23, vcc_lo
	v_add_co_u32 v15, vcc_lo, s14, v15
	v_add_co_ci_u32_e64 v16, null, s15, v16, vcc_lo
	v_add_co_u32 v5, vcc_lo, s12, v5
	v_add_co_ci_u32_e64 v6, null, s13, v6, vcc_lo
	global_load_dword v13, v[13:14], off
	global_load_dword v14, v[15:16], off
	s_clause 0x1
	global_load_dword v5, v[5:6], off
	global_load_dword v6, v[20:21], off
	v_cmp_ge_i32_e32 vcc_lo, v2, v12
	v_add_nc_u32_e32 v4, 0x78, v4
	s_or_b32 s0, vcc_lo, s0
	s_waitcnt vmcnt(15)
	v_fmac_f32_e32 v9, v8, v3
	v_fmac_f32_e32 v11, v19, v3
	v_fmac_f32_e32 v10, v24, v3
	s_waitcnt vmcnt(14)
	v_fmac_f32_e32 v9, v25, v26
	s_waitcnt vmcnt(13)
	v_fmac_f32_e32 v11, v27, v26
	;; [unrolled: 2-line block ×12, first 2 shown]
	s_andn2_b32 exec_lo, exec_lo, s0
	s_cbranch_execnz .LBB16_15
; %bb.16:
	s_or_b32 exec_lo, exec_lo, s0
.LBB16_17:
	s_or_b32 exec_lo, exec_lo, s1
.LBB16_18:
	v_mbcnt_lo_u32_b32 v2, -1, 0
	s_mov_b32 s3, -1
	v_xor_b32_e32 v3, 4, v2
	v_xor_b32_e32 v6, 2, v2
	v_cmp_gt_i32_e32 vcc_lo, 32, v3
	v_cndmask_b32_e32 v3, v2, v3, vcc_lo
	v_cmp_gt_i32_e32 vcc_lo, 32, v6
	v_lshlrev_b32_e32 v3, 2, v3
	v_cndmask_b32_e32 v6, v2, v6, vcc_lo
	ds_bpermute_b32 v4, v3, v9
	ds_bpermute_b32 v5, v3, v11
	;; [unrolled: 1-line block ×3, first 2 shown]
	v_lshlrev_b32_e32 v6, 2, v6
	s_waitcnt lgkmcnt(2)
	v_add_f32_e32 v4, v9, v4
	s_waitcnt lgkmcnt(1)
	v_add_f32_e32 v5, v11, v5
	;; [unrolled: 2-line block ×3, first 2 shown]
	v_xor_b32_e32 v9, 1, v2
	ds_bpermute_b32 v3, v6, v4
	ds_bpermute_b32 v8, v6, v5
	;; [unrolled: 1-line block ×3, first 2 shown]
	v_cmp_gt_i32_e32 vcc_lo, 32, v9
	v_cndmask_b32_e32 v2, v2, v9, vcc_lo
	v_cmp_eq_u32_e32 vcc_lo, 7, v0
	v_lshlrev_b32_e32 v9, 2, v2
	s_waitcnt lgkmcnt(2)
	v_add_f32_e32 v2, v4, v3
	s_waitcnt lgkmcnt(1)
	v_add_f32_e32 v3, v5, v8
	;; [unrolled: 2-line block ×3, first 2 shown]
	ds_bpermute_b32 v5, v9, v2
	ds_bpermute_b32 v6, v9, v3
	;; [unrolled: 1-line block ×3, first 2 shown]
	s_and_b32 exec_lo, exec_lo, vcc_lo
	s_cbranch_execz .LBB16_23
; %bb.19:
	s_load_dwordx2 s[0:1], s[4:5], 0x38
	s_waitcnt lgkmcnt(0)
	v_add_f32_e32 v0, v2, v5
	v_add_f32_e32 v2, v3, v6
	;; [unrolled: 1-line block ×3, first 2 shown]
	v_lshl_add_u32 v3, v1, 1, v1
	v_cmp_eq_f32_e64 s4, s2, 0
	v_mul_f32_e32 v0, s16, v0
	v_mul_f32_e32 v1, s16, v2
	;; [unrolled: 1-line block ×3, first 2 shown]
	v_ashrrev_i32_e32 v4, 31, v3
	s_and_b32 vcc_lo, exec_lo, s4
	s_cbranch_vccz .LBB16_21
; %bb.20:
	v_lshlrev_b64 v[5:6], 2, v[3:4]
	s_mov_b32 s3, 0
	v_add_co_u32 v5, vcc_lo, s0, v5
	v_add_co_ci_u32_e64 v6, null, s1, v6, vcc_lo
	global_store_dwordx3 v[5:6], v[0:2], off
.LBB16_21:
	s_andn2_b32 vcc_lo, exec_lo, s3
	s_cbranch_vccnz .LBB16_23
; %bb.22:
	v_lshlrev_b64 v[3:4], 2, v[3:4]
	v_add_co_u32 v6, vcc_lo, s0, v3
	v_add_co_ci_u32_e64 v7, null, s1, v4, vcc_lo
	global_load_dwordx3 v[3:5], v[6:7], off
	s_waitcnt vmcnt(0)
	v_fmac_f32_e32 v0, s2, v3
	v_fmac_f32_e32 v1, s2, v4
	;; [unrolled: 1-line block ×3, first 2 shown]
	global_store_dwordx3 v[6:7], v[0:2], off
.LBB16_23:
	s_endpgm
	.section	.rodata,"a",@progbits
	.p2align	6, 0x0
	.amdhsa_kernel _ZN9rocsparseL19gebsrmvn_3xn_kernelILj128ELj5ELj8EfEEvi20rocsparse_direction_NS_24const_host_device_scalarIT2_EEPKiS6_PKS3_S8_S4_PS3_21rocsparse_index_base_b
		.amdhsa_group_segment_fixed_size 0
		.amdhsa_private_segment_fixed_size 0
		.amdhsa_kernarg_size 72
		.amdhsa_user_sgpr_count 6
		.amdhsa_user_sgpr_private_segment_buffer 1
		.amdhsa_user_sgpr_dispatch_ptr 0
		.amdhsa_user_sgpr_queue_ptr 0
		.amdhsa_user_sgpr_kernarg_segment_ptr 1
		.amdhsa_user_sgpr_dispatch_id 0
		.amdhsa_user_sgpr_flat_scratch_init 0
		.amdhsa_user_sgpr_private_segment_size 0
		.amdhsa_wavefront_size32 1
		.amdhsa_uses_dynamic_stack 0
		.amdhsa_system_sgpr_private_segment_wavefront_offset 0
		.amdhsa_system_sgpr_workgroup_id_x 1
		.amdhsa_system_sgpr_workgroup_id_y 0
		.amdhsa_system_sgpr_workgroup_id_z 0
		.amdhsa_system_sgpr_workgroup_info 0
		.amdhsa_system_vgpr_workitem_id 0
		.amdhsa_next_free_vgpr 36
		.amdhsa_next_free_sgpr 20
		.amdhsa_reserve_vcc 1
		.amdhsa_reserve_flat_scratch 0
		.amdhsa_float_round_mode_32 0
		.amdhsa_float_round_mode_16_64 0
		.amdhsa_float_denorm_mode_32 3
		.amdhsa_float_denorm_mode_16_64 3
		.amdhsa_dx10_clamp 1
		.amdhsa_ieee_mode 1
		.amdhsa_fp16_overflow 0
		.amdhsa_workgroup_processor_mode 1
		.amdhsa_memory_ordered 1
		.amdhsa_forward_progress 1
		.amdhsa_shared_vgpr_count 0
		.amdhsa_exception_fp_ieee_invalid_op 0
		.amdhsa_exception_fp_denorm_src 0
		.amdhsa_exception_fp_ieee_div_zero 0
		.amdhsa_exception_fp_ieee_overflow 0
		.amdhsa_exception_fp_ieee_underflow 0
		.amdhsa_exception_fp_ieee_inexact 0
		.amdhsa_exception_int_div_zero 0
	.end_amdhsa_kernel
	.section	.text._ZN9rocsparseL19gebsrmvn_3xn_kernelILj128ELj5ELj8EfEEvi20rocsparse_direction_NS_24const_host_device_scalarIT2_EEPKiS6_PKS3_S8_S4_PS3_21rocsparse_index_base_b,"axG",@progbits,_ZN9rocsparseL19gebsrmvn_3xn_kernelILj128ELj5ELj8EfEEvi20rocsparse_direction_NS_24const_host_device_scalarIT2_EEPKiS6_PKS3_S8_S4_PS3_21rocsparse_index_base_b,comdat
.Lfunc_end16:
	.size	_ZN9rocsparseL19gebsrmvn_3xn_kernelILj128ELj5ELj8EfEEvi20rocsparse_direction_NS_24const_host_device_scalarIT2_EEPKiS6_PKS3_S8_S4_PS3_21rocsparse_index_base_b, .Lfunc_end16-_ZN9rocsparseL19gebsrmvn_3xn_kernelILj128ELj5ELj8EfEEvi20rocsparse_direction_NS_24const_host_device_scalarIT2_EEPKiS6_PKS3_S8_S4_PS3_21rocsparse_index_base_b
                                        ; -- End function
	.set _ZN9rocsparseL19gebsrmvn_3xn_kernelILj128ELj5ELj8EfEEvi20rocsparse_direction_NS_24const_host_device_scalarIT2_EEPKiS6_PKS3_S8_S4_PS3_21rocsparse_index_base_b.num_vgpr, 36
	.set _ZN9rocsparseL19gebsrmvn_3xn_kernelILj128ELj5ELj8EfEEvi20rocsparse_direction_NS_24const_host_device_scalarIT2_EEPKiS6_PKS3_S8_S4_PS3_21rocsparse_index_base_b.num_agpr, 0
	.set _ZN9rocsparseL19gebsrmvn_3xn_kernelILj128ELj5ELj8EfEEvi20rocsparse_direction_NS_24const_host_device_scalarIT2_EEPKiS6_PKS3_S8_S4_PS3_21rocsparse_index_base_b.numbered_sgpr, 20
	.set _ZN9rocsparseL19gebsrmvn_3xn_kernelILj128ELj5ELj8EfEEvi20rocsparse_direction_NS_24const_host_device_scalarIT2_EEPKiS6_PKS3_S8_S4_PS3_21rocsparse_index_base_b.num_named_barrier, 0
	.set _ZN9rocsparseL19gebsrmvn_3xn_kernelILj128ELj5ELj8EfEEvi20rocsparse_direction_NS_24const_host_device_scalarIT2_EEPKiS6_PKS3_S8_S4_PS3_21rocsparse_index_base_b.private_seg_size, 0
	.set _ZN9rocsparseL19gebsrmvn_3xn_kernelILj128ELj5ELj8EfEEvi20rocsparse_direction_NS_24const_host_device_scalarIT2_EEPKiS6_PKS3_S8_S4_PS3_21rocsparse_index_base_b.uses_vcc, 1
	.set _ZN9rocsparseL19gebsrmvn_3xn_kernelILj128ELj5ELj8EfEEvi20rocsparse_direction_NS_24const_host_device_scalarIT2_EEPKiS6_PKS3_S8_S4_PS3_21rocsparse_index_base_b.uses_flat_scratch, 0
	.set _ZN9rocsparseL19gebsrmvn_3xn_kernelILj128ELj5ELj8EfEEvi20rocsparse_direction_NS_24const_host_device_scalarIT2_EEPKiS6_PKS3_S8_S4_PS3_21rocsparse_index_base_b.has_dyn_sized_stack, 0
	.set _ZN9rocsparseL19gebsrmvn_3xn_kernelILj128ELj5ELj8EfEEvi20rocsparse_direction_NS_24const_host_device_scalarIT2_EEPKiS6_PKS3_S8_S4_PS3_21rocsparse_index_base_b.has_recursion, 0
	.set _ZN9rocsparseL19gebsrmvn_3xn_kernelILj128ELj5ELj8EfEEvi20rocsparse_direction_NS_24const_host_device_scalarIT2_EEPKiS6_PKS3_S8_S4_PS3_21rocsparse_index_base_b.has_indirect_call, 0
	.section	.AMDGPU.csdata,"",@progbits
; Kernel info:
; codeLenInByte = 2596
; TotalNumSgprs: 22
; NumVgprs: 36
; ScratchSize: 0
; MemoryBound: 0
; FloatMode: 240
; IeeeMode: 1
; LDSByteSize: 0 bytes/workgroup (compile time only)
; SGPRBlocks: 0
; VGPRBlocks: 4
; NumSGPRsForWavesPerEU: 22
; NumVGPRsForWavesPerEU: 36
; Occupancy: 16
; WaveLimiterHint : 1
; COMPUTE_PGM_RSRC2:SCRATCH_EN: 0
; COMPUTE_PGM_RSRC2:USER_SGPR: 6
; COMPUTE_PGM_RSRC2:TRAP_HANDLER: 0
; COMPUTE_PGM_RSRC2:TGID_X_EN: 1
; COMPUTE_PGM_RSRC2:TGID_Y_EN: 0
; COMPUTE_PGM_RSRC2:TGID_Z_EN: 0
; COMPUTE_PGM_RSRC2:TIDIG_COMP_CNT: 0
	.section	.text._ZN9rocsparseL19gebsrmvn_3xn_kernelILj128ELj5ELj16EfEEvi20rocsparse_direction_NS_24const_host_device_scalarIT2_EEPKiS6_PKS3_S8_S4_PS3_21rocsparse_index_base_b,"axG",@progbits,_ZN9rocsparseL19gebsrmvn_3xn_kernelILj128ELj5ELj16EfEEvi20rocsparse_direction_NS_24const_host_device_scalarIT2_EEPKiS6_PKS3_S8_S4_PS3_21rocsparse_index_base_b,comdat
	.globl	_ZN9rocsparseL19gebsrmvn_3xn_kernelILj128ELj5ELj16EfEEvi20rocsparse_direction_NS_24const_host_device_scalarIT2_EEPKiS6_PKS3_S8_S4_PS3_21rocsparse_index_base_b ; -- Begin function _ZN9rocsparseL19gebsrmvn_3xn_kernelILj128ELj5ELj16EfEEvi20rocsparse_direction_NS_24const_host_device_scalarIT2_EEPKiS6_PKS3_S8_S4_PS3_21rocsparse_index_base_b
	.p2align	8
	.type	_ZN9rocsparseL19gebsrmvn_3xn_kernelILj128ELj5ELj16EfEEvi20rocsparse_direction_NS_24const_host_device_scalarIT2_EEPKiS6_PKS3_S8_S4_PS3_21rocsparse_index_base_b,@function
_ZN9rocsparseL19gebsrmvn_3xn_kernelILj128ELj5ELj16EfEEvi20rocsparse_direction_NS_24const_host_device_scalarIT2_EEPKiS6_PKS3_S8_S4_PS3_21rocsparse_index_base_b: ; @_ZN9rocsparseL19gebsrmvn_3xn_kernelILj128ELj5ELj16EfEEvi20rocsparse_direction_NS_24const_host_device_scalarIT2_EEPKiS6_PKS3_S8_S4_PS3_21rocsparse_index_base_b
; %bb.0:
	s_clause 0x2
	s_load_dwordx2 s[18:19], s[4:5], 0x40
	s_load_dwordx2 s[16:17], s[4:5], 0x8
	;; [unrolled: 1-line block ×3, first 2 shown]
	s_waitcnt lgkmcnt(0)
	s_bitcmp1_b32 s19, 0
	s_cselect_b32 s0, -1, 0
	s_and_b32 vcc_lo, exec_lo, s0
	s_xor_b32 s0, s0, -1
	s_cbranch_vccnz .LBB17_2
; %bb.1:
	s_load_dword s16, s[16:17], 0x0
.LBB17_2:
	s_andn2_b32 vcc_lo, exec_lo, s0
	s_cbranch_vccnz .LBB17_4
; %bb.3:
	s_load_dword s2, s[2:3], 0x0
.LBB17_4:
	s_waitcnt lgkmcnt(0)
	v_cmp_eq_f32_e64 s0, s16, 0
	v_cmp_eq_f32_e64 s1, s2, 1.0
	s_and_b32 s0, s0, s1
	s_and_b32 vcc_lo, exec_lo, s0
	s_cbranch_vccnz .LBB17_23
; %bb.5:
	s_load_dwordx2 s[0:1], s[4:5], 0x0
	v_lshrrev_b32_e32 v1, 4, v0
	v_lshl_or_b32 v1, s6, 3, v1
	s_waitcnt lgkmcnt(0)
	v_cmp_gt_i32_e32 vcc_lo, s0, v1
	s_and_saveexec_b32 s0, vcc_lo
	s_cbranch_execz .LBB17_23
; %bb.6:
	s_load_dwordx8 s[8:15], s[4:5], 0x10
	v_ashrrev_i32_e32 v2, 31, v1
	v_and_b32_e32 v0, 15, v0
	s_cmp_lg_u32 s1, 0
	v_lshlrev_b64 v[2:3], 2, v[1:2]
	s_waitcnt lgkmcnt(0)
	v_add_co_u32 v2, vcc_lo, s8, v2
	v_add_co_ci_u32_e64 v3, null, s9, v3, vcc_lo
	global_load_dwordx2 v[2:3], v[2:3], off
	s_waitcnt vmcnt(0)
	v_subrev_nc_u32_e32 v2, s18, v2
	v_subrev_nc_u32_e32 v12, s18, v3
	v_add_nc_u32_e32 v2, v2, v0
	v_cmp_lt_i32_e64 s0, v2, v12
	s_cbranch_scc0 .LBB17_12
; %bb.7:
	v_mov_b32_e32 v9, 0
	v_mov_b32_e32 v10, 0
	;; [unrolled: 1-line block ×3, first 2 shown]
	s_and_saveexec_b32 s1, s0
	s_cbranch_execz .LBB17_11
; %bb.8:
	v_mad_u64_u32 v[3:4], null, v2, 15, 14
	v_mov_b32_e32 v6, 0
	v_mov_b32_e32 v7, v2
	;; [unrolled: 1-line block ×5, first 2 shown]
	s_mov_b32 s3, 0
.LBB17_9:                               ; =>This Inner Loop Header: Depth=1
	v_ashrrev_i32_e32 v8, 31, v7
	v_mov_b32_e32 v14, v6
	v_lshlrev_b64 v[4:5], 2, v[7:8]
	v_add_nc_u32_e32 v7, 16, v7
	v_add_co_u32 v4, vcc_lo, s10, v4
	v_add_co_ci_u32_e64 v5, null, s11, v5, vcc_lo
	global_load_dword v8, v[4:5], off
	v_add_nc_u32_e32 v5, -14, v3
	v_mov_b32_e32 v4, v6
	v_lshlrev_b64 v[15:16], 2, v[5:6]
	v_add_nc_u32_e32 v5, -13, v3
	v_lshlrev_b64 v[17:18], 2, v[3:4]
	v_lshlrev_b64 v[19:20], 2, v[5:6]
	v_add_nc_u32_e32 v5, -12, v3
	v_add_co_u32 v15, vcc_lo, s12, v15
	v_add_co_ci_u32_e64 v16, null, s13, v16, vcc_lo
	v_add_co_u32 v17, vcc_lo, s12, v17
	v_lshlrev_b64 v[21:22], 2, v[5:6]
	v_add_nc_u32_e32 v5, -11, v3
	v_add_co_ci_u32_e64 v18, null, s13, v18, vcc_lo
	v_add_co_u32 v19, vcc_lo, s12, v19
	v_add_co_ci_u32_e64 v20, null, s13, v20, vcc_lo
	v_lshlrev_b64 v[4:5], 2, v[5:6]
	s_clause 0x1
	global_load_dword v23, v[15:16], off
	global_load_dword v24, v[19:20], off
	v_add_co_u32 v15, vcc_lo, s12, v21
	v_add_co_ci_u32_e64 v16, null, s13, v22, vcc_lo
	v_add_co_u32 v4, vcc_lo, s12, v4
	v_add_co_ci_u32_e64 v5, null, s13, v5, vcc_lo
	s_clause 0x1
	global_load_dword v25, v[15:16], off
	global_load_dword v26, v[4:5], off
	s_waitcnt vmcnt(4)
	v_subrev_nc_u32_e32 v4, s18, v8
	v_lshl_add_u32 v13, v4, 2, v4
	v_add_nc_u32_e32 v5, 1, v13
	v_lshlrev_b64 v[14:15], 2, v[13:14]
	v_lshlrev_b64 v[19:20], 2, v[5:6]
	v_add_nc_u32_e32 v5, -10, v3
	v_add_co_u32 v14, vcc_lo, s14, v14
	v_add_co_ci_u32_e64 v15, null, s15, v15, vcc_lo
	v_add_co_u32 v19, vcc_lo, s14, v19
	v_lshlrev_b64 v[21:22], 2, v[5:6]
	v_add_nc_u32_e32 v5, -9, v3
	v_add_co_ci_u32_e64 v20, null, s15, v20, vcc_lo
	s_clause 0x1
	global_load_dword v8, v[14:15], off
	global_load_dword v27, v[19:20], off
	v_lshlrev_b64 v[14:15], 2, v[5:6]
	v_add_nc_u32_e32 v5, -8, v3
	v_add_co_u32 v19, vcc_lo, s12, v21
	v_add_co_ci_u32_e64 v20, null, s13, v22, vcc_lo
	v_add_co_u32 v14, vcc_lo, s12, v14
	v_lshlrev_b64 v[21:22], 2, v[5:6]
	v_add_nc_u32_e32 v5, 2, v13
	v_add_co_ci_u32_e64 v15, null, s13, v15, vcc_lo
	s_clause 0x1
	global_load_dword v28, v[19:20], off
	global_load_dword v29, v[14:15], off
	v_lshlrev_b64 v[19:20], 2, v[5:6]
	v_add_nc_u32_e32 v5, -7, v3
	v_add_co_u32 v14, vcc_lo, s12, v21
	v_add_co_ci_u32_e64 v15, null, s13, v22, vcc_lo
	v_lshlrev_b64 v[21:22], 2, v[5:6]
	v_add_nc_u32_e32 v5, -6, v3
	v_add_co_u32 v19, vcc_lo, s14, v19
	v_add_co_ci_u32_e64 v20, null, s15, v20, vcc_lo
	global_load_dword v30, v[14:15], off
	v_lshlrev_b64 v[14:15], 2, v[5:6]
	v_add_nc_u32_e32 v5, -5, v3
	global_load_dword v31, v[19:20], off
	v_add_co_u32 v19, vcc_lo, s12, v21
	v_add_co_ci_u32_e64 v20, null, s13, v22, vcc_lo
	v_add_co_u32 v14, vcc_lo, s12, v14
	v_lshlrev_b64 v[21:22], 2, v[5:6]
	v_add_nc_u32_e32 v5, 3, v13
	v_add_co_ci_u32_e64 v15, null, s13, v15, vcc_lo
	s_clause 0x1
	global_load_dword v32, v[19:20], off
	global_load_dword v33, v[14:15], off
	v_lshlrev_b64 v[19:20], 2, v[5:6]
	v_add_nc_u32_e32 v5, -4, v3
	v_add_co_u32 v14, vcc_lo, s12, v21
	v_add_co_ci_u32_e64 v15, null, s13, v22, vcc_lo
	v_lshlrev_b64 v[21:22], 2, v[5:6]
	v_add_nc_u32_e32 v5, -3, v3
	v_add_co_u32 v19, vcc_lo, s14, v19
	v_add_co_ci_u32_e64 v20, null, s15, v20, vcc_lo
	global_load_dword v34, v[14:15], off
	v_lshlrev_b64 v[14:15], 2, v[5:6]
	v_add_nc_u32_e32 v5, -2, v3
	global_load_dword v35, v[19:20], off
	v_add_co_u32 v19, vcc_lo, s12, v21
	v_add_co_ci_u32_e64 v20, null, s13, v22, vcc_lo
	v_lshlrev_b64 v[21:22], 2, v[5:6]
	v_add_nc_u32_e32 v5, 4, v13
	v_add_co_u32 v13, vcc_lo, s12, v14
	v_add_co_ci_u32_e64 v14, null, s13, v15, vcc_lo
	v_lshlrev_b64 v[15:16], 2, v[5:6]
	v_add_nc_u32_e32 v5, -1, v3
	s_clause 0x1
	global_load_dword v19, v[19:20], off
	global_load_dword v20, v[13:14], off
	v_add_co_u32 v13, vcc_lo, s12, v21
	v_lshlrev_b64 v[4:5], 2, v[5:6]
	v_add_co_ci_u32_e64 v14, null, s13, v22, vcc_lo
	v_add_co_u32 v15, vcc_lo, s14, v15
	v_add_co_ci_u32_e64 v16, null, s15, v16, vcc_lo
	v_add_co_u32 v4, vcc_lo, s12, v4
	v_add_co_ci_u32_e64 v5, null, s13, v5, vcc_lo
	global_load_dword v13, v[13:14], off
	global_load_dword v14, v[15:16], off
	s_clause 0x1
	global_load_dword v4, v[4:5], off
	global_load_dword v5, v[17:18], off
	v_cmp_ge_i32_e32 vcc_lo, v7, v12
	v_add_nc_u32_e32 v3, 0xf0, v3
	s_or_b32 s3, vcc_lo, s3
	s_waitcnt vmcnt(15)
	v_fmac_f32_e32 v9, v23, v8
	v_fmac_f32_e32 v11, v24, v8
	;; [unrolled: 1-line block ×3, first 2 shown]
	s_waitcnt vmcnt(14)
	v_fmac_f32_e32 v9, v26, v27
	s_waitcnt vmcnt(13)
	v_fmac_f32_e32 v11, v28, v27
	;; [unrolled: 2-line block ×12, first 2 shown]
	s_andn2_b32 exec_lo, exec_lo, s3
	s_cbranch_execnz .LBB17_9
; %bb.10:
	s_or_b32 exec_lo, exec_lo, s3
.LBB17_11:
	s_or_b32 exec_lo, exec_lo, s1
	s_cbranch_execz .LBB17_13
	s_branch .LBB17_18
.LBB17_12:
                                        ; implicit-def: $vgpr9
                                        ; implicit-def: $vgpr10
                                        ; implicit-def: $vgpr11
.LBB17_13:
	v_mov_b32_e32 v9, 0
	v_mov_b32_e32 v10, 0
	;; [unrolled: 1-line block ×3, first 2 shown]
	s_and_saveexec_b32 s1, s0
	s_cbranch_execz .LBB17_17
; %bb.14:
	v_mad_u64_u32 v[4:5], null, v2, 15, 14
	v_mov_b32_e32 v7, 0
	v_mov_b32_e32 v9, 0
	;; [unrolled: 1-line block ×4, first 2 shown]
	s_mov_b32 s0, 0
.LBB17_15:                              ; =>This Inner Loop Header: Depth=1
	v_ashrrev_i32_e32 v3, 31, v2
	v_add_nc_u32_e32 v13, -9, v4
	v_mov_b32_e32 v14, v7
	v_add_nc_u32_e32 v15, -4, v4
	v_mov_b32_e32 v16, v7
	v_lshlrev_b64 v[5:6], 2, v[2:3]
	v_mov_b32_e32 v17, v7
	v_lshlrev_b64 v[13:14], 2, v[13:14]
	v_add_nc_u32_e32 v2, 16, v2
	v_lshlrev_b64 v[15:16], 2, v[15:16]
	v_add_co_u32 v5, vcc_lo, s10, v5
	v_add_co_ci_u32_e64 v6, null, s11, v6, vcc_lo
	global_load_dword v3, v[5:6], off
	v_add_nc_u32_e32 v6, -14, v4
	v_mov_b32_e32 v5, v7
	v_lshlrev_b64 v[18:19], 2, v[6:7]
	v_add_nc_u32_e32 v6, -13, v4
	v_lshlrev_b64 v[20:21], 2, v[4:5]
	v_lshlrev_b64 v[5:6], 2, v[6:7]
	v_add_co_u32 v18, vcc_lo, s12, v18
	v_add_co_ci_u32_e64 v19, null, s13, v19, vcc_lo
	v_add_co_u32 v13, vcc_lo, s12, v13
	v_add_co_ci_u32_e64 v14, null, s13, v14, vcc_lo
	;; [unrolled: 2-line block ×5, first 2 shown]
	s_clause 0x3
	global_load_dword v8, v[18:19], off
	global_load_dword v19, v[13:14], off
	;; [unrolled: 1-line block ×4, first 2 shown]
	s_waitcnt vmcnt(4)
	v_subrev_nc_u32_e32 v3, s18, v3
	v_lshl_add_u32 v16, v3, 2, v3
	v_add_nc_u32_e32 v6, 1, v16
	v_lshlrev_b64 v[13:14], 2, v[16:17]
	v_lshlrev_b64 v[17:18], 2, v[6:7]
	v_add_nc_u32_e32 v6, -8, v4
	v_add_co_u32 v13, vcc_lo, s14, v13
	v_add_co_ci_u32_e64 v14, null, s15, v14, vcc_lo
	v_add_co_u32 v17, vcc_lo, s14, v17
	v_lshlrev_b64 v[22:23], 2, v[6:7]
	v_add_nc_u32_e32 v6, -3, v4
	v_add_co_ci_u32_e64 v18, null, s15, v18, vcc_lo
	s_clause 0x1
	global_load_dword v3, v[13:14], off
	global_load_dword v26, v[17:18], off
	v_lshlrev_b64 v[13:14], 2, v[6:7]
	v_add_nc_u32_e32 v6, -12, v4
	v_add_co_u32 v17, vcc_lo, s12, v22
	v_add_co_ci_u32_e64 v18, null, s13, v23, vcc_lo
	v_add_co_u32 v13, vcc_lo, s12, v13
	v_lshlrev_b64 v[22:23], 2, v[6:7]
	v_add_nc_u32_e32 v6, 2, v16
	v_add_co_ci_u32_e64 v14, null, s13, v14, vcc_lo
	s_clause 0x1
	global_load_dword v27, v[17:18], off
	global_load_dword v28, v[13:14], off
	v_lshlrev_b64 v[17:18], 2, v[6:7]
	v_add_nc_u32_e32 v6, -7, v4
	v_add_co_u32 v13, vcc_lo, s12, v22
	v_add_co_ci_u32_e64 v14, null, s13, v23, vcc_lo
	v_lshlrev_b64 v[22:23], 2, v[6:7]
	v_add_nc_u32_e32 v6, -2, v4
	v_add_co_u32 v17, vcc_lo, s14, v17
	v_add_co_ci_u32_e64 v18, null, s15, v18, vcc_lo
	global_load_dword v29, v[13:14], off
	v_lshlrev_b64 v[13:14], 2, v[6:7]
	v_add_nc_u32_e32 v6, -11, v4
	global_load_dword v30, v[17:18], off
	v_add_co_u32 v17, vcc_lo, s12, v22
	v_add_co_ci_u32_e64 v18, null, s13, v23, vcc_lo
	v_add_co_u32 v13, vcc_lo, s12, v13
	v_lshlrev_b64 v[22:23], 2, v[6:7]
	v_add_nc_u32_e32 v6, 3, v16
	v_add_co_ci_u32_e64 v14, null, s13, v14, vcc_lo
	s_clause 0x1
	global_load_dword v31, v[17:18], off
	global_load_dword v32, v[13:14], off
	v_lshlrev_b64 v[17:18], 2, v[6:7]
	v_add_nc_u32_e32 v6, -6, v4
	v_add_co_u32 v13, vcc_lo, s12, v22
	v_add_co_ci_u32_e64 v14, null, s13, v23, vcc_lo
	v_lshlrev_b64 v[22:23], 2, v[6:7]
	v_add_nc_u32_e32 v6, -1, v4
	v_add_co_u32 v17, vcc_lo, s14, v17
	v_add_co_ci_u32_e64 v18, null, s15, v18, vcc_lo
	global_load_dword v33, v[13:14], off
	v_lshlrev_b64 v[13:14], 2, v[6:7]
	v_add_nc_u32_e32 v6, -10, v4
	global_load_dword v34, v[17:18], off
	v_add_co_u32 v17, vcc_lo, s12, v22
	v_add_co_ci_u32_e64 v18, null, s13, v23, vcc_lo
	v_lshlrev_b64 v[22:23], 2, v[6:7]
	v_add_nc_u32_e32 v6, 4, v16
	v_add_co_u32 v13, vcc_lo, s12, v13
	v_add_co_ci_u32_e64 v14, null, s13, v14, vcc_lo
	v_lshlrev_b64 v[15:16], 2, v[6:7]
	v_add_nc_u32_e32 v6, -5, v4
	s_clause 0x1
	global_load_dword v17, v[17:18], off
	global_load_dword v18, v[13:14], off
	v_add_co_u32 v13, vcc_lo, s12, v22
	v_lshlrev_b64 v[5:6], 2, v[6:7]
	v_add_co_ci_u32_e64 v14, null, s13, v23, vcc_lo
	v_add_co_u32 v15, vcc_lo, s14, v15
	v_add_co_ci_u32_e64 v16, null, s15, v16, vcc_lo
	v_add_co_u32 v5, vcc_lo, s12, v5
	v_add_co_ci_u32_e64 v6, null, s13, v6, vcc_lo
	global_load_dword v13, v[13:14], off
	global_load_dword v14, v[15:16], off
	s_clause 0x1
	global_load_dword v5, v[5:6], off
	global_load_dword v6, v[20:21], off
	v_cmp_ge_i32_e32 vcc_lo, v2, v12
	v_add_nc_u32_e32 v4, 0xf0, v4
	s_or_b32 s0, vcc_lo, s0
	s_waitcnt vmcnt(15)
	v_fmac_f32_e32 v9, v8, v3
	v_fmac_f32_e32 v11, v19, v3
	;; [unrolled: 1-line block ×3, first 2 shown]
	s_waitcnt vmcnt(14)
	v_fmac_f32_e32 v9, v25, v26
	s_waitcnt vmcnt(13)
	v_fmac_f32_e32 v11, v27, v26
	;; [unrolled: 2-line block ×12, first 2 shown]
	s_andn2_b32 exec_lo, exec_lo, s0
	s_cbranch_execnz .LBB17_15
; %bb.16:
	s_or_b32 exec_lo, exec_lo, s0
.LBB17_17:
	s_or_b32 exec_lo, exec_lo, s1
.LBB17_18:
	v_mbcnt_lo_u32_b32 v2, -1, 0
	s_mov_b32 s3, -1
	v_xor_b32_e32 v3, 8, v2
	v_xor_b32_e32 v6, 4, v2
	v_cmp_gt_i32_e32 vcc_lo, 32, v3
	v_cndmask_b32_e32 v3, v2, v3, vcc_lo
	v_cmp_gt_i32_e32 vcc_lo, 32, v6
	v_lshlrev_b32_e32 v3, 2, v3
	v_cndmask_b32_e32 v6, v2, v6, vcc_lo
	ds_bpermute_b32 v4, v3, v9
	ds_bpermute_b32 v5, v3, v11
	;; [unrolled: 1-line block ×3, first 2 shown]
	v_lshlrev_b32_e32 v6, 2, v6
	s_waitcnt lgkmcnt(2)
	v_add_f32_e32 v4, v9, v4
	s_waitcnt lgkmcnt(1)
	v_add_f32_e32 v5, v11, v5
	;; [unrolled: 2-line block ×3, first 2 shown]
	v_xor_b32_e32 v9, 2, v2
	ds_bpermute_b32 v7, v6, v4
	ds_bpermute_b32 v8, v6, v5
	;; [unrolled: 1-line block ×3, first 2 shown]
	v_cmp_gt_i32_e32 vcc_lo, 32, v9
	v_cndmask_b32_e32 v9, v2, v9, vcc_lo
	v_lshlrev_b32_e32 v9, 2, v9
	s_waitcnt lgkmcnt(2)
	v_add_f32_e32 v4, v4, v7
	s_waitcnt lgkmcnt(1)
	v_add_f32_e32 v5, v5, v8
	s_waitcnt lgkmcnt(0)
	v_add_f32_e32 v6, v3, v6
	ds_bpermute_b32 v3, v9, v4
	ds_bpermute_b32 v7, v9, v5
	;; [unrolled: 1-line block ×3, first 2 shown]
	v_xor_b32_e32 v9, 1, v2
	v_cmp_gt_i32_e32 vcc_lo, 32, v9
	v_cndmask_b32_e32 v2, v2, v9, vcc_lo
	v_cmp_eq_u32_e32 vcc_lo, 15, v0
	v_lshlrev_b32_e32 v9, 2, v2
	s_waitcnt lgkmcnt(2)
	v_add_f32_e32 v2, v4, v3
	s_waitcnt lgkmcnt(1)
	v_add_f32_e32 v3, v5, v7
	;; [unrolled: 2-line block ×3, first 2 shown]
	ds_bpermute_b32 v5, v9, v2
	ds_bpermute_b32 v6, v9, v3
	;; [unrolled: 1-line block ×3, first 2 shown]
	s_and_b32 exec_lo, exec_lo, vcc_lo
	s_cbranch_execz .LBB17_23
; %bb.19:
	s_load_dwordx2 s[0:1], s[4:5], 0x38
	s_waitcnt lgkmcnt(0)
	v_add_f32_e32 v0, v2, v5
	v_add_f32_e32 v2, v3, v6
	;; [unrolled: 1-line block ×3, first 2 shown]
	v_lshl_add_u32 v3, v1, 1, v1
	v_cmp_eq_f32_e64 s4, s2, 0
	v_mul_f32_e32 v0, s16, v0
	v_mul_f32_e32 v1, s16, v2
	;; [unrolled: 1-line block ×3, first 2 shown]
	v_ashrrev_i32_e32 v4, 31, v3
	s_and_b32 vcc_lo, exec_lo, s4
	s_cbranch_vccz .LBB17_21
; %bb.20:
	v_lshlrev_b64 v[5:6], 2, v[3:4]
	s_mov_b32 s3, 0
	v_add_co_u32 v5, vcc_lo, s0, v5
	v_add_co_ci_u32_e64 v6, null, s1, v6, vcc_lo
	global_store_dwordx3 v[5:6], v[0:2], off
.LBB17_21:
	s_andn2_b32 vcc_lo, exec_lo, s3
	s_cbranch_vccnz .LBB17_23
; %bb.22:
	v_lshlrev_b64 v[3:4], 2, v[3:4]
	v_add_co_u32 v6, vcc_lo, s0, v3
	v_add_co_ci_u32_e64 v7, null, s1, v4, vcc_lo
	global_load_dwordx3 v[3:5], v[6:7], off
	s_waitcnt vmcnt(0)
	v_fmac_f32_e32 v0, s2, v3
	v_fmac_f32_e32 v1, s2, v4
	;; [unrolled: 1-line block ×3, first 2 shown]
	global_store_dwordx3 v[6:7], v[0:2], off
.LBB17_23:
	s_endpgm
	.section	.rodata,"a",@progbits
	.p2align	6, 0x0
	.amdhsa_kernel _ZN9rocsparseL19gebsrmvn_3xn_kernelILj128ELj5ELj16EfEEvi20rocsparse_direction_NS_24const_host_device_scalarIT2_EEPKiS6_PKS3_S8_S4_PS3_21rocsparse_index_base_b
		.amdhsa_group_segment_fixed_size 0
		.amdhsa_private_segment_fixed_size 0
		.amdhsa_kernarg_size 72
		.amdhsa_user_sgpr_count 6
		.amdhsa_user_sgpr_private_segment_buffer 1
		.amdhsa_user_sgpr_dispatch_ptr 0
		.amdhsa_user_sgpr_queue_ptr 0
		.amdhsa_user_sgpr_kernarg_segment_ptr 1
		.amdhsa_user_sgpr_dispatch_id 0
		.amdhsa_user_sgpr_flat_scratch_init 0
		.amdhsa_user_sgpr_private_segment_size 0
		.amdhsa_wavefront_size32 1
		.amdhsa_uses_dynamic_stack 0
		.amdhsa_system_sgpr_private_segment_wavefront_offset 0
		.amdhsa_system_sgpr_workgroup_id_x 1
		.amdhsa_system_sgpr_workgroup_id_y 0
		.amdhsa_system_sgpr_workgroup_id_z 0
		.amdhsa_system_sgpr_workgroup_info 0
		.amdhsa_system_vgpr_workitem_id 0
		.amdhsa_next_free_vgpr 36
		.amdhsa_next_free_sgpr 20
		.amdhsa_reserve_vcc 1
		.amdhsa_reserve_flat_scratch 0
		.amdhsa_float_round_mode_32 0
		.amdhsa_float_round_mode_16_64 0
		.amdhsa_float_denorm_mode_32 3
		.amdhsa_float_denorm_mode_16_64 3
		.amdhsa_dx10_clamp 1
		.amdhsa_ieee_mode 1
		.amdhsa_fp16_overflow 0
		.amdhsa_workgroup_processor_mode 1
		.amdhsa_memory_ordered 1
		.amdhsa_forward_progress 1
		.amdhsa_shared_vgpr_count 0
		.amdhsa_exception_fp_ieee_invalid_op 0
		.amdhsa_exception_fp_denorm_src 0
		.amdhsa_exception_fp_ieee_div_zero 0
		.amdhsa_exception_fp_ieee_overflow 0
		.amdhsa_exception_fp_ieee_underflow 0
		.amdhsa_exception_fp_ieee_inexact 0
		.amdhsa_exception_int_div_zero 0
	.end_amdhsa_kernel
	.section	.text._ZN9rocsparseL19gebsrmvn_3xn_kernelILj128ELj5ELj16EfEEvi20rocsparse_direction_NS_24const_host_device_scalarIT2_EEPKiS6_PKS3_S8_S4_PS3_21rocsparse_index_base_b,"axG",@progbits,_ZN9rocsparseL19gebsrmvn_3xn_kernelILj128ELj5ELj16EfEEvi20rocsparse_direction_NS_24const_host_device_scalarIT2_EEPKiS6_PKS3_S8_S4_PS3_21rocsparse_index_base_b,comdat
.Lfunc_end17:
	.size	_ZN9rocsparseL19gebsrmvn_3xn_kernelILj128ELj5ELj16EfEEvi20rocsparse_direction_NS_24const_host_device_scalarIT2_EEPKiS6_PKS3_S8_S4_PS3_21rocsparse_index_base_b, .Lfunc_end17-_ZN9rocsparseL19gebsrmvn_3xn_kernelILj128ELj5ELj16EfEEvi20rocsparse_direction_NS_24const_host_device_scalarIT2_EEPKiS6_PKS3_S8_S4_PS3_21rocsparse_index_base_b
                                        ; -- End function
	.set _ZN9rocsparseL19gebsrmvn_3xn_kernelILj128ELj5ELj16EfEEvi20rocsparse_direction_NS_24const_host_device_scalarIT2_EEPKiS6_PKS3_S8_S4_PS3_21rocsparse_index_base_b.num_vgpr, 36
	.set _ZN9rocsparseL19gebsrmvn_3xn_kernelILj128ELj5ELj16EfEEvi20rocsparse_direction_NS_24const_host_device_scalarIT2_EEPKiS6_PKS3_S8_S4_PS3_21rocsparse_index_base_b.num_agpr, 0
	.set _ZN9rocsparseL19gebsrmvn_3xn_kernelILj128ELj5ELj16EfEEvi20rocsparse_direction_NS_24const_host_device_scalarIT2_EEPKiS6_PKS3_S8_S4_PS3_21rocsparse_index_base_b.numbered_sgpr, 20
	.set _ZN9rocsparseL19gebsrmvn_3xn_kernelILj128ELj5ELj16EfEEvi20rocsparse_direction_NS_24const_host_device_scalarIT2_EEPKiS6_PKS3_S8_S4_PS3_21rocsparse_index_base_b.num_named_barrier, 0
	.set _ZN9rocsparseL19gebsrmvn_3xn_kernelILj128ELj5ELj16EfEEvi20rocsparse_direction_NS_24const_host_device_scalarIT2_EEPKiS6_PKS3_S8_S4_PS3_21rocsparse_index_base_b.private_seg_size, 0
	.set _ZN9rocsparseL19gebsrmvn_3xn_kernelILj128ELj5ELj16EfEEvi20rocsparse_direction_NS_24const_host_device_scalarIT2_EEPKiS6_PKS3_S8_S4_PS3_21rocsparse_index_base_b.uses_vcc, 1
	.set _ZN9rocsparseL19gebsrmvn_3xn_kernelILj128ELj5ELj16EfEEvi20rocsparse_direction_NS_24const_host_device_scalarIT2_EEPKiS6_PKS3_S8_S4_PS3_21rocsparse_index_base_b.uses_flat_scratch, 0
	.set _ZN9rocsparseL19gebsrmvn_3xn_kernelILj128ELj5ELj16EfEEvi20rocsparse_direction_NS_24const_host_device_scalarIT2_EEPKiS6_PKS3_S8_S4_PS3_21rocsparse_index_base_b.has_dyn_sized_stack, 0
	.set _ZN9rocsparseL19gebsrmvn_3xn_kernelILj128ELj5ELj16EfEEvi20rocsparse_direction_NS_24const_host_device_scalarIT2_EEPKiS6_PKS3_S8_S4_PS3_21rocsparse_index_base_b.has_recursion, 0
	.set _ZN9rocsparseL19gebsrmvn_3xn_kernelILj128ELj5ELj16EfEEvi20rocsparse_direction_NS_24const_host_device_scalarIT2_EEPKiS6_PKS3_S8_S4_PS3_21rocsparse_index_base_b.has_indirect_call, 0
	.section	.AMDGPU.csdata,"",@progbits
; Kernel info:
; codeLenInByte = 2660
; TotalNumSgprs: 22
; NumVgprs: 36
; ScratchSize: 0
; MemoryBound: 0
; FloatMode: 240
; IeeeMode: 1
; LDSByteSize: 0 bytes/workgroup (compile time only)
; SGPRBlocks: 0
; VGPRBlocks: 4
; NumSGPRsForWavesPerEU: 22
; NumVGPRsForWavesPerEU: 36
; Occupancy: 16
; WaveLimiterHint : 1
; COMPUTE_PGM_RSRC2:SCRATCH_EN: 0
; COMPUTE_PGM_RSRC2:USER_SGPR: 6
; COMPUTE_PGM_RSRC2:TRAP_HANDLER: 0
; COMPUTE_PGM_RSRC2:TGID_X_EN: 1
; COMPUTE_PGM_RSRC2:TGID_Y_EN: 0
; COMPUTE_PGM_RSRC2:TGID_Z_EN: 0
; COMPUTE_PGM_RSRC2:TIDIG_COMP_CNT: 0
	.section	.text._ZN9rocsparseL19gebsrmvn_3xn_kernelILj128ELj5ELj32EfEEvi20rocsparse_direction_NS_24const_host_device_scalarIT2_EEPKiS6_PKS3_S8_S4_PS3_21rocsparse_index_base_b,"axG",@progbits,_ZN9rocsparseL19gebsrmvn_3xn_kernelILj128ELj5ELj32EfEEvi20rocsparse_direction_NS_24const_host_device_scalarIT2_EEPKiS6_PKS3_S8_S4_PS3_21rocsparse_index_base_b,comdat
	.globl	_ZN9rocsparseL19gebsrmvn_3xn_kernelILj128ELj5ELj32EfEEvi20rocsparse_direction_NS_24const_host_device_scalarIT2_EEPKiS6_PKS3_S8_S4_PS3_21rocsparse_index_base_b ; -- Begin function _ZN9rocsparseL19gebsrmvn_3xn_kernelILj128ELj5ELj32EfEEvi20rocsparse_direction_NS_24const_host_device_scalarIT2_EEPKiS6_PKS3_S8_S4_PS3_21rocsparse_index_base_b
	.p2align	8
	.type	_ZN9rocsparseL19gebsrmvn_3xn_kernelILj128ELj5ELj32EfEEvi20rocsparse_direction_NS_24const_host_device_scalarIT2_EEPKiS6_PKS3_S8_S4_PS3_21rocsparse_index_base_b,@function
_ZN9rocsparseL19gebsrmvn_3xn_kernelILj128ELj5ELj32EfEEvi20rocsparse_direction_NS_24const_host_device_scalarIT2_EEPKiS6_PKS3_S8_S4_PS3_21rocsparse_index_base_b: ; @_ZN9rocsparseL19gebsrmvn_3xn_kernelILj128ELj5ELj32EfEEvi20rocsparse_direction_NS_24const_host_device_scalarIT2_EEPKiS6_PKS3_S8_S4_PS3_21rocsparse_index_base_b
; %bb.0:
	s_clause 0x2
	s_load_dwordx2 s[18:19], s[4:5], 0x40
	s_load_dwordx2 s[16:17], s[4:5], 0x8
	;; [unrolled: 1-line block ×3, first 2 shown]
	s_waitcnt lgkmcnt(0)
	s_bitcmp1_b32 s19, 0
	s_cselect_b32 s0, -1, 0
	s_and_b32 vcc_lo, exec_lo, s0
	s_xor_b32 s0, s0, -1
	s_cbranch_vccnz .LBB18_2
; %bb.1:
	s_load_dword s16, s[16:17], 0x0
.LBB18_2:
	s_andn2_b32 vcc_lo, exec_lo, s0
	s_cbranch_vccnz .LBB18_4
; %bb.3:
	s_load_dword s2, s[2:3], 0x0
.LBB18_4:
	s_waitcnt lgkmcnt(0)
	v_cmp_eq_f32_e64 s0, s16, 0
	v_cmp_eq_f32_e64 s1, s2, 1.0
	s_and_b32 s0, s0, s1
	s_and_b32 vcc_lo, exec_lo, s0
	s_cbranch_vccnz .LBB18_23
; %bb.5:
	s_load_dwordx2 s[0:1], s[4:5], 0x0
	v_lshrrev_b32_e32 v1, 5, v0
	v_lshl_or_b32 v1, s6, 2, v1
	s_waitcnt lgkmcnt(0)
	v_cmp_gt_i32_e32 vcc_lo, s0, v1
	s_and_saveexec_b32 s0, vcc_lo
	s_cbranch_execz .LBB18_23
; %bb.6:
	s_load_dwordx8 s[8:15], s[4:5], 0x10
	v_ashrrev_i32_e32 v2, 31, v1
	v_and_b32_e32 v0, 31, v0
	s_cmp_lg_u32 s1, 0
	v_lshlrev_b64 v[2:3], 2, v[1:2]
	s_waitcnt lgkmcnt(0)
	v_add_co_u32 v2, vcc_lo, s8, v2
	v_add_co_ci_u32_e64 v3, null, s9, v3, vcc_lo
	global_load_dwordx2 v[2:3], v[2:3], off
	s_waitcnt vmcnt(0)
	v_subrev_nc_u32_e32 v2, s18, v2
	v_subrev_nc_u32_e32 v12, s18, v3
	v_add_nc_u32_e32 v2, v2, v0
	v_cmp_lt_i32_e64 s0, v2, v12
	s_cbranch_scc0 .LBB18_12
; %bb.7:
	v_mov_b32_e32 v9, 0
	v_mov_b32_e32 v10, 0
	v_mov_b32_e32 v11, 0
	s_and_saveexec_b32 s1, s0
	s_cbranch_execz .LBB18_11
; %bb.8:
	v_mad_u64_u32 v[3:4], null, v2, 15, 14
	v_mov_b32_e32 v6, 0
	v_mov_b32_e32 v7, v2
	;; [unrolled: 1-line block ×5, first 2 shown]
	s_mov_b32 s3, 0
.LBB18_9:                               ; =>This Inner Loop Header: Depth=1
	v_ashrrev_i32_e32 v8, 31, v7
	v_mov_b32_e32 v14, v6
	v_lshlrev_b64 v[4:5], 2, v[7:8]
	v_add_nc_u32_e32 v7, 32, v7
	v_add_co_u32 v4, vcc_lo, s10, v4
	v_add_co_ci_u32_e64 v5, null, s11, v5, vcc_lo
	global_load_dword v8, v[4:5], off
	v_add_nc_u32_e32 v5, -14, v3
	v_mov_b32_e32 v4, v6
	v_lshlrev_b64 v[15:16], 2, v[5:6]
	v_add_nc_u32_e32 v5, -13, v3
	v_lshlrev_b64 v[17:18], 2, v[3:4]
	v_lshlrev_b64 v[19:20], 2, v[5:6]
	v_add_nc_u32_e32 v5, -12, v3
	v_add_co_u32 v15, vcc_lo, s12, v15
	v_add_co_ci_u32_e64 v16, null, s13, v16, vcc_lo
	v_add_co_u32 v17, vcc_lo, s12, v17
	v_lshlrev_b64 v[21:22], 2, v[5:6]
	v_add_nc_u32_e32 v5, -11, v3
	v_add_co_ci_u32_e64 v18, null, s13, v18, vcc_lo
	v_add_co_u32 v19, vcc_lo, s12, v19
	v_add_co_ci_u32_e64 v20, null, s13, v20, vcc_lo
	v_lshlrev_b64 v[4:5], 2, v[5:6]
	s_clause 0x1
	global_load_dword v23, v[15:16], off
	global_load_dword v24, v[19:20], off
	v_add_co_u32 v15, vcc_lo, s12, v21
	v_add_co_ci_u32_e64 v16, null, s13, v22, vcc_lo
	v_add_co_u32 v4, vcc_lo, s12, v4
	v_add_co_ci_u32_e64 v5, null, s13, v5, vcc_lo
	s_clause 0x1
	global_load_dword v25, v[15:16], off
	global_load_dword v26, v[4:5], off
	s_waitcnt vmcnt(4)
	v_subrev_nc_u32_e32 v4, s18, v8
	v_lshl_add_u32 v13, v4, 2, v4
	v_add_nc_u32_e32 v5, 1, v13
	v_lshlrev_b64 v[14:15], 2, v[13:14]
	v_lshlrev_b64 v[19:20], 2, v[5:6]
	v_add_nc_u32_e32 v5, -10, v3
	v_add_co_u32 v14, vcc_lo, s14, v14
	v_add_co_ci_u32_e64 v15, null, s15, v15, vcc_lo
	v_add_co_u32 v19, vcc_lo, s14, v19
	v_lshlrev_b64 v[21:22], 2, v[5:6]
	v_add_nc_u32_e32 v5, -9, v3
	v_add_co_ci_u32_e64 v20, null, s15, v20, vcc_lo
	s_clause 0x1
	global_load_dword v8, v[14:15], off
	global_load_dword v27, v[19:20], off
	v_lshlrev_b64 v[14:15], 2, v[5:6]
	v_add_nc_u32_e32 v5, -8, v3
	v_add_co_u32 v19, vcc_lo, s12, v21
	v_add_co_ci_u32_e64 v20, null, s13, v22, vcc_lo
	v_add_co_u32 v14, vcc_lo, s12, v14
	v_lshlrev_b64 v[21:22], 2, v[5:6]
	v_add_nc_u32_e32 v5, 2, v13
	v_add_co_ci_u32_e64 v15, null, s13, v15, vcc_lo
	s_clause 0x1
	global_load_dword v28, v[19:20], off
	global_load_dword v29, v[14:15], off
	v_lshlrev_b64 v[19:20], 2, v[5:6]
	v_add_nc_u32_e32 v5, -7, v3
	v_add_co_u32 v14, vcc_lo, s12, v21
	v_add_co_ci_u32_e64 v15, null, s13, v22, vcc_lo
	v_lshlrev_b64 v[21:22], 2, v[5:6]
	v_add_nc_u32_e32 v5, -6, v3
	v_add_co_u32 v19, vcc_lo, s14, v19
	v_add_co_ci_u32_e64 v20, null, s15, v20, vcc_lo
	global_load_dword v30, v[14:15], off
	v_lshlrev_b64 v[14:15], 2, v[5:6]
	v_add_nc_u32_e32 v5, -5, v3
	global_load_dword v31, v[19:20], off
	v_add_co_u32 v19, vcc_lo, s12, v21
	v_add_co_ci_u32_e64 v20, null, s13, v22, vcc_lo
	v_add_co_u32 v14, vcc_lo, s12, v14
	v_lshlrev_b64 v[21:22], 2, v[5:6]
	v_add_nc_u32_e32 v5, 3, v13
	v_add_co_ci_u32_e64 v15, null, s13, v15, vcc_lo
	s_clause 0x1
	global_load_dword v32, v[19:20], off
	global_load_dword v33, v[14:15], off
	v_lshlrev_b64 v[19:20], 2, v[5:6]
	v_add_nc_u32_e32 v5, -4, v3
	v_add_co_u32 v14, vcc_lo, s12, v21
	v_add_co_ci_u32_e64 v15, null, s13, v22, vcc_lo
	v_lshlrev_b64 v[21:22], 2, v[5:6]
	v_add_nc_u32_e32 v5, -3, v3
	v_add_co_u32 v19, vcc_lo, s14, v19
	v_add_co_ci_u32_e64 v20, null, s15, v20, vcc_lo
	global_load_dword v34, v[14:15], off
	v_lshlrev_b64 v[14:15], 2, v[5:6]
	v_add_nc_u32_e32 v5, -2, v3
	global_load_dword v35, v[19:20], off
	v_add_co_u32 v19, vcc_lo, s12, v21
	v_add_co_ci_u32_e64 v20, null, s13, v22, vcc_lo
	v_lshlrev_b64 v[21:22], 2, v[5:6]
	v_add_nc_u32_e32 v5, 4, v13
	v_add_co_u32 v13, vcc_lo, s12, v14
	v_add_co_ci_u32_e64 v14, null, s13, v15, vcc_lo
	v_lshlrev_b64 v[15:16], 2, v[5:6]
	v_add_nc_u32_e32 v5, -1, v3
	s_clause 0x1
	global_load_dword v19, v[19:20], off
	global_load_dword v20, v[13:14], off
	v_add_co_u32 v13, vcc_lo, s12, v21
	v_lshlrev_b64 v[4:5], 2, v[5:6]
	v_add_co_ci_u32_e64 v14, null, s13, v22, vcc_lo
	v_add_co_u32 v15, vcc_lo, s14, v15
	v_add_co_ci_u32_e64 v16, null, s15, v16, vcc_lo
	v_add_co_u32 v4, vcc_lo, s12, v4
	v_add_co_ci_u32_e64 v5, null, s13, v5, vcc_lo
	global_load_dword v13, v[13:14], off
	global_load_dword v14, v[15:16], off
	s_clause 0x1
	global_load_dword v4, v[4:5], off
	global_load_dword v5, v[17:18], off
	v_cmp_ge_i32_e32 vcc_lo, v7, v12
	v_add_nc_u32_e32 v3, 0x1e0, v3
	s_or_b32 s3, vcc_lo, s3
	s_waitcnt vmcnt(15)
	v_fmac_f32_e32 v9, v23, v8
	v_fmac_f32_e32 v11, v24, v8
	;; [unrolled: 1-line block ×3, first 2 shown]
	s_waitcnt vmcnt(14)
	v_fmac_f32_e32 v9, v26, v27
	s_waitcnt vmcnt(13)
	v_fmac_f32_e32 v11, v28, v27
	;; [unrolled: 2-line block ×12, first 2 shown]
	s_andn2_b32 exec_lo, exec_lo, s3
	s_cbranch_execnz .LBB18_9
; %bb.10:
	s_or_b32 exec_lo, exec_lo, s3
.LBB18_11:
	s_or_b32 exec_lo, exec_lo, s1
	s_cbranch_execz .LBB18_13
	s_branch .LBB18_18
.LBB18_12:
                                        ; implicit-def: $vgpr9
                                        ; implicit-def: $vgpr10
                                        ; implicit-def: $vgpr11
.LBB18_13:
	v_mov_b32_e32 v9, 0
	v_mov_b32_e32 v10, 0
	;; [unrolled: 1-line block ×3, first 2 shown]
	s_and_saveexec_b32 s1, s0
	s_cbranch_execz .LBB18_17
; %bb.14:
	v_mad_u64_u32 v[4:5], null, v2, 15, 14
	v_mov_b32_e32 v7, 0
	v_mov_b32_e32 v9, 0
	;; [unrolled: 1-line block ×4, first 2 shown]
	s_mov_b32 s0, 0
.LBB18_15:                              ; =>This Inner Loop Header: Depth=1
	v_ashrrev_i32_e32 v3, 31, v2
	v_add_nc_u32_e32 v13, -9, v4
	v_mov_b32_e32 v14, v7
	v_add_nc_u32_e32 v15, -4, v4
	v_mov_b32_e32 v16, v7
	v_lshlrev_b64 v[5:6], 2, v[2:3]
	v_mov_b32_e32 v17, v7
	v_lshlrev_b64 v[13:14], 2, v[13:14]
	v_add_nc_u32_e32 v2, 32, v2
	v_lshlrev_b64 v[15:16], 2, v[15:16]
	v_add_co_u32 v5, vcc_lo, s10, v5
	v_add_co_ci_u32_e64 v6, null, s11, v6, vcc_lo
	global_load_dword v3, v[5:6], off
	v_add_nc_u32_e32 v6, -14, v4
	v_mov_b32_e32 v5, v7
	v_lshlrev_b64 v[18:19], 2, v[6:7]
	v_add_nc_u32_e32 v6, -13, v4
	v_lshlrev_b64 v[20:21], 2, v[4:5]
	v_lshlrev_b64 v[5:6], 2, v[6:7]
	v_add_co_u32 v18, vcc_lo, s12, v18
	v_add_co_ci_u32_e64 v19, null, s13, v19, vcc_lo
	v_add_co_u32 v13, vcc_lo, s12, v13
	v_add_co_ci_u32_e64 v14, null, s13, v14, vcc_lo
	v_add_co_u32 v15, vcc_lo, s12, v15
	v_add_co_ci_u32_e64 v16, null, s13, v16, vcc_lo
	v_add_co_u32 v20, vcc_lo, s12, v20
	v_add_co_ci_u32_e64 v21, null, s13, v21, vcc_lo
	v_add_co_u32 v5, vcc_lo, s12, v5
	v_add_co_ci_u32_e64 v6, null, s13, v6, vcc_lo
	s_clause 0x3
	global_load_dword v8, v[18:19], off
	global_load_dword v19, v[13:14], off
	;; [unrolled: 1-line block ×4, first 2 shown]
	s_waitcnt vmcnt(4)
	v_subrev_nc_u32_e32 v3, s18, v3
	v_lshl_add_u32 v16, v3, 2, v3
	v_add_nc_u32_e32 v6, 1, v16
	v_lshlrev_b64 v[13:14], 2, v[16:17]
	v_lshlrev_b64 v[17:18], 2, v[6:7]
	v_add_nc_u32_e32 v6, -8, v4
	v_add_co_u32 v13, vcc_lo, s14, v13
	v_add_co_ci_u32_e64 v14, null, s15, v14, vcc_lo
	v_add_co_u32 v17, vcc_lo, s14, v17
	v_lshlrev_b64 v[22:23], 2, v[6:7]
	v_add_nc_u32_e32 v6, -3, v4
	v_add_co_ci_u32_e64 v18, null, s15, v18, vcc_lo
	s_clause 0x1
	global_load_dword v3, v[13:14], off
	global_load_dword v26, v[17:18], off
	v_lshlrev_b64 v[13:14], 2, v[6:7]
	v_add_nc_u32_e32 v6, -12, v4
	v_add_co_u32 v17, vcc_lo, s12, v22
	v_add_co_ci_u32_e64 v18, null, s13, v23, vcc_lo
	v_add_co_u32 v13, vcc_lo, s12, v13
	v_lshlrev_b64 v[22:23], 2, v[6:7]
	v_add_nc_u32_e32 v6, 2, v16
	v_add_co_ci_u32_e64 v14, null, s13, v14, vcc_lo
	s_clause 0x1
	global_load_dword v27, v[17:18], off
	global_load_dword v28, v[13:14], off
	v_lshlrev_b64 v[17:18], 2, v[6:7]
	v_add_nc_u32_e32 v6, -7, v4
	v_add_co_u32 v13, vcc_lo, s12, v22
	v_add_co_ci_u32_e64 v14, null, s13, v23, vcc_lo
	v_lshlrev_b64 v[22:23], 2, v[6:7]
	v_add_nc_u32_e32 v6, -2, v4
	v_add_co_u32 v17, vcc_lo, s14, v17
	v_add_co_ci_u32_e64 v18, null, s15, v18, vcc_lo
	global_load_dword v29, v[13:14], off
	v_lshlrev_b64 v[13:14], 2, v[6:7]
	v_add_nc_u32_e32 v6, -11, v4
	global_load_dword v30, v[17:18], off
	v_add_co_u32 v17, vcc_lo, s12, v22
	v_add_co_ci_u32_e64 v18, null, s13, v23, vcc_lo
	v_add_co_u32 v13, vcc_lo, s12, v13
	v_lshlrev_b64 v[22:23], 2, v[6:7]
	v_add_nc_u32_e32 v6, 3, v16
	v_add_co_ci_u32_e64 v14, null, s13, v14, vcc_lo
	s_clause 0x1
	global_load_dword v31, v[17:18], off
	global_load_dword v32, v[13:14], off
	v_lshlrev_b64 v[17:18], 2, v[6:7]
	v_add_nc_u32_e32 v6, -6, v4
	v_add_co_u32 v13, vcc_lo, s12, v22
	v_add_co_ci_u32_e64 v14, null, s13, v23, vcc_lo
	v_lshlrev_b64 v[22:23], 2, v[6:7]
	v_add_nc_u32_e32 v6, -1, v4
	v_add_co_u32 v17, vcc_lo, s14, v17
	v_add_co_ci_u32_e64 v18, null, s15, v18, vcc_lo
	global_load_dword v33, v[13:14], off
	v_lshlrev_b64 v[13:14], 2, v[6:7]
	v_add_nc_u32_e32 v6, -10, v4
	global_load_dword v34, v[17:18], off
	v_add_co_u32 v17, vcc_lo, s12, v22
	v_add_co_ci_u32_e64 v18, null, s13, v23, vcc_lo
	v_lshlrev_b64 v[22:23], 2, v[6:7]
	v_add_nc_u32_e32 v6, 4, v16
	v_add_co_u32 v13, vcc_lo, s12, v13
	v_add_co_ci_u32_e64 v14, null, s13, v14, vcc_lo
	v_lshlrev_b64 v[15:16], 2, v[6:7]
	v_add_nc_u32_e32 v6, -5, v4
	s_clause 0x1
	global_load_dword v17, v[17:18], off
	global_load_dword v18, v[13:14], off
	v_add_co_u32 v13, vcc_lo, s12, v22
	v_lshlrev_b64 v[5:6], 2, v[6:7]
	v_add_co_ci_u32_e64 v14, null, s13, v23, vcc_lo
	v_add_co_u32 v15, vcc_lo, s14, v15
	v_add_co_ci_u32_e64 v16, null, s15, v16, vcc_lo
	v_add_co_u32 v5, vcc_lo, s12, v5
	v_add_co_ci_u32_e64 v6, null, s13, v6, vcc_lo
	global_load_dword v13, v[13:14], off
	global_load_dword v14, v[15:16], off
	s_clause 0x1
	global_load_dword v5, v[5:6], off
	global_load_dword v6, v[20:21], off
	v_cmp_ge_i32_e32 vcc_lo, v2, v12
	v_add_nc_u32_e32 v4, 0x1e0, v4
	s_or_b32 s0, vcc_lo, s0
	s_waitcnt vmcnt(15)
	v_fmac_f32_e32 v9, v8, v3
	v_fmac_f32_e32 v11, v19, v3
	;; [unrolled: 1-line block ×3, first 2 shown]
	s_waitcnt vmcnt(14)
	v_fmac_f32_e32 v9, v25, v26
	s_waitcnt vmcnt(13)
	v_fmac_f32_e32 v11, v27, v26
	;; [unrolled: 2-line block ×12, first 2 shown]
	s_andn2_b32 exec_lo, exec_lo, s0
	s_cbranch_execnz .LBB18_15
; %bb.16:
	s_or_b32 exec_lo, exec_lo, s0
.LBB18_17:
	s_or_b32 exec_lo, exec_lo, s1
.LBB18_18:
	v_mbcnt_lo_u32_b32 v2, -1, 0
	s_mov_b32 s3, -1
	v_xor_b32_e32 v3, 16, v2
	v_xor_b32_e32 v6, 8, v2
	v_cmp_gt_i32_e32 vcc_lo, 32, v3
	v_cndmask_b32_e32 v3, v2, v3, vcc_lo
	v_cmp_gt_i32_e32 vcc_lo, 32, v6
	v_lshlrev_b32_e32 v3, 2, v3
	v_cndmask_b32_e32 v6, v2, v6, vcc_lo
	ds_bpermute_b32 v4, v3, v9
	ds_bpermute_b32 v5, v3, v11
	;; [unrolled: 1-line block ×3, first 2 shown]
	v_lshlrev_b32_e32 v6, 2, v6
	s_waitcnt lgkmcnt(2)
	v_add_f32_e32 v4, v9, v4
	s_waitcnt lgkmcnt(1)
	v_add_f32_e32 v5, v11, v5
	;; [unrolled: 2-line block ×3, first 2 shown]
	v_xor_b32_e32 v9, 4, v2
	ds_bpermute_b32 v7, v6, v4
	ds_bpermute_b32 v8, v6, v5
	;; [unrolled: 1-line block ×3, first 2 shown]
	v_cmp_gt_i32_e32 vcc_lo, 32, v9
	v_cndmask_b32_e32 v9, v2, v9, vcc_lo
	v_lshlrev_b32_e32 v9, 2, v9
	s_waitcnt lgkmcnt(2)
	v_add_f32_e32 v4, v4, v7
	s_waitcnt lgkmcnt(1)
	v_add_f32_e32 v5, v5, v8
	;; [unrolled: 2-line block ×3, first 2 shown]
	ds_bpermute_b32 v6, v9, v4
	ds_bpermute_b32 v7, v9, v5
	;; [unrolled: 1-line block ×3, first 2 shown]
	v_xor_b32_e32 v9, 2, v2
	v_cmp_gt_i32_e32 vcc_lo, 32, v9
	v_cndmask_b32_e32 v9, v2, v9, vcc_lo
	v_lshlrev_b32_e32 v9, 2, v9
	s_waitcnt lgkmcnt(2)
	v_add_f32_e32 v4, v4, v6
	s_waitcnt lgkmcnt(1)
	v_add_f32_e32 v5, v5, v7
	;; [unrolled: 2-line block ×3, first 2 shown]
	ds_bpermute_b32 v3, v9, v4
	ds_bpermute_b32 v7, v9, v5
	;; [unrolled: 1-line block ×3, first 2 shown]
	v_xor_b32_e32 v9, 1, v2
	v_cmp_gt_i32_e32 vcc_lo, 32, v9
	v_cndmask_b32_e32 v2, v2, v9, vcc_lo
	v_cmp_eq_u32_e32 vcc_lo, 31, v0
	v_lshlrev_b32_e32 v9, 2, v2
	s_waitcnt lgkmcnt(2)
	v_add_f32_e32 v2, v4, v3
	s_waitcnt lgkmcnt(1)
	v_add_f32_e32 v3, v5, v7
	s_waitcnt lgkmcnt(0)
	v_add_f32_e32 v4, v6, v8
	ds_bpermute_b32 v5, v9, v2
	ds_bpermute_b32 v6, v9, v3
	;; [unrolled: 1-line block ×3, first 2 shown]
	s_and_b32 exec_lo, exec_lo, vcc_lo
	s_cbranch_execz .LBB18_23
; %bb.19:
	s_load_dwordx2 s[0:1], s[4:5], 0x38
	s_waitcnt lgkmcnt(0)
	v_add_f32_e32 v0, v2, v5
	v_add_f32_e32 v2, v3, v6
	;; [unrolled: 1-line block ×3, first 2 shown]
	v_lshl_add_u32 v3, v1, 1, v1
	v_cmp_eq_f32_e64 s4, s2, 0
	v_mul_f32_e32 v0, s16, v0
	v_mul_f32_e32 v1, s16, v2
	;; [unrolled: 1-line block ×3, first 2 shown]
	v_ashrrev_i32_e32 v4, 31, v3
	s_and_b32 vcc_lo, exec_lo, s4
	s_cbranch_vccz .LBB18_21
; %bb.20:
	v_lshlrev_b64 v[5:6], 2, v[3:4]
	s_mov_b32 s3, 0
	v_add_co_u32 v5, vcc_lo, s0, v5
	v_add_co_ci_u32_e64 v6, null, s1, v6, vcc_lo
	global_store_dwordx3 v[5:6], v[0:2], off
.LBB18_21:
	s_andn2_b32 vcc_lo, exec_lo, s3
	s_cbranch_vccnz .LBB18_23
; %bb.22:
	v_lshlrev_b64 v[3:4], 2, v[3:4]
	v_add_co_u32 v6, vcc_lo, s0, v3
	v_add_co_ci_u32_e64 v7, null, s1, v4, vcc_lo
	global_load_dwordx3 v[3:5], v[6:7], off
	s_waitcnt vmcnt(0)
	v_fmac_f32_e32 v0, s2, v3
	v_fmac_f32_e32 v1, s2, v4
	;; [unrolled: 1-line block ×3, first 2 shown]
	global_store_dwordx3 v[6:7], v[0:2], off
.LBB18_23:
	s_endpgm
	.section	.rodata,"a",@progbits
	.p2align	6, 0x0
	.amdhsa_kernel _ZN9rocsparseL19gebsrmvn_3xn_kernelILj128ELj5ELj32EfEEvi20rocsparse_direction_NS_24const_host_device_scalarIT2_EEPKiS6_PKS3_S8_S4_PS3_21rocsparse_index_base_b
		.amdhsa_group_segment_fixed_size 0
		.amdhsa_private_segment_fixed_size 0
		.amdhsa_kernarg_size 72
		.amdhsa_user_sgpr_count 6
		.amdhsa_user_sgpr_private_segment_buffer 1
		.amdhsa_user_sgpr_dispatch_ptr 0
		.amdhsa_user_sgpr_queue_ptr 0
		.amdhsa_user_sgpr_kernarg_segment_ptr 1
		.amdhsa_user_sgpr_dispatch_id 0
		.amdhsa_user_sgpr_flat_scratch_init 0
		.amdhsa_user_sgpr_private_segment_size 0
		.amdhsa_wavefront_size32 1
		.amdhsa_uses_dynamic_stack 0
		.amdhsa_system_sgpr_private_segment_wavefront_offset 0
		.amdhsa_system_sgpr_workgroup_id_x 1
		.amdhsa_system_sgpr_workgroup_id_y 0
		.amdhsa_system_sgpr_workgroup_id_z 0
		.amdhsa_system_sgpr_workgroup_info 0
		.amdhsa_system_vgpr_workitem_id 0
		.amdhsa_next_free_vgpr 36
		.amdhsa_next_free_sgpr 20
		.amdhsa_reserve_vcc 1
		.amdhsa_reserve_flat_scratch 0
		.amdhsa_float_round_mode_32 0
		.amdhsa_float_round_mode_16_64 0
		.amdhsa_float_denorm_mode_32 3
		.amdhsa_float_denorm_mode_16_64 3
		.amdhsa_dx10_clamp 1
		.amdhsa_ieee_mode 1
		.amdhsa_fp16_overflow 0
		.amdhsa_workgroup_processor_mode 1
		.amdhsa_memory_ordered 1
		.amdhsa_forward_progress 1
		.amdhsa_shared_vgpr_count 0
		.amdhsa_exception_fp_ieee_invalid_op 0
		.amdhsa_exception_fp_denorm_src 0
		.amdhsa_exception_fp_ieee_div_zero 0
		.amdhsa_exception_fp_ieee_overflow 0
		.amdhsa_exception_fp_ieee_underflow 0
		.amdhsa_exception_fp_ieee_inexact 0
		.amdhsa_exception_int_div_zero 0
	.end_amdhsa_kernel
	.section	.text._ZN9rocsparseL19gebsrmvn_3xn_kernelILj128ELj5ELj32EfEEvi20rocsparse_direction_NS_24const_host_device_scalarIT2_EEPKiS6_PKS3_S8_S4_PS3_21rocsparse_index_base_b,"axG",@progbits,_ZN9rocsparseL19gebsrmvn_3xn_kernelILj128ELj5ELj32EfEEvi20rocsparse_direction_NS_24const_host_device_scalarIT2_EEPKiS6_PKS3_S8_S4_PS3_21rocsparse_index_base_b,comdat
.Lfunc_end18:
	.size	_ZN9rocsparseL19gebsrmvn_3xn_kernelILj128ELj5ELj32EfEEvi20rocsparse_direction_NS_24const_host_device_scalarIT2_EEPKiS6_PKS3_S8_S4_PS3_21rocsparse_index_base_b, .Lfunc_end18-_ZN9rocsparseL19gebsrmvn_3xn_kernelILj128ELj5ELj32EfEEvi20rocsparse_direction_NS_24const_host_device_scalarIT2_EEPKiS6_PKS3_S8_S4_PS3_21rocsparse_index_base_b
                                        ; -- End function
	.set _ZN9rocsparseL19gebsrmvn_3xn_kernelILj128ELj5ELj32EfEEvi20rocsparse_direction_NS_24const_host_device_scalarIT2_EEPKiS6_PKS3_S8_S4_PS3_21rocsparse_index_base_b.num_vgpr, 36
	.set _ZN9rocsparseL19gebsrmvn_3xn_kernelILj128ELj5ELj32EfEEvi20rocsparse_direction_NS_24const_host_device_scalarIT2_EEPKiS6_PKS3_S8_S4_PS3_21rocsparse_index_base_b.num_agpr, 0
	.set _ZN9rocsparseL19gebsrmvn_3xn_kernelILj128ELj5ELj32EfEEvi20rocsparse_direction_NS_24const_host_device_scalarIT2_EEPKiS6_PKS3_S8_S4_PS3_21rocsparse_index_base_b.numbered_sgpr, 20
	.set _ZN9rocsparseL19gebsrmvn_3xn_kernelILj128ELj5ELj32EfEEvi20rocsparse_direction_NS_24const_host_device_scalarIT2_EEPKiS6_PKS3_S8_S4_PS3_21rocsparse_index_base_b.num_named_barrier, 0
	.set _ZN9rocsparseL19gebsrmvn_3xn_kernelILj128ELj5ELj32EfEEvi20rocsparse_direction_NS_24const_host_device_scalarIT2_EEPKiS6_PKS3_S8_S4_PS3_21rocsparse_index_base_b.private_seg_size, 0
	.set _ZN9rocsparseL19gebsrmvn_3xn_kernelILj128ELj5ELj32EfEEvi20rocsparse_direction_NS_24const_host_device_scalarIT2_EEPKiS6_PKS3_S8_S4_PS3_21rocsparse_index_base_b.uses_vcc, 1
	.set _ZN9rocsparseL19gebsrmvn_3xn_kernelILj128ELj5ELj32EfEEvi20rocsparse_direction_NS_24const_host_device_scalarIT2_EEPKiS6_PKS3_S8_S4_PS3_21rocsparse_index_base_b.uses_flat_scratch, 0
	.set _ZN9rocsparseL19gebsrmvn_3xn_kernelILj128ELj5ELj32EfEEvi20rocsparse_direction_NS_24const_host_device_scalarIT2_EEPKiS6_PKS3_S8_S4_PS3_21rocsparse_index_base_b.has_dyn_sized_stack, 0
	.set _ZN9rocsparseL19gebsrmvn_3xn_kernelILj128ELj5ELj32EfEEvi20rocsparse_direction_NS_24const_host_device_scalarIT2_EEPKiS6_PKS3_S8_S4_PS3_21rocsparse_index_base_b.has_recursion, 0
	.set _ZN9rocsparseL19gebsrmvn_3xn_kernelILj128ELj5ELj32EfEEvi20rocsparse_direction_NS_24const_host_device_scalarIT2_EEPKiS6_PKS3_S8_S4_PS3_21rocsparse_index_base_b.has_indirect_call, 0
	.section	.AMDGPU.csdata,"",@progbits
; Kernel info:
; codeLenInByte = 2724
; TotalNumSgprs: 22
; NumVgprs: 36
; ScratchSize: 0
; MemoryBound: 0
; FloatMode: 240
; IeeeMode: 1
; LDSByteSize: 0 bytes/workgroup (compile time only)
; SGPRBlocks: 0
; VGPRBlocks: 4
; NumSGPRsForWavesPerEU: 22
; NumVGPRsForWavesPerEU: 36
; Occupancy: 16
; WaveLimiterHint : 1
; COMPUTE_PGM_RSRC2:SCRATCH_EN: 0
; COMPUTE_PGM_RSRC2:USER_SGPR: 6
; COMPUTE_PGM_RSRC2:TRAP_HANDLER: 0
; COMPUTE_PGM_RSRC2:TGID_X_EN: 1
; COMPUTE_PGM_RSRC2:TGID_Y_EN: 0
; COMPUTE_PGM_RSRC2:TGID_Z_EN: 0
; COMPUTE_PGM_RSRC2:TIDIG_COMP_CNT: 0
	.section	.text._ZN9rocsparseL19gebsrmvn_3xn_kernelILj128ELj5ELj64EfEEvi20rocsparse_direction_NS_24const_host_device_scalarIT2_EEPKiS6_PKS3_S8_S4_PS3_21rocsparse_index_base_b,"axG",@progbits,_ZN9rocsparseL19gebsrmvn_3xn_kernelILj128ELj5ELj64EfEEvi20rocsparse_direction_NS_24const_host_device_scalarIT2_EEPKiS6_PKS3_S8_S4_PS3_21rocsparse_index_base_b,comdat
	.globl	_ZN9rocsparseL19gebsrmvn_3xn_kernelILj128ELj5ELj64EfEEvi20rocsparse_direction_NS_24const_host_device_scalarIT2_EEPKiS6_PKS3_S8_S4_PS3_21rocsparse_index_base_b ; -- Begin function _ZN9rocsparseL19gebsrmvn_3xn_kernelILj128ELj5ELj64EfEEvi20rocsparse_direction_NS_24const_host_device_scalarIT2_EEPKiS6_PKS3_S8_S4_PS3_21rocsparse_index_base_b
	.p2align	8
	.type	_ZN9rocsparseL19gebsrmvn_3xn_kernelILj128ELj5ELj64EfEEvi20rocsparse_direction_NS_24const_host_device_scalarIT2_EEPKiS6_PKS3_S8_S4_PS3_21rocsparse_index_base_b,@function
_ZN9rocsparseL19gebsrmvn_3xn_kernelILj128ELj5ELj64EfEEvi20rocsparse_direction_NS_24const_host_device_scalarIT2_EEPKiS6_PKS3_S8_S4_PS3_21rocsparse_index_base_b: ; @_ZN9rocsparseL19gebsrmvn_3xn_kernelILj128ELj5ELj64EfEEvi20rocsparse_direction_NS_24const_host_device_scalarIT2_EEPKiS6_PKS3_S8_S4_PS3_21rocsparse_index_base_b
; %bb.0:
	s_clause 0x2
	s_load_dwordx2 s[18:19], s[4:5], 0x40
	s_load_dwordx2 s[16:17], s[4:5], 0x8
	;; [unrolled: 1-line block ×3, first 2 shown]
	s_waitcnt lgkmcnt(0)
	s_bitcmp1_b32 s19, 0
	s_cselect_b32 s0, -1, 0
	s_and_b32 vcc_lo, exec_lo, s0
	s_xor_b32 s0, s0, -1
	s_cbranch_vccnz .LBB19_2
; %bb.1:
	s_load_dword s16, s[16:17], 0x0
.LBB19_2:
	s_andn2_b32 vcc_lo, exec_lo, s0
	s_cbranch_vccnz .LBB19_4
; %bb.3:
	s_load_dword s2, s[2:3], 0x0
.LBB19_4:
	s_waitcnt lgkmcnt(0)
	v_cmp_eq_f32_e64 s0, s16, 0
	v_cmp_eq_f32_e64 s1, s2, 1.0
	s_and_b32 s0, s0, s1
	s_and_b32 vcc_lo, exec_lo, s0
	s_cbranch_vccnz .LBB19_23
; %bb.5:
	s_load_dwordx2 s[0:1], s[4:5], 0x0
	v_lshrrev_b32_e32 v1, 6, v0
	v_lshl_or_b32 v1, s6, 1, v1
	s_waitcnt lgkmcnt(0)
	v_cmp_gt_i32_e32 vcc_lo, s0, v1
	s_and_saveexec_b32 s0, vcc_lo
	s_cbranch_execz .LBB19_23
; %bb.6:
	s_load_dwordx8 s[8:15], s[4:5], 0x10
	v_ashrrev_i32_e32 v2, 31, v1
	v_and_b32_e32 v0, 63, v0
	s_cmp_lg_u32 s1, 0
	v_lshlrev_b64 v[2:3], 2, v[1:2]
	s_waitcnt lgkmcnt(0)
	v_add_co_u32 v2, vcc_lo, s8, v2
	v_add_co_ci_u32_e64 v3, null, s9, v3, vcc_lo
	global_load_dwordx2 v[2:3], v[2:3], off
	s_waitcnt vmcnt(0)
	v_subrev_nc_u32_e32 v2, s18, v2
	v_subrev_nc_u32_e32 v12, s18, v3
	v_add_nc_u32_e32 v2, v2, v0
	v_cmp_lt_i32_e64 s0, v2, v12
	s_cbranch_scc0 .LBB19_12
; %bb.7:
	v_mov_b32_e32 v9, 0
	v_mov_b32_e32 v10, 0
	;; [unrolled: 1-line block ×3, first 2 shown]
	s_and_saveexec_b32 s1, s0
	s_cbranch_execz .LBB19_11
; %bb.8:
	v_mad_u64_u32 v[3:4], null, v2, 15, 14
	v_mov_b32_e32 v6, 0
	v_mov_b32_e32 v7, v2
	;; [unrolled: 1-line block ×5, first 2 shown]
	s_mov_b32 s3, 0
.LBB19_9:                               ; =>This Inner Loop Header: Depth=1
	v_ashrrev_i32_e32 v8, 31, v7
	v_mov_b32_e32 v14, v6
	v_lshlrev_b64 v[4:5], 2, v[7:8]
	v_add_nc_u32_e32 v7, 64, v7
	v_add_co_u32 v4, vcc_lo, s10, v4
	v_add_co_ci_u32_e64 v5, null, s11, v5, vcc_lo
	global_load_dword v8, v[4:5], off
	v_add_nc_u32_e32 v5, -14, v3
	v_mov_b32_e32 v4, v6
	v_lshlrev_b64 v[15:16], 2, v[5:6]
	v_add_nc_u32_e32 v5, -13, v3
	v_lshlrev_b64 v[17:18], 2, v[3:4]
	v_lshlrev_b64 v[19:20], 2, v[5:6]
	v_add_nc_u32_e32 v5, -12, v3
	v_add_co_u32 v15, vcc_lo, s12, v15
	v_add_co_ci_u32_e64 v16, null, s13, v16, vcc_lo
	v_add_co_u32 v17, vcc_lo, s12, v17
	v_lshlrev_b64 v[21:22], 2, v[5:6]
	v_add_nc_u32_e32 v5, -11, v3
	v_add_co_ci_u32_e64 v18, null, s13, v18, vcc_lo
	v_add_co_u32 v19, vcc_lo, s12, v19
	v_add_co_ci_u32_e64 v20, null, s13, v20, vcc_lo
	v_lshlrev_b64 v[4:5], 2, v[5:6]
	s_clause 0x1
	global_load_dword v23, v[15:16], off
	global_load_dword v24, v[19:20], off
	v_add_co_u32 v15, vcc_lo, s12, v21
	v_add_co_ci_u32_e64 v16, null, s13, v22, vcc_lo
	v_add_co_u32 v4, vcc_lo, s12, v4
	v_add_co_ci_u32_e64 v5, null, s13, v5, vcc_lo
	s_clause 0x1
	global_load_dword v25, v[15:16], off
	global_load_dword v26, v[4:5], off
	s_waitcnt vmcnt(4)
	v_subrev_nc_u32_e32 v4, s18, v8
	v_lshl_add_u32 v13, v4, 2, v4
	v_add_nc_u32_e32 v5, 1, v13
	v_lshlrev_b64 v[14:15], 2, v[13:14]
	v_lshlrev_b64 v[19:20], 2, v[5:6]
	v_add_nc_u32_e32 v5, -10, v3
	v_add_co_u32 v14, vcc_lo, s14, v14
	v_add_co_ci_u32_e64 v15, null, s15, v15, vcc_lo
	v_add_co_u32 v19, vcc_lo, s14, v19
	v_lshlrev_b64 v[21:22], 2, v[5:6]
	v_add_nc_u32_e32 v5, -9, v3
	v_add_co_ci_u32_e64 v20, null, s15, v20, vcc_lo
	s_clause 0x1
	global_load_dword v8, v[14:15], off
	global_load_dword v27, v[19:20], off
	v_lshlrev_b64 v[14:15], 2, v[5:6]
	v_add_nc_u32_e32 v5, -8, v3
	v_add_co_u32 v19, vcc_lo, s12, v21
	v_add_co_ci_u32_e64 v20, null, s13, v22, vcc_lo
	v_add_co_u32 v14, vcc_lo, s12, v14
	v_lshlrev_b64 v[21:22], 2, v[5:6]
	v_add_nc_u32_e32 v5, 2, v13
	v_add_co_ci_u32_e64 v15, null, s13, v15, vcc_lo
	s_clause 0x1
	global_load_dword v28, v[19:20], off
	global_load_dword v29, v[14:15], off
	v_lshlrev_b64 v[19:20], 2, v[5:6]
	v_add_nc_u32_e32 v5, -7, v3
	v_add_co_u32 v14, vcc_lo, s12, v21
	v_add_co_ci_u32_e64 v15, null, s13, v22, vcc_lo
	v_lshlrev_b64 v[21:22], 2, v[5:6]
	v_add_nc_u32_e32 v5, -6, v3
	v_add_co_u32 v19, vcc_lo, s14, v19
	v_add_co_ci_u32_e64 v20, null, s15, v20, vcc_lo
	global_load_dword v30, v[14:15], off
	v_lshlrev_b64 v[14:15], 2, v[5:6]
	v_add_nc_u32_e32 v5, -5, v3
	global_load_dword v31, v[19:20], off
	v_add_co_u32 v19, vcc_lo, s12, v21
	v_add_co_ci_u32_e64 v20, null, s13, v22, vcc_lo
	v_add_co_u32 v14, vcc_lo, s12, v14
	v_lshlrev_b64 v[21:22], 2, v[5:6]
	v_add_nc_u32_e32 v5, 3, v13
	v_add_co_ci_u32_e64 v15, null, s13, v15, vcc_lo
	s_clause 0x1
	global_load_dword v32, v[19:20], off
	global_load_dword v33, v[14:15], off
	v_lshlrev_b64 v[19:20], 2, v[5:6]
	v_add_nc_u32_e32 v5, -4, v3
	v_add_co_u32 v14, vcc_lo, s12, v21
	v_add_co_ci_u32_e64 v15, null, s13, v22, vcc_lo
	v_lshlrev_b64 v[21:22], 2, v[5:6]
	v_add_nc_u32_e32 v5, -3, v3
	v_add_co_u32 v19, vcc_lo, s14, v19
	v_add_co_ci_u32_e64 v20, null, s15, v20, vcc_lo
	global_load_dword v34, v[14:15], off
	v_lshlrev_b64 v[14:15], 2, v[5:6]
	v_add_nc_u32_e32 v5, -2, v3
	global_load_dword v35, v[19:20], off
	v_add_co_u32 v19, vcc_lo, s12, v21
	v_add_co_ci_u32_e64 v20, null, s13, v22, vcc_lo
	v_lshlrev_b64 v[21:22], 2, v[5:6]
	v_add_nc_u32_e32 v5, 4, v13
	v_add_co_u32 v13, vcc_lo, s12, v14
	v_add_co_ci_u32_e64 v14, null, s13, v15, vcc_lo
	v_lshlrev_b64 v[15:16], 2, v[5:6]
	v_add_nc_u32_e32 v5, -1, v3
	s_clause 0x1
	global_load_dword v19, v[19:20], off
	global_load_dword v20, v[13:14], off
	v_add_co_u32 v13, vcc_lo, s12, v21
	v_lshlrev_b64 v[4:5], 2, v[5:6]
	v_add_co_ci_u32_e64 v14, null, s13, v22, vcc_lo
	v_add_co_u32 v15, vcc_lo, s14, v15
	v_add_co_ci_u32_e64 v16, null, s15, v16, vcc_lo
	v_add_co_u32 v4, vcc_lo, s12, v4
	v_add_co_ci_u32_e64 v5, null, s13, v5, vcc_lo
	global_load_dword v13, v[13:14], off
	global_load_dword v14, v[15:16], off
	s_clause 0x1
	global_load_dword v4, v[4:5], off
	global_load_dword v5, v[17:18], off
	v_cmp_ge_i32_e32 vcc_lo, v7, v12
	v_add_nc_u32_e32 v3, 0x3c0, v3
	s_or_b32 s3, vcc_lo, s3
	s_waitcnt vmcnt(15)
	v_fmac_f32_e32 v9, v23, v8
	v_fmac_f32_e32 v11, v24, v8
	;; [unrolled: 1-line block ×3, first 2 shown]
	s_waitcnt vmcnt(14)
	v_fmac_f32_e32 v9, v26, v27
	s_waitcnt vmcnt(13)
	v_fmac_f32_e32 v11, v28, v27
	;; [unrolled: 2-line block ×12, first 2 shown]
	s_andn2_b32 exec_lo, exec_lo, s3
	s_cbranch_execnz .LBB19_9
; %bb.10:
	s_or_b32 exec_lo, exec_lo, s3
.LBB19_11:
	s_or_b32 exec_lo, exec_lo, s1
	s_cbranch_execz .LBB19_13
	s_branch .LBB19_18
.LBB19_12:
                                        ; implicit-def: $vgpr9
                                        ; implicit-def: $vgpr10
                                        ; implicit-def: $vgpr11
.LBB19_13:
	v_mov_b32_e32 v9, 0
	v_mov_b32_e32 v10, 0
	;; [unrolled: 1-line block ×3, first 2 shown]
	s_and_saveexec_b32 s1, s0
	s_cbranch_execz .LBB19_17
; %bb.14:
	v_mad_u64_u32 v[4:5], null, v2, 15, 14
	v_mov_b32_e32 v7, 0
	v_mov_b32_e32 v9, 0
	;; [unrolled: 1-line block ×4, first 2 shown]
	s_mov_b32 s0, 0
.LBB19_15:                              ; =>This Inner Loop Header: Depth=1
	v_ashrrev_i32_e32 v3, 31, v2
	v_add_nc_u32_e32 v13, -9, v4
	v_mov_b32_e32 v14, v7
	v_add_nc_u32_e32 v15, -4, v4
	v_mov_b32_e32 v16, v7
	v_lshlrev_b64 v[5:6], 2, v[2:3]
	v_mov_b32_e32 v17, v7
	v_lshlrev_b64 v[13:14], 2, v[13:14]
	v_add_nc_u32_e32 v2, 64, v2
	v_lshlrev_b64 v[15:16], 2, v[15:16]
	v_add_co_u32 v5, vcc_lo, s10, v5
	v_add_co_ci_u32_e64 v6, null, s11, v6, vcc_lo
	global_load_dword v3, v[5:6], off
	v_add_nc_u32_e32 v6, -14, v4
	v_mov_b32_e32 v5, v7
	v_lshlrev_b64 v[18:19], 2, v[6:7]
	v_add_nc_u32_e32 v6, -13, v4
	v_lshlrev_b64 v[20:21], 2, v[4:5]
	v_lshlrev_b64 v[5:6], 2, v[6:7]
	v_add_co_u32 v18, vcc_lo, s12, v18
	v_add_co_ci_u32_e64 v19, null, s13, v19, vcc_lo
	v_add_co_u32 v13, vcc_lo, s12, v13
	v_add_co_ci_u32_e64 v14, null, s13, v14, vcc_lo
	;; [unrolled: 2-line block ×5, first 2 shown]
	s_clause 0x3
	global_load_dword v8, v[18:19], off
	global_load_dword v19, v[13:14], off
	;; [unrolled: 1-line block ×4, first 2 shown]
	s_waitcnt vmcnt(4)
	v_subrev_nc_u32_e32 v3, s18, v3
	v_lshl_add_u32 v16, v3, 2, v3
	v_add_nc_u32_e32 v6, 1, v16
	v_lshlrev_b64 v[13:14], 2, v[16:17]
	v_lshlrev_b64 v[17:18], 2, v[6:7]
	v_add_nc_u32_e32 v6, -8, v4
	v_add_co_u32 v13, vcc_lo, s14, v13
	v_add_co_ci_u32_e64 v14, null, s15, v14, vcc_lo
	v_add_co_u32 v17, vcc_lo, s14, v17
	v_lshlrev_b64 v[22:23], 2, v[6:7]
	v_add_nc_u32_e32 v6, -3, v4
	v_add_co_ci_u32_e64 v18, null, s15, v18, vcc_lo
	s_clause 0x1
	global_load_dword v3, v[13:14], off
	global_load_dword v26, v[17:18], off
	v_lshlrev_b64 v[13:14], 2, v[6:7]
	v_add_nc_u32_e32 v6, -12, v4
	v_add_co_u32 v17, vcc_lo, s12, v22
	v_add_co_ci_u32_e64 v18, null, s13, v23, vcc_lo
	v_add_co_u32 v13, vcc_lo, s12, v13
	v_lshlrev_b64 v[22:23], 2, v[6:7]
	v_add_nc_u32_e32 v6, 2, v16
	v_add_co_ci_u32_e64 v14, null, s13, v14, vcc_lo
	s_clause 0x1
	global_load_dword v27, v[17:18], off
	global_load_dword v28, v[13:14], off
	v_lshlrev_b64 v[17:18], 2, v[6:7]
	v_add_nc_u32_e32 v6, -7, v4
	v_add_co_u32 v13, vcc_lo, s12, v22
	v_add_co_ci_u32_e64 v14, null, s13, v23, vcc_lo
	v_lshlrev_b64 v[22:23], 2, v[6:7]
	v_add_nc_u32_e32 v6, -2, v4
	v_add_co_u32 v17, vcc_lo, s14, v17
	v_add_co_ci_u32_e64 v18, null, s15, v18, vcc_lo
	global_load_dword v29, v[13:14], off
	v_lshlrev_b64 v[13:14], 2, v[6:7]
	v_add_nc_u32_e32 v6, -11, v4
	global_load_dword v30, v[17:18], off
	v_add_co_u32 v17, vcc_lo, s12, v22
	v_add_co_ci_u32_e64 v18, null, s13, v23, vcc_lo
	v_add_co_u32 v13, vcc_lo, s12, v13
	v_lshlrev_b64 v[22:23], 2, v[6:7]
	v_add_nc_u32_e32 v6, 3, v16
	v_add_co_ci_u32_e64 v14, null, s13, v14, vcc_lo
	s_clause 0x1
	global_load_dword v31, v[17:18], off
	global_load_dword v32, v[13:14], off
	v_lshlrev_b64 v[17:18], 2, v[6:7]
	v_add_nc_u32_e32 v6, -6, v4
	v_add_co_u32 v13, vcc_lo, s12, v22
	v_add_co_ci_u32_e64 v14, null, s13, v23, vcc_lo
	v_lshlrev_b64 v[22:23], 2, v[6:7]
	v_add_nc_u32_e32 v6, -1, v4
	v_add_co_u32 v17, vcc_lo, s14, v17
	v_add_co_ci_u32_e64 v18, null, s15, v18, vcc_lo
	global_load_dword v33, v[13:14], off
	v_lshlrev_b64 v[13:14], 2, v[6:7]
	v_add_nc_u32_e32 v6, -10, v4
	global_load_dword v34, v[17:18], off
	v_add_co_u32 v17, vcc_lo, s12, v22
	v_add_co_ci_u32_e64 v18, null, s13, v23, vcc_lo
	v_lshlrev_b64 v[22:23], 2, v[6:7]
	v_add_nc_u32_e32 v6, 4, v16
	v_add_co_u32 v13, vcc_lo, s12, v13
	v_add_co_ci_u32_e64 v14, null, s13, v14, vcc_lo
	v_lshlrev_b64 v[15:16], 2, v[6:7]
	v_add_nc_u32_e32 v6, -5, v4
	s_clause 0x1
	global_load_dword v17, v[17:18], off
	global_load_dword v18, v[13:14], off
	v_add_co_u32 v13, vcc_lo, s12, v22
	v_lshlrev_b64 v[5:6], 2, v[6:7]
	v_add_co_ci_u32_e64 v14, null, s13, v23, vcc_lo
	v_add_co_u32 v15, vcc_lo, s14, v15
	v_add_co_ci_u32_e64 v16, null, s15, v16, vcc_lo
	v_add_co_u32 v5, vcc_lo, s12, v5
	v_add_co_ci_u32_e64 v6, null, s13, v6, vcc_lo
	global_load_dword v13, v[13:14], off
	global_load_dword v14, v[15:16], off
	s_clause 0x1
	global_load_dword v5, v[5:6], off
	global_load_dword v6, v[20:21], off
	v_cmp_ge_i32_e32 vcc_lo, v2, v12
	v_add_nc_u32_e32 v4, 0x3c0, v4
	s_or_b32 s0, vcc_lo, s0
	s_waitcnt vmcnt(15)
	v_fmac_f32_e32 v9, v8, v3
	v_fmac_f32_e32 v11, v19, v3
	;; [unrolled: 1-line block ×3, first 2 shown]
	s_waitcnt vmcnt(14)
	v_fmac_f32_e32 v9, v25, v26
	s_waitcnt vmcnt(13)
	v_fmac_f32_e32 v11, v27, v26
	;; [unrolled: 2-line block ×12, first 2 shown]
	s_andn2_b32 exec_lo, exec_lo, s0
	s_cbranch_execnz .LBB19_15
; %bb.16:
	s_or_b32 exec_lo, exec_lo, s0
.LBB19_17:
	s_or_b32 exec_lo, exec_lo, s1
.LBB19_18:
	v_mbcnt_lo_u32_b32 v2, -1, 0
	s_mov_b32 s3, -1
	v_or_b32_e32 v3, 32, v2
	v_xor_b32_e32 v6, 16, v2
	v_cmp_gt_i32_e32 vcc_lo, 32, v3
	v_cndmask_b32_e32 v3, v2, v3, vcc_lo
	v_cmp_gt_i32_e32 vcc_lo, 32, v6
	v_lshlrev_b32_e32 v3, 2, v3
	v_cndmask_b32_e32 v6, v2, v6, vcc_lo
	ds_bpermute_b32 v4, v3, v9
	ds_bpermute_b32 v5, v3, v11
	;; [unrolled: 1-line block ×3, first 2 shown]
	v_lshlrev_b32_e32 v6, 2, v6
	s_waitcnt lgkmcnt(2)
	v_add_f32_e32 v4, v9, v4
	s_waitcnt lgkmcnt(1)
	v_add_f32_e32 v5, v11, v5
	;; [unrolled: 2-line block ×3, first 2 shown]
	v_xor_b32_e32 v9, 8, v2
	ds_bpermute_b32 v7, v6, v4
	ds_bpermute_b32 v8, v6, v5
	;; [unrolled: 1-line block ×3, first 2 shown]
	v_cmp_gt_i32_e32 vcc_lo, 32, v9
	v_cndmask_b32_e32 v9, v2, v9, vcc_lo
	v_lshlrev_b32_e32 v9, 2, v9
	s_waitcnt lgkmcnt(2)
	v_add_f32_e32 v4, v4, v7
	s_waitcnt lgkmcnt(1)
	v_add_f32_e32 v5, v5, v8
	s_waitcnt lgkmcnt(0)
	v_add_f32_e32 v3, v3, v6
	ds_bpermute_b32 v6, v9, v4
	ds_bpermute_b32 v7, v9, v5
	ds_bpermute_b32 v8, v9, v3
	v_xor_b32_e32 v9, 4, v2
	v_cmp_gt_i32_e32 vcc_lo, 32, v9
	v_cndmask_b32_e32 v9, v2, v9, vcc_lo
	v_lshlrev_b32_e32 v9, 2, v9
	s_waitcnt lgkmcnt(2)
	v_add_f32_e32 v4, v4, v6
	s_waitcnt lgkmcnt(1)
	v_add_f32_e32 v5, v5, v7
	s_waitcnt lgkmcnt(0)
	v_add_f32_e32 v3, v3, v8
	ds_bpermute_b32 v6, v9, v4
	ds_bpermute_b32 v7, v9, v5
	ds_bpermute_b32 v8, v9, v3
	v_xor_b32_e32 v9, 2, v2
	;; [unrolled: 13-line block ×3, first 2 shown]
	v_cmp_gt_i32_e32 vcc_lo, 32, v9
	v_cndmask_b32_e32 v2, v2, v9, vcc_lo
	v_cmp_eq_u32_e32 vcc_lo, 63, v0
	v_lshlrev_b32_e32 v9, 2, v2
	s_waitcnt lgkmcnt(2)
	v_add_f32_e32 v2, v4, v3
	s_waitcnt lgkmcnt(1)
	v_add_f32_e32 v3, v5, v7
	;; [unrolled: 2-line block ×3, first 2 shown]
	ds_bpermute_b32 v5, v9, v2
	ds_bpermute_b32 v6, v9, v3
	;; [unrolled: 1-line block ×3, first 2 shown]
	s_and_b32 exec_lo, exec_lo, vcc_lo
	s_cbranch_execz .LBB19_23
; %bb.19:
	s_load_dwordx2 s[0:1], s[4:5], 0x38
	s_waitcnt lgkmcnt(0)
	v_add_f32_e32 v0, v2, v5
	v_add_f32_e32 v2, v3, v6
	;; [unrolled: 1-line block ×3, first 2 shown]
	v_lshl_add_u32 v3, v1, 1, v1
	v_cmp_eq_f32_e64 s4, s2, 0
	v_mul_f32_e32 v0, s16, v0
	v_mul_f32_e32 v1, s16, v2
	;; [unrolled: 1-line block ×3, first 2 shown]
	v_ashrrev_i32_e32 v4, 31, v3
	s_and_b32 vcc_lo, exec_lo, s4
	s_cbranch_vccz .LBB19_21
; %bb.20:
	v_lshlrev_b64 v[5:6], 2, v[3:4]
	s_mov_b32 s3, 0
	v_add_co_u32 v5, vcc_lo, s0, v5
	v_add_co_ci_u32_e64 v6, null, s1, v6, vcc_lo
	global_store_dwordx3 v[5:6], v[0:2], off
.LBB19_21:
	s_andn2_b32 vcc_lo, exec_lo, s3
	s_cbranch_vccnz .LBB19_23
; %bb.22:
	v_lshlrev_b64 v[3:4], 2, v[3:4]
	v_add_co_u32 v6, vcc_lo, s0, v3
	v_add_co_ci_u32_e64 v7, null, s1, v4, vcc_lo
	global_load_dwordx3 v[3:5], v[6:7], off
	s_waitcnt vmcnt(0)
	v_fmac_f32_e32 v0, s2, v3
	v_fmac_f32_e32 v1, s2, v4
	;; [unrolled: 1-line block ×3, first 2 shown]
	global_store_dwordx3 v[6:7], v[0:2], off
.LBB19_23:
	s_endpgm
	.section	.rodata,"a",@progbits
	.p2align	6, 0x0
	.amdhsa_kernel _ZN9rocsparseL19gebsrmvn_3xn_kernelILj128ELj5ELj64EfEEvi20rocsparse_direction_NS_24const_host_device_scalarIT2_EEPKiS6_PKS3_S8_S4_PS3_21rocsparse_index_base_b
		.amdhsa_group_segment_fixed_size 0
		.amdhsa_private_segment_fixed_size 0
		.amdhsa_kernarg_size 72
		.amdhsa_user_sgpr_count 6
		.amdhsa_user_sgpr_private_segment_buffer 1
		.amdhsa_user_sgpr_dispatch_ptr 0
		.amdhsa_user_sgpr_queue_ptr 0
		.amdhsa_user_sgpr_kernarg_segment_ptr 1
		.amdhsa_user_sgpr_dispatch_id 0
		.amdhsa_user_sgpr_flat_scratch_init 0
		.amdhsa_user_sgpr_private_segment_size 0
		.amdhsa_wavefront_size32 1
		.amdhsa_uses_dynamic_stack 0
		.amdhsa_system_sgpr_private_segment_wavefront_offset 0
		.amdhsa_system_sgpr_workgroup_id_x 1
		.amdhsa_system_sgpr_workgroup_id_y 0
		.amdhsa_system_sgpr_workgroup_id_z 0
		.amdhsa_system_sgpr_workgroup_info 0
		.amdhsa_system_vgpr_workitem_id 0
		.amdhsa_next_free_vgpr 36
		.amdhsa_next_free_sgpr 20
		.amdhsa_reserve_vcc 1
		.amdhsa_reserve_flat_scratch 0
		.amdhsa_float_round_mode_32 0
		.amdhsa_float_round_mode_16_64 0
		.amdhsa_float_denorm_mode_32 3
		.amdhsa_float_denorm_mode_16_64 3
		.amdhsa_dx10_clamp 1
		.amdhsa_ieee_mode 1
		.amdhsa_fp16_overflow 0
		.amdhsa_workgroup_processor_mode 1
		.amdhsa_memory_ordered 1
		.amdhsa_forward_progress 1
		.amdhsa_shared_vgpr_count 0
		.amdhsa_exception_fp_ieee_invalid_op 0
		.amdhsa_exception_fp_denorm_src 0
		.amdhsa_exception_fp_ieee_div_zero 0
		.amdhsa_exception_fp_ieee_overflow 0
		.amdhsa_exception_fp_ieee_underflow 0
		.amdhsa_exception_fp_ieee_inexact 0
		.amdhsa_exception_int_div_zero 0
	.end_amdhsa_kernel
	.section	.text._ZN9rocsparseL19gebsrmvn_3xn_kernelILj128ELj5ELj64EfEEvi20rocsparse_direction_NS_24const_host_device_scalarIT2_EEPKiS6_PKS3_S8_S4_PS3_21rocsparse_index_base_b,"axG",@progbits,_ZN9rocsparseL19gebsrmvn_3xn_kernelILj128ELj5ELj64EfEEvi20rocsparse_direction_NS_24const_host_device_scalarIT2_EEPKiS6_PKS3_S8_S4_PS3_21rocsparse_index_base_b,comdat
.Lfunc_end19:
	.size	_ZN9rocsparseL19gebsrmvn_3xn_kernelILj128ELj5ELj64EfEEvi20rocsparse_direction_NS_24const_host_device_scalarIT2_EEPKiS6_PKS3_S8_S4_PS3_21rocsparse_index_base_b, .Lfunc_end19-_ZN9rocsparseL19gebsrmvn_3xn_kernelILj128ELj5ELj64EfEEvi20rocsparse_direction_NS_24const_host_device_scalarIT2_EEPKiS6_PKS3_S8_S4_PS3_21rocsparse_index_base_b
                                        ; -- End function
	.set _ZN9rocsparseL19gebsrmvn_3xn_kernelILj128ELj5ELj64EfEEvi20rocsparse_direction_NS_24const_host_device_scalarIT2_EEPKiS6_PKS3_S8_S4_PS3_21rocsparse_index_base_b.num_vgpr, 36
	.set _ZN9rocsparseL19gebsrmvn_3xn_kernelILj128ELj5ELj64EfEEvi20rocsparse_direction_NS_24const_host_device_scalarIT2_EEPKiS6_PKS3_S8_S4_PS3_21rocsparse_index_base_b.num_agpr, 0
	.set _ZN9rocsparseL19gebsrmvn_3xn_kernelILj128ELj5ELj64EfEEvi20rocsparse_direction_NS_24const_host_device_scalarIT2_EEPKiS6_PKS3_S8_S4_PS3_21rocsparse_index_base_b.numbered_sgpr, 20
	.set _ZN9rocsparseL19gebsrmvn_3xn_kernelILj128ELj5ELj64EfEEvi20rocsparse_direction_NS_24const_host_device_scalarIT2_EEPKiS6_PKS3_S8_S4_PS3_21rocsparse_index_base_b.num_named_barrier, 0
	.set _ZN9rocsparseL19gebsrmvn_3xn_kernelILj128ELj5ELj64EfEEvi20rocsparse_direction_NS_24const_host_device_scalarIT2_EEPKiS6_PKS3_S8_S4_PS3_21rocsparse_index_base_b.private_seg_size, 0
	.set _ZN9rocsparseL19gebsrmvn_3xn_kernelILj128ELj5ELj64EfEEvi20rocsparse_direction_NS_24const_host_device_scalarIT2_EEPKiS6_PKS3_S8_S4_PS3_21rocsparse_index_base_b.uses_vcc, 1
	.set _ZN9rocsparseL19gebsrmvn_3xn_kernelILj128ELj5ELj64EfEEvi20rocsparse_direction_NS_24const_host_device_scalarIT2_EEPKiS6_PKS3_S8_S4_PS3_21rocsparse_index_base_b.uses_flat_scratch, 0
	.set _ZN9rocsparseL19gebsrmvn_3xn_kernelILj128ELj5ELj64EfEEvi20rocsparse_direction_NS_24const_host_device_scalarIT2_EEPKiS6_PKS3_S8_S4_PS3_21rocsparse_index_base_b.has_dyn_sized_stack, 0
	.set _ZN9rocsparseL19gebsrmvn_3xn_kernelILj128ELj5ELj64EfEEvi20rocsparse_direction_NS_24const_host_device_scalarIT2_EEPKiS6_PKS3_S8_S4_PS3_21rocsparse_index_base_b.has_recursion, 0
	.set _ZN9rocsparseL19gebsrmvn_3xn_kernelILj128ELj5ELj64EfEEvi20rocsparse_direction_NS_24const_host_device_scalarIT2_EEPKiS6_PKS3_S8_S4_PS3_21rocsparse_index_base_b.has_indirect_call, 0
	.section	.AMDGPU.csdata,"",@progbits
; Kernel info:
; codeLenInByte = 2788
; TotalNumSgprs: 22
; NumVgprs: 36
; ScratchSize: 0
; MemoryBound: 0
; FloatMode: 240
; IeeeMode: 1
; LDSByteSize: 0 bytes/workgroup (compile time only)
; SGPRBlocks: 0
; VGPRBlocks: 4
; NumSGPRsForWavesPerEU: 22
; NumVGPRsForWavesPerEU: 36
; Occupancy: 16
; WaveLimiterHint : 1
; COMPUTE_PGM_RSRC2:SCRATCH_EN: 0
; COMPUTE_PGM_RSRC2:USER_SGPR: 6
; COMPUTE_PGM_RSRC2:TRAP_HANDLER: 0
; COMPUTE_PGM_RSRC2:TGID_X_EN: 1
; COMPUTE_PGM_RSRC2:TGID_Y_EN: 0
; COMPUTE_PGM_RSRC2:TGID_Z_EN: 0
; COMPUTE_PGM_RSRC2:TIDIG_COMP_CNT: 0
	.section	.text._ZN9rocsparseL19gebsrmvn_3xn_kernelILj128ELj6ELj4EfEEvi20rocsparse_direction_NS_24const_host_device_scalarIT2_EEPKiS6_PKS3_S8_S4_PS3_21rocsparse_index_base_b,"axG",@progbits,_ZN9rocsparseL19gebsrmvn_3xn_kernelILj128ELj6ELj4EfEEvi20rocsparse_direction_NS_24const_host_device_scalarIT2_EEPKiS6_PKS3_S8_S4_PS3_21rocsparse_index_base_b,comdat
	.globl	_ZN9rocsparseL19gebsrmvn_3xn_kernelILj128ELj6ELj4EfEEvi20rocsparse_direction_NS_24const_host_device_scalarIT2_EEPKiS6_PKS3_S8_S4_PS3_21rocsparse_index_base_b ; -- Begin function _ZN9rocsparseL19gebsrmvn_3xn_kernelILj128ELj6ELj4EfEEvi20rocsparse_direction_NS_24const_host_device_scalarIT2_EEPKiS6_PKS3_S8_S4_PS3_21rocsparse_index_base_b
	.p2align	8
	.type	_ZN9rocsparseL19gebsrmvn_3xn_kernelILj128ELj6ELj4EfEEvi20rocsparse_direction_NS_24const_host_device_scalarIT2_EEPKiS6_PKS3_S8_S4_PS3_21rocsparse_index_base_b,@function
_ZN9rocsparseL19gebsrmvn_3xn_kernelILj128ELj6ELj4EfEEvi20rocsparse_direction_NS_24const_host_device_scalarIT2_EEPKiS6_PKS3_S8_S4_PS3_21rocsparse_index_base_b: ; @_ZN9rocsparseL19gebsrmvn_3xn_kernelILj128ELj6ELj4EfEEvi20rocsparse_direction_NS_24const_host_device_scalarIT2_EEPKiS6_PKS3_S8_S4_PS3_21rocsparse_index_base_b
; %bb.0:
	s_clause 0x2
	s_load_dwordx2 s[18:19], s[4:5], 0x40
	s_load_dwordx2 s[16:17], s[4:5], 0x8
	;; [unrolled: 1-line block ×3, first 2 shown]
	s_waitcnt lgkmcnt(0)
	s_bitcmp1_b32 s19, 0
	s_cselect_b32 s0, -1, 0
	s_and_b32 vcc_lo, exec_lo, s0
	s_xor_b32 s0, s0, -1
	s_cbranch_vccnz .LBB20_2
; %bb.1:
	s_load_dword s16, s[16:17], 0x0
.LBB20_2:
	s_andn2_b32 vcc_lo, exec_lo, s0
	s_cbranch_vccnz .LBB20_4
; %bb.3:
	s_load_dword s2, s[2:3], 0x0
.LBB20_4:
	s_waitcnt lgkmcnt(0)
	v_cmp_eq_f32_e64 s0, s16, 0
	v_cmp_eq_f32_e64 s1, s2, 1.0
	s_and_b32 s0, s0, s1
	s_and_b32 vcc_lo, exec_lo, s0
	s_cbranch_vccnz .LBB20_23
; %bb.5:
	s_load_dwordx2 s[0:1], s[4:5], 0x0
	v_lshrrev_b32_e32 v1, 2, v0
	v_lshl_or_b32 v1, s6, 5, v1
	s_waitcnt lgkmcnt(0)
	v_cmp_gt_i32_e32 vcc_lo, s0, v1
	s_and_saveexec_b32 s0, vcc_lo
	s_cbranch_execz .LBB20_23
; %bb.6:
	s_load_dwordx8 s[8:15], s[4:5], 0x10
	v_ashrrev_i32_e32 v2, 31, v1
	v_and_b32_e32 v0, 3, v0
	s_cmp_lg_u32 s1, 0
	v_lshlrev_b64 v[2:3], 2, v[1:2]
	s_waitcnt lgkmcnt(0)
	v_add_co_u32 v2, vcc_lo, s8, v2
	v_add_co_ci_u32_e64 v3, null, s9, v3, vcc_lo
	global_load_dwordx2 v[2:3], v[2:3], off
	s_waitcnt vmcnt(0)
	v_subrev_nc_u32_e32 v2, s18, v2
	v_subrev_nc_u32_e32 v12, s18, v3
	v_add_nc_u32_e32 v2, v2, v0
	v_cmp_lt_i32_e64 s0, v2, v12
	s_cbranch_scc0 .LBB20_12
; %bb.7:
	v_mov_b32_e32 v9, 0
	v_mov_b32_e32 v10, 0
	;; [unrolled: 1-line block ×3, first 2 shown]
	s_and_saveexec_b32 s1, s0
	s_cbranch_execz .LBB20_11
; %bb.8:
	v_mad_u64_u32 v[3:4], null, v2, 18, 17
	v_mov_b32_e32 v6, 0
	v_mov_b32_e32 v7, v2
	v_mov_b32_e32 v9, 0
	v_mov_b32_e32 v10, 0
	v_mov_b32_e32 v11, 0
	s_mov_b32 s3, 0
.LBB20_9:                               ; =>This Inner Loop Header: Depth=1
	v_ashrrev_i32_e32 v8, 31, v7
	v_mov_b32_e32 v14, v6
	v_lshlrev_b64 v[4:5], 2, v[7:8]
	v_add_nc_u32_e32 v7, 4, v7
	v_add_co_u32 v4, vcc_lo, s10, v4
	v_add_co_ci_u32_e64 v5, null, s11, v5, vcc_lo
	global_load_dword v8, v[4:5], off
	v_subrev_nc_u32_e32 v5, 17, v3
	v_mov_b32_e32 v4, v6
	v_lshlrev_b64 v[15:16], 2, v[5:6]
	v_add_nc_u32_e32 v5, -15, v3
	v_lshlrev_b64 v[17:18], 2, v[3:4]
	v_lshlrev_b64 v[19:20], 2, v[5:6]
	v_add_nc_u32_e32 v5, -14, v3
	v_add_co_u32 v15, vcc_lo, s12, v15
	v_add_co_ci_u32_e64 v16, null, s13, v16, vcc_lo
	v_add_co_u32 v17, vcc_lo, s12, v17
	v_lshlrev_b64 v[21:22], 2, v[5:6]
	v_add_nc_u32_e32 v5, -13, v3
	v_add_co_ci_u32_e64 v18, null, s13, v18, vcc_lo
	v_add_co_u32 v19, vcc_lo, s12, v19
	v_add_co_ci_u32_e64 v20, null, s13, v20, vcc_lo
	v_lshlrev_b64 v[23:24], 2, v[5:6]
	v_add_nc_u32_e32 v5, -12, v3
	s_clause 0x1
	global_load_dwordx2 v[15:16], v[15:16], off
	global_load_dword v29, v[19:20], off
	v_add_co_u32 v19, vcc_lo, s12, v21
	v_add_co_ci_u32_e64 v20, null, s13, v22, vcc_lo
	v_lshlrev_b64 v[21:22], 2, v[5:6]
	v_add_nc_u32_e32 v5, -11, v3
	v_add_co_u32 v23, vcc_lo, s12, v23
	v_add_co_ci_u32_e64 v24, null, s13, v24, vcc_lo
	v_lshlrev_b64 v[4:5], 2, v[5:6]
	s_clause 0x1
	global_load_dword v30, v[19:20], off
	global_load_dword v31, v[23:24], off
	v_add_co_u32 v19, vcc_lo, s12, v21
	v_add_co_ci_u32_e64 v20, null, s13, v22, vcc_lo
	v_add_co_u32 v4, vcc_lo, s12, v4
	v_add_co_ci_u32_e64 v5, null, s13, v5, vcc_lo
	s_clause 0x1
	global_load_dword v32, v[19:20], off
	global_load_dword v33, v[4:5], off
	s_waitcnt vmcnt(6)
	v_subrev_nc_u32_e32 v4, s18, v8
	v_mul_lo_u32 v13, v4, 6
	v_add_nc_u32_e32 v5, 2, v13
	v_lshlrev_b64 v[19:20], 2, v[13:14]
	v_lshlrev_b64 v[21:22], 2, v[5:6]
	v_add_nc_u32_e32 v5, -10, v3
	v_add_co_u32 v19, vcc_lo, s14, v19
	v_add_co_ci_u32_e64 v20, null, s15, v20, vcc_lo
	v_lshlrev_b64 v[23:24], 2, v[5:6]
	v_add_nc_u32_e32 v5, -9, v3
	v_add_co_u32 v21, vcc_lo, s14, v21
	v_add_co_ci_u32_e64 v22, null, s15, v22, vcc_lo
	;; [unrolled: 4-line block ×3, first 2 shown]
	v_lshlrev_b64 v[27:28], 2, v[5:6]
	v_add_nc_u32_e32 v5, -7, v3
	s_clause 0x1
	global_load_dwordx2 v[19:20], v[19:20], off
	global_load_dwordx2 v[21:22], v[21:22], off
	global_load_dword v8, v[23:24], off
	v_add_co_u32 v23, vcc_lo, s12, v25
	v_add_co_ci_u32_e64 v24, null, s13, v26, vcc_lo
	v_lshlrev_b64 v[25:26], 2, v[5:6]
	v_add_co_u32 v27, vcc_lo, s12, v27
	v_add_co_ci_u32_e64 v28, null, s13, v28, vcc_lo
	v_add_nc_u32_e32 v5, -6, v3
	v_add_co_u32 v25, vcc_lo, s12, v25
	v_add_co_ci_u32_e64 v26, null, s13, v26, vcc_lo
	s_clause 0x2
	global_load_dword v34, v[23:24], off
	global_load_dword v35, v[27:28], off
	;; [unrolled: 1-line block ×3, first 2 shown]
	v_lshlrev_b64 v[23:24], 2, v[5:6]
	v_add_nc_u32_e32 v5, -5, v3
	v_lshlrev_b64 v[27:28], 2, v[5:6]
	v_add_nc_u32_e32 v5, 4, v13
	v_add_co_u32 v13, vcc_lo, s12, v23
	v_add_co_ci_u32_e64 v14, null, s13, v24, vcc_lo
	v_lshlrev_b64 v[23:24], 2, v[5:6]
	v_add_nc_u32_e32 v5, -4, v3
	global_load_dword v37, v[13:14], off
	v_add_co_u32 v13, vcc_lo, s12, v27
	v_add_co_ci_u32_e64 v14, null, s13, v28, vcc_lo
	v_lshlrev_b64 v[25:26], 2, v[5:6]
	v_add_nc_u32_e32 v5, -3, v3
	v_add_co_u32 v23, vcc_lo, s14, v23
	global_load_dword v38, v[13:14], off
	v_add_co_ci_u32_e64 v24, null, s15, v24, vcc_lo
	v_lshlrev_b64 v[13:14], 2, v[5:6]
	v_add_nc_u32_e32 v5, -2, v3
	v_add_co_u32 v25, vcc_lo, s12, v25
	v_add_co_ci_u32_e64 v26, null, s13, v26, vcc_lo
	v_lshlrev_b64 v[27:28], 2, v[5:6]
	v_add_nc_u32_e32 v5, -1, v3
	v_add_co_u32 v13, vcc_lo, s12, v13
	v_add_co_ci_u32_e64 v14, null, s13, v14, vcc_lo
	v_lshlrev_b64 v[4:5], 2, v[5:6]
	global_load_dword v25, v[25:26], off
	global_load_dwordx2 v[23:24], v[23:24], off
	global_load_dword v26, v[13:14], off
	v_add_co_u32 v13, vcc_lo, s12, v27
	v_add_co_ci_u32_e64 v14, null, s13, v28, vcc_lo
	v_add_co_u32 v4, vcc_lo, s12, v4
	v_add_co_ci_u32_e64 v5, null, s13, v5, vcc_lo
	s_clause 0x2
	global_load_dword v13, v[13:14], off
	global_load_dword v4, v[4:5], off
	;; [unrolled: 1-line block ×3, first 2 shown]
	v_cmp_ge_i32_e32 vcc_lo, v7, v12
	v_add_nc_u32_e32 v3, 0x48, v3
	s_or_b32 s3, vcc_lo, s3
	s_waitcnt vmcnt(13)
	v_fmac_f32_e32 v9, v15, v19
	v_fmac_f32_e32 v11, v16, v19
	;; [unrolled: 1-line block ×6, first 2 shown]
	s_waitcnt vmcnt(12)
	v_fmac_f32_e32 v9, v33, v21
	s_waitcnt vmcnt(11)
	v_fmac_f32_e32 v11, v8, v21
	;; [unrolled: 2-line block ×7, first 2 shown]
	v_fmac_f32_e32 v11, v25, v23
	s_waitcnt vmcnt(3)
	v_fmac_f32_e32 v10, v26, v23
	s_waitcnt vmcnt(2)
	;; [unrolled: 2-line block ×4, first 2 shown]
	v_fmac_f32_e32 v10, v5, v24
	s_andn2_b32 exec_lo, exec_lo, s3
	s_cbranch_execnz .LBB20_9
; %bb.10:
	s_or_b32 exec_lo, exec_lo, s3
.LBB20_11:
	s_or_b32 exec_lo, exec_lo, s1
	s_cbranch_execz .LBB20_13
	s_branch .LBB20_18
.LBB20_12:
                                        ; implicit-def: $vgpr9
                                        ; implicit-def: $vgpr10
                                        ; implicit-def: $vgpr11
.LBB20_13:
	v_mov_b32_e32 v9, 0
	v_mov_b32_e32 v10, 0
	;; [unrolled: 1-line block ×3, first 2 shown]
	s_and_saveexec_b32 s1, s0
	s_cbranch_execz .LBB20_17
; %bb.14:
	v_mad_u64_u32 v[4:5], null, v2, 18, 17
	v_mov_b32_e32 v7, 0
	v_mov_b32_e32 v9, 0
	;; [unrolled: 1-line block ×4, first 2 shown]
	s_mov_b32 s0, 0
.LBB20_15:                              ; =>This Inner Loop Header: Depth=1
	v_ashrrev_i32_e32 v3, 31, v2
	v_add_nc_u32_e32 v13, -11, v4
	v_mov_b32_e32 v14, v7
	v_add_nc_u32_e32 v15, -5, v4
	v_mov_b32_e32 v16, v7
	v_lshlrev_b64 v[5:6], 2, v[2:3]
	v_mov_b32_e32 v17, v7
	v_lshlrev_b64 v[13:14], 2, v[13:14]
	v_add_nc_u32_e32 v2, 4, v2
	v_lshlrev_b64 v[15:16], 2, v[15:16]
	v_add_co_u32 v5, vcc_lo, s10, v5
	v_add_co_ci_u32_e64 v6, null, s11, v6, vcc_lo
	global_load_dword v3, v[5:6], off
	v_subrev_nc_u32_e32 v6, 17, v4
	v_mov_b32_e32 v5, v7
	v_lshlrev_b64 v[18:19], 2, v[6:7]
	v_add_nc_u32_e32 v6, -10, v4
	v_lshlrev_b64 v[20:21], 2, v[4:5]
	v_lshlrev_b64 v[22:23], 2, v[6:7]
	v_add_nc_u32_e32 v6, -4, v4
	v_add_co_u32 v18, vcc_lo, s12, v18
	v_add_co_ci_u32_e64 v19, null, s13, v19, vcc_lo
	v_lshlrev_b64 v[24:25], 2, v[6:7]
	v_add_nc_u32_e32 v6, -15, v4
	v_add_co_u32 v13, vcc_lo, s12, v13
	v_add_co_ci_u32_e64 v14, null, s13, v14, vcc_lo
	v_add_co_u32 v15, vcc_lo, s12, v15
	v_add_co_ci_u32_e64 v16, null, s13, v16, vcc_lo
	v_add_co_u32 v20, vcc_lo, s12, v20
	v_lshlrev_b64 v[5:6], 2, v[6:7]
	v_add_co_ci_u32_e64 v21, null, s13, v21, vcc_lo
	v_add_co_u32 v22, vcc_lo, s12, v22
	v_add_co_ci_u32_e64 v23, null, s13, v23, vcc_lo
	s_clause 0x2
	global_load_dwordx2 v[18:19], v[18:19], off
	global_load_dword v8, v[13:14], off
	global_load_dword v30, v[15:16], off
	v_add_co_u32 v13, vcc_lo, s12, v24
	v_add_co_ci_u32_e64 v14, null, s13, v25, vcc_lo
	v_add_co_u32 v5, vcc_lo, s12, v5
	v_add_co_ci_u32_e64 v6, null, s13, v6, vcc_lo
	s_clause 0x2
	global_load_dword v31, v[22:23], off
	global_load_dword v32, v[13:14], off
	global_load_dword v33, v[5:6], off
	s_waitcnt vmcnt(6)
	v_subrev_nc_u32_e32 v3, s18, v3
	v_mul_lo_u32 v16, v3, 6
	v_add_nc_u32_e32 v6, 2, v16
	v_lshlrev_b64 v[13:14], 2, v[16:17]
	v_lshlrev_b64 v[22:23], 2, v[6:7]
	v_add_nc_u32_e32 v6, -9, v4
	v_add_co_u32 v13, vcc_lo, s14, v13
	v_add_co_ci_u32_e64 v14, null, s15, v14, vcc_lo
	v_lshlrev_b64 v[24:25], 2, v[6:7]
	v_add_nc_u32_e32 v6, -3, v4
	v_add_co_u32 v22, vcc_lo, s14, v22
	v_add_co_ci_u32_e64 v23, null, s15, v23, vcc_lo
	;; [unrolled: 4-line block ×3, first 2 shown]
	v_lshlrev_b64 v[28:29], 2, v[6:7]
	v_add_nc_u32_e32 v6, -8, v4
	global_load_dwordx2 v[13:14], v[13:14], off
	global_load_dword v3, v[24:25], off
	v_add_co_u32 v24, vcc_lo, s12, v26
	v_add_co_ci_u32_e64 v25, null, s13, v27, vcc_lo
	v_lshlrev_b64 v[26:27], 2, v[6:7]
	v_add_co_u32 v28, vcc_lo, s12, v28
	v_add_co_ci_u32_e64 v29, null, s13, v29, vcc_lo
	v_add_nc_u32_e32 v6, -2, v4
	v_add_co_u32 v26, vcc_lo, s12, v26
	v_add_co_ci_u32_e64 v27, null, s13, v27, vcc_lo
	s_clause 0x1
	global_load_dword v17, v[24:25], off
	global_load_dword v34, v[28:29], off
	global_load_dwordx2 v[22:23], v[22:23], off
	global_load_dword v35, v[26:27], off
	v_lshlrev_b64 v[24:25], 2, v[6:7]
	v_add_nc_u32_e32 v6, -13, v4
	v_lshlrev_b64 v[28:29], 2, v[6:7]
	v_add_nc_u32_e32 v6, 4, v16
	v_add_co_u32 v15, vcc_lo, s12, v24
	v_add_co_ci_u32_e64 v16, null, s13, v25, vcc_lo
	v_lshlrev_b64 v[24:25], 2, v[6:7]
	v_add_nc_u32_e32 v6, -7, v4
	global_load_dword v36, v[15:16], off
	v_add_co_u32 v15, vcc_lo, s12, v28
	v_add_co_ci_u32_e64 v16, null, s13, v29, vcc_lo
	v_lshlrev_b64 v[26:27], 2, v[6:7]
	v_add_nc_u32_e32 v6, -1, v4
	v_add_co_u32 v24, vcc_lo, s14, v24
	global_load_dword v37, v[15:16], off
	v_add_co_ci_u32_e64 v25, null, s15, v25, vcc_lo
	v_lshlrev_b64 v[15:16], 2, v[6:7]
	v_add_nc_u32_e32 v6, -12, v4
	v_add_co_u32 v26, vcc_lo, s12, v26
	v_add_co_ci_u32_e64 v27, null, s13, v27, vcc_lo
	v_lshlrev_b64 v[28:29], 2, v[6:7]
	v_add_nc_u32_e32 v6, -6, v4
	v_add_co_u32 v15, vcc_lo, s12, v15
	v_add_co_ci_u32_e64 v16, null, s13, v16, vcc_lo
	v_lshlrev_b64 v[5:6], 2, v[6:7]
	global_load_dword v26, v[26:27], off
	global_load_dwordx2 v[24:25], v[24:25], off
	global_load_dword v27, v[15:16], off
	v_add_co_u32 v15, vcc_lo, s12, v28
	v_add_co_ci_u32_e64 v16, null, s13, v29, vcc_lo
	v_add_co_u32 v5, vcc_lo, s12, v5
	v_add_co_ci_u32_e64 v6, null, s13, v6, vcc_lo
	s_clause 0x2
	global_load_dword v15, v[15:16], off
	global_load_dword v5, v[5:6], off
	;; [unrolled: 1-line block ×3, first 2 shown]
	v_cmp_ge_i32_e32 vcc_lo, v2, v12
	v_add_nc_u32_e32 v4, 0x48, v4
	s_or_b32 s0, vcc_lo, s0
	s_waitcnt vmcnt(13)
	v_fmac_f32_e32 v9, v18, v13
	v_fmac_f32_e32 v11, v8, v13
	;; [unrolled: 1-line block ×6, first 2 shown]
	s_waitcnt vmcnt(9)
	v_fmac_f32_e32 v9, v33, v22
	v_fmac_f32_e32 v11, v3, v22
	;; [unrolled: 1-line block ×4, first 2 shown]
	s_waitcnt vmcnt(8)
	v_fmac_f32_e32 v11, v35, v23
	s_waitcnt vmcnt(7)
	v_fmac_f32_e32 v10, v36, v23
	;; [unrolled: 2-line block ×3, first 2 shown]
	v_fmac_f32_e32 v11, v26, v24
	s_waitcnt vmcnt(3)
	v_fmac_f32_e32 v10, v27, v24
	s_waitcnt vmcnt(2)
	;; [unrolled: 2-line block ×4, first 2 shown]
	v_fmac_f32_e32 v10, v6, v25
	s_andn2_b32 exec_lo, exec_lo, s0
	s_cbranch_execnz .LBB20_15
; %bb.16:
	s_or_b32 exec_lo, exec_lo, s0
.LBB20_17:
	s_or_b32 exec_lo, exec_lo, s1
.LBB20_18:
	v_mbcnt_lo_u32_b32 v2, -1, 0
	s_mov_b32 s3, -1
	v_xor_b32_e32 v3, 2, v2
	v_cmp_gt_i32_e32 vcc_lo, 32, v3
	v_cndmask_b32_e32 v3, v2, v3, vcc_lo
	v_lshlrev_b32_e32 v3, 2, v3
	ds_bpermute_b32 v4, v3, v9
	ds_bpermute_b32 v5, v3, v11
	;; [unrolled: 1-line block ×3, first 2 shown]
	v_xor_b32_e32 v3, 1, v2
	v_cmp_gt_i32_e32 vcc_lo, 32, v3
	v_cndmask_b32_e32 v2, v2, v3, vcc_lo
	v_cmp_eq_u32_e32 vcc_lo, 3, v0
	v_lshlrev_b32_e32 v7, 2, v2
	s_waitcnt lgkmcnt(2)
	v_add_f32_e32 v2, v9, v4
	s_waitcnt lgkmcnt(1)
	v_add_f32_e32 v3, v11, v5
	;; [unrolled: 2-line block ×3, first 2 shown]
	ds_bpermute_b32 v5, v7, v2
	ds_bpermute_b32 v6, v7, v3
	;; [unrolled: 1-line block ×3, first 2 shown]
	s_and_b32 exec_lo, exec_lo, vcc_lo
	s_cbranch_execz .LBB20_23
; %bb.19:
	s_load_dwordx2 s[0:1], s[4:5], 0x38
	s_waitcnt lgkmcnt(0)
	v_add_f32_e32 v0, v2, v5
	v_add_f32_e32 v2, v3, v6
	;; [unrolled: 1-line block ×3, first 2 shown]
	v_lshl_add_u32 v3, v1, 1, v1
	v_cmp_eq_f32_e64 s4, s2, 0
	v_mul_f32_e32 v0, s16, v0
	v_mul_f32_e32 v1, s16, v2
	;; [unrolled: 1-line block ×3, first 2 shown]
	v_ashrrev_i32_e32 v4, 31, v3
	s_and_b32 vcc_lo, exec_lo, s4
	s_cbranch_vccz .LBB20_21
; %bb.20:
	v_lshlrev_b64 v[5:6], 2, v[3:4]
	s_mov_b32 s3, 0
	v_add_co_u32 v5, vcc_lo, s0, v5
	v_add_co_ci_u32_e64 v6, null, s1, v6, vcc_lo
	global_store_dwordx3 v[5:6], v[0:2], off
.LBB20_21:
	s_andn2_b32 vcc_lo, exec_lo, s3
	s_cbranch_vccnz .LBB20_23
; %bb.22:
	v_lshlrev_b64 v[3:4], 2, v[3:4]
	v_add_co_u32 v6, vcc_lo, s0, v3
	v_add_co_ci_u32_e64 v7, null, s1, v4, vcc_lo
	global_load_dwordx3 v[3:5], v[6:7], off
	s_waitcnt vmcnt(0)
	v_fmac_f32_e32 v0, s2, v3
	v_fmac_f32_e32 v1, s2, v4
	;; [unrolled: 1-line block ×3, first 2 shown]
	global_store_dwordx3 v[6:7], v[0:2], off
.LBB20_23:
	s_endpgm
	.section	.rodata,"a",@progbits
	.p2align	6, 0x0
	.amdhsa_kernel _ZN9rocsparseL19gebsrmvn_3xn_kernelILj128ELj6ELj4EfEEvi20rocsparse_direction_NS_24const_host_device_scalarIT2_EEPKiS6_PKS3_S8_S4_PS3_21rocsparse_index_base_b
		.amdhsa_group_segment_fixed_size 0
		.amdhsa_private_segment_fixed_size 0
		.amdhsa_kernarg_size 72
		.amdhsa_user_sgpr_count 6
		.amdhsa_user_sgpr_private_segment_buffer 1
		.amdhsa_user_sgpr_dispatch_ptr 0
		.amdhsa_user_sgpr_queue_ptr 0
		.amdhsa_user_sgpr_kernarg_segment_ptr 1
		.amdhsa_user_sgpr_dispatch_id 0
		.amdhsa_user_sgpr_flat_scratch_init 0
		.amdhsa_user_sgpr_private_segment_size 0
		.amdhsa_wavefront_size32 1
		.amdhsa_uses_dynamic_stack 0
		.amdhsa_system_sgpr_private_segment_wavefront_offset 0
		.amdhsa_system_sgpr_workgroup_id_x 1
		.amdhsa_system_sgpr_workgroup_id_y 0
		.amdhsa_system_sgpr_workgroup_id_z 0
		.amdhsa_system_sgpr_workgroup_info 0
		.amdhsa_system_vgpr_workitem_id 0
		.amdhsa_next_free_vgpr 39
		.amdhsa_next_free_sgpr 20
		.amdhsa_reserve_vcc 1
		.amdhsa_reserve_flat_scratch 0
		.amdhsa_float_round_mode_32 0
		.amdhsa_float_round_mode_16_64 0
		.amdhsa_float_denorm_mode_32 3
		.amdhsa_float_denorm_mode_16_64 3
		.amdhsa_dx10_clamp 1
		.amdhsa_ieee_mode 1
		.amdhsa_fp16_overflow 0
		.amdhsa_workgroup_processor_mode 1
		.amdhsa_memory_ordered 1
		.amdhsa_forward_progress 1
		.amdhsa_shared_vgpr_count 0
		.amdhsa_exception_fp_ieee_invalid_op 0
		.amdhsa_exception_fp_denorm_src 0
		.amdhsa_exception_fp_ieee_div_zero 0
		.amdhsa_exception_fp_ieee_overflow 0
		.amdhsa_exception_fp_ieee_underflow 0
		.amdhsa_exception_fp_ieee_inexact 0
		.amdhsa_exception_int_div_zero 0
	.end_amdhsa_kernel
	.section	.text._ZN9rocsparseL19gebsrmvn_3xn_kernelILj128ELj6ELj4EfEEvi20rocsparse_direction_NS_24const_host_device_scalarIT2_EEPKiS6_PKS3_S8_S4_PS3_21rocsparse_index_base_b,"axG",@progbits,_ZN9rocsparseL19gebsrmvn_3xn_kernelILj128ELj6ELj4EfEEvi20rocsparse_direction_NS_24const_host_device_scalarIT2_EEPKiS6_PKS3_S8_S4_PS3_21rocsparse_index_base_b,comdat
.Lfunc_end20:
	.size	_ZN9rocsparseL19gebsrmvn_3xn_kernelILj128ELj6ELj4EfEEvi20rocsparse_direction_NS_24const_host_device_scalarIT2_EEPKiS6_PKS3_S8_S4_PS3_21rocsparse_index_base_b, .Lfunc_end20-_ZN9rocsparseL19gebsrmvn_3xn_kernelILj128ELj6ELj4EfEEvi20rocsparse_direction_NS_24const_host_device_scalarIT2_EEPKiS6_PKS3_S8_S4_PS3_21rocsparse_index_base_b
                                        ; -- End function
	.set _ZN9rocsparseL19gebsrmvn_3xn_kernelILj128ELj6ELj4EfEEvi20rocsparse_direction_NS_24const_host_device_scalarIT2_EEPKiS6_PKS3_S8_S4_PS3_21rocsparse_index_base_b.num_vgpr, 39
	.set _ZN9rocsparseL19gebsrmvn_3xn_kernelILj128ELj6ELj4EfEEvi20rocsparse_direction_NS_24const_host_device_scalarIT2_EEPKiS6_PKS3_S8_S4_PS3_21rocsparse_index_base_b.num_agpr, 0
	.set _ZN9rocsparseL19gebsrmvn_3xn_kernelILj128ELj6ELj4EfEEvi20rocsparse_direction_NS_24const_host_device_scalarIT2_EEPKiS6_PKS3_S8_S4_PS3_21rocsparse_index_base_b.numbered_sgpr, 20
	.set _ZN9rocsparseL19gebsrmvn_3xn_kernelILj128ELj6ELj4EfEEvi20rocsparse_direction_NS_24const_host_device_scalarIT2_EEPKiS6_PKS3_S8_S4_PS3_21rocsparse_index_base_b.num_named_barrier, 0
	.set _ZN9rocsparseL19gebsrmvn_3xn_kernelILj128ELj6ELj4EfEEvi20rocsparse_direction_NS_24const_host_device_scalarIT2_EEPKiS6_PKS3_S8_S4_PS3_21rocsparse_index_base_b.private_seg_size, 0
	.set _ZN9rocsparseL19gebsrmvn_3xn_kernelILj128ELj6ELj4EfEEvi20rocsparse_direction_NS_24const_host_device_scalarIT2_EEPKiS6_PKS3_S8_S4_PS3_21rocsparse_index_base_b.uses_vcc, 1
	.set _ZN9rocsparseL19gebsrmvn_3xn_kernelILj128ELj6ELj4EfEEvi20rocsparse_direction_NS_24const_host_device_scalarIT2_EEPKiS6_PKS3_S8_S4_PS3_21rocsparse_index_base_b.uses_flat_scratch, 0
	.set _ZN9rocsparseL19gebsrmvn_3xn_kernelILj128ELj6ELj4EfEEvi20rocsparse_direction_NS_24const_host_device_scalarIT2_EEPKiS6_PKS3_S8_S4_PS3_21rocsparse_index_base_b.has_dyn_sized_stack, 0
	.set _ZN9rocsparseL19gebsrmvn_3xn_kernelILj128ELj6ELj4EfEEvi20rocsparse_direction_NS_24const_host_device_scalarIT2_EEPKiS6_PKS3_S8_S4_PS3_21rocsparse_index_base_b.has_recursion, 0
	.set _ZN9rocsparseL19gebsrmvn_3xn_kernelILj128ELj6ELj4EfEEvi20rocsparse_direction_NS_24const_host_device_scalarIT2_EEPKiS6_PKS3_S8_S4_PS3_21rocsparse_index_base_b.has_indirect_call, 0
	.section	.AMDGPU.csdata,"",@progbits
; Kernel info:
; codeLenInByte = 2524
; TotalNumSgprs: 22
; NumVgprs: 39
; ScratchSize: 0
; MemoryBound: 0
; FloatMode: 240
; IeeeMode: 1
; LDSByteSize: 0 bytes/workgroup (compile time only)
; SGPRBlocks: 0
; VGPRBlocks: 4
; NumSGPRsForWavesPerEU: 22
; NumVGPRsForWavesPerEU: 39
; Occupancy: 16
; WaveLimiterHint : 1
; COMPUTE_PGM_RSRC2:SCRATCH_EN: 0
; COMPUTE_PGM_RSRC2:USER_SGPR: 6
; COMPUTE_PGM_RSRC2:TRAP_HANDLER: 0
; COMPUTE_PGM_RSRC2:TGID_X_EN: 1
; COMPUTE_PGM_RSRC2:TGID_Y_EN: 0
; COMPUTE_PGM_RSRC2:TGID_Z_EN: 0
; COMPUTE_PGM_RSRC2:TIDIG_COMP_CNT: 0
	.section	.text._ZN9rocsparseL19gebsrmvn_3xn_kernelILj128ELj6ELj8EfEEvi20rocsparse_direction_NS_24const_host_device_scalarIT2_EEPKiS6_PKS3_S8_S4_PS3_21rocsparse_index_base_b,"axG",@progbits,_ZN9rocsparseL19gebsrmvn_3xn_kernelILj128ELj6ELj8EfEEvi20rocsparse_direction_NS_24const_host_device_scalarIT2_EEPKiS6_PKS3_S8_S4_PS3_21rocsparse_index_base_b,comdat
	.globl	_ZN9rocsparseL19gebsrmvn_3xn_kernelILj128ELj6ELj8EfEEvi20rocsparse_direction_NS_24const_host_device_scalarIT2_EEPKiS6_PKS3_S8_S4_PS3_21rocsparse_index_base_b ; -- Begin function _ZN9rocsparseL19gebsrmvn_3xn_kernelILj128ELj6ELj8EfEEvi20rocsparse_direction_NS_24const_host_device_scalarIT2_EEPKiS6_PKS3_S8_S4_PS3_21rocsparse_index_base_b
	.p2align	8
	.type	_ZN9rocsparseL19gebsrmvn_3xn_kernelILj128ELj6ELj8EfEEvi20rocsparse_direction_NS_24const_host_device_scalarIT2_EEPKiS6_PKS3_S8_S4_PS3_21rocsparse_index_base_b,@function
_ZN9rocsparseL19gebsrmvn_3xn_kernelILj128ELj6ELj8EfEEvi20rocsparse_direction_NS_24const_host_device_scalarIT2_EEPKiS6_PKS3_S8_S4_PS3_21rocsparse_index_base_b: ; @_ZN9rocsparseL19gebsrmvn_3xn_kernelILj128ELj6ELj8EfEEvi20rocsparse_direction_NS_24const_host_device_scalarIT2_EEPKiS6_PKS3_S8_S4_PS3_21rocsparse_index_base_b
; %bb.0:
	s_clause 0x2
	s_load_dwordx2 s[18:19], s[4:5], 0x40
	s_load_dwordx2 s[16:17], s[4:5], 0x8
	;; [unrolled: 1-line block ×3, first 2 shown]
	s_waitcnt lgkmcnt(0)
	s_bitcmp1_b32 s19, 0
	s_cselect_b32 s0, -1, 0
	s_and_b32 vcc_lo, exec_lo, s0
	s_xor_b32 s0, s0, -1
	s_cbranch_vccnz .LBB21_2
; %bb.1:
	s_load_dword s16, s[16:17], 0x0
.LBB21_2:
	s_andn2_b32 vcc_lo, exec_lo, s0
	s_cbranch_vccnz .LBB21_4
; %bb.3:
	s_load_dword s2, s[2:3], 0x0
.LBB21_4:
	s_waitcnt lgkmcnt(0)
	v_cmp_eq_f32_e64 s0, s16, 0
	v_cmp_eq_f32_e64 s1, s2, 1.0
	s_and_b32 s0, s0, s1
	s_and_b32 vcc_lo, exec_lo, s0
	s_cbranch_vccnz .LBB21_23
; %bb.5:
	s_load_dwordx2 s[0:1], s[4:5], 0x0
	v_lshrrev_b32_e32 v1, 3, v0
	v_lshl_or_b32 v1, s6, 4, v1
	s_waitcnt lgkmcnt(0)
	v_cmp_gt_i32_e32 vcc_lo, s0, v1
	s_and_saveexec_b32 s0, vcc_lo
	s_cbranch_execz .LBB21_23
; %bb.6:
	s_load_dwordx8 s[8:15], s[4:5], 0x10
	v_ashrrev_i32_e32 v2, 31, v1
	v_and_b32_e32 v0, 7, v0
	s_cmp_lg_u32 s1, 0
	v_lshlrev_b64 v[2:3], 2, v[1:2]
	s_waitcnt lgkmcnt(0)
	v_add_co_u32 v2, vcc_lo, s8, v2
	v_add_co_ci_u32_e64 v3, null, s9, v3, vcc_lo
	global_load_dwordx2 v[2:3], v[2:3], off
	s_waitcnt vmcnt(0)
	v_subrev_nc_u32_e32 v2, s18, v2
	v_subrev_nc_u32_e32 v12, s18, v3
	v_add_nc_u32_e32 v2, v2, v0
	v_cmp_lt_i32_e64 s0, v2, v12
	s_cbranch_scc0 .LBB21_12
; %bb.7:
	v_mov_b32_e32 v9, 0
	v_mov_b32_e32 v10, 0
	;; [unrolled: 1-line block ×3, first 2 shown]
	s_and_saveexec_b32 s1, s0
	s_cbranch_execz .LBB21_11
; %bb.8:
	v_mad_u64_u32 v[3:4], null, v2, 18, 17
	v_mov_b32_e32 v6, 0
	v_mov_b32_e32 v7, v2
	;; [unrolled: 1-line block ×5, first 2 shown]
	s_mov_b32 s3, 0
.LBB21_9:                               ; =>This Inner Loop Header: Depth=1
	v_ashrrev_i32_e32 v8, 31, v7
	v_mov_b32_e32 v14, v6
	v_lshlrev_b64 v[4:5], 2, v[7:8]
	v_add_nc_u32_e32 v7, 8, v7
	v_add_co_u32 v4, vcc_lo, s10, v4
	v_add_co_ci_u32_e64 v5, null, s11, v5, vcc_lo
	global_load_dword v8, v[4:5], off
	v_subrev_nc_u32_e32 v5, 17, v3
	v_mov_b32_e32 v4, v6
	v_lshlrev_b64 v[15:16], 2, v[5:6]
	v_add_nc_u32_e32 v5, -15, v3
	v_lshlrev_b64 v[17:18], 2, v[3:4]
	v_lshlrev_b64 v[19:20], 2, v[5:6]
	v_add_nc_u32_e32 v5, -14, v3
	v_add_co_u32 v15, vcc_lo, s12, v15
	v_add_co_ci_u32_e64 v16, null, s13, v16, vcc_lo
	v_add_co_u32 v17, vcc_lo, s12, v17
	v_lshlrev_b64 v[21:22], 2, v[5:6]
	v_add_nc_u32_e32 v5, -13, v3
	v_add_co_ci_u32_e64 v18, null, s13, v18, vcc_lo
	v_add_co_u32 v19, vcc_lo, s12, v19
	v_add_co_ci_u32_e64 v20, null, s13, v20, vcc_lo
	v_lshlrev_b64 v[23:24], 2, v[5:6]
	v_add_nc_u32_e32 v5, -12, v3
	s_clause 0x1
	global_load_dwordx2 v[15:16], v[15:16], off
	global_load_dword v29, v[19:20], off
	v_add_co_u32 v19, vcc_lo, s12, v21
	v_add_co_ci_u32_e64 v20, null, s13, v22, vcc_lo
	v_lshlrev_b64 v[21:22], 2, v[5:6]
	v_add_nc_u32_e32 v5, -11, v3
	v_add_co_u32 v23, vcc_lo, s12, v23
	v_add_co_ci_u32_e64 v24, null, s13, v24, vcc_lo
	v_lshlrev_b64 v[4:5], 2, v[5:6]
	s_clause 0x1
	global_load_dword v30, v[19:20], off
	global_load_dword v31, v[23:24], off
	v_add_co_u32 v19, vcc_lo, s12, v21
	v_add_co_ci_u32_e64 v20, null, s13, v22, vcc_lo
	v_add_co_u32 v4, vcc_lo, s12, v4
	v_add_co_ci_u32_e64 v5, null, s13, v5, vcc_lo
	s_clause 0x1
	global_load_dword v32, v[19:20], off
	global_load_dword v33, v[4:5], off
	s_waitcnt vmcnt(6)
	v_subrev_nc_u32_e32 v4, s18, v8
	v_mul_lo_u32 v13, v4, 6
	v_add_nc_u32_e32 v5, 2, v13
	v_lshlrev_b64 v[19:20], 2, v[13:14]
	v_lshlrev_b64 v[21:22], 2, v[5:6]
	v_add_nc_u32_e32 v5, -10, v3
	v_add_co_u32 v19, vcc_lo, s14, v19
	v_add_co_ci_u32_e64 v20, null, s15, v20, vcc_lo
	v_lshlrev_b64 v[23:24], 2, v[5:6]
	v_add_nc_u32_e32 v5, -9, v3
	v_add_co_u32 v21, vcc_lo, s14, v21
	v_add_co_ci_u32_e64 v22, null, s15, v22, vcc_lo
	;; [unrolled: 4-line block ×3, first 2 shown]
	v_lshlrev_b64 v[27:28], 2, v[5:6]
	v_add_nc_u32_e32 v5, -7, v3
	s_clause 0x1
	global_load_dwordx2 v[19:20], v[19:20], off
	global_load_dwordx2 v[21:22], v[21:22], off
	global_load_dword v8, v[23:24], off
	v_add_co_u32 v23, vcc_lo, s12, v25
	v_add_co_ci_u32_e64 v24, null, s13, v26, vcc_lo
	v_lshlrev_b64 v[25:26], 2, v[5:6]
	v_add_co_u32 v27, vcc_lo, s12, v27
	v_add_co_ci_u32_e64 v28, null, s13, v28, vcc_lo
	v_add_nc_u32_e32 v5, -6, v3
	v_add_co_u32 v25, vcc_lo, s12, v25
	v_add_co_ci_u32_e64 v26, null, s13, v26, vcc_lo
	s_clause 0x2
	global_load_dword v34, v[23:24], off
	global_load_dword v35, v[27:28], off
	;; [unrolled: 1-line block ×3, first 2 shown]
	v_lshlrev_b64 v[23:24], 2, v[5:6]
	v_add_nc_u32_e32 v5, -5, v3
	v_lshlrev_b64 v[27:28], 2, v[5:6]
	v_add_nc_u32_e32 v5, 4, v13
	v_add_co_u32 v13, vcc_lo, s12, v23
	v_add_co_ci_u32_e64 v14, null, s13, v24, vcc_lo
	v_lshlrev_b64 v[23:24], 2, v[5:6]
	v_add_nc_u32_e32 v5, -4, v3
	global_load_dword v37, v[13:14], off
	v_add_co_u32 v13, vcc_lo, s12, v27
	v_add_co_ci_u32_e64 v14, null, s13, v28, vcc_lo
	v_lshlrev_b64 v[25:26], 2, v[5:6]
	v_add_nc_u32_e32 v5, -3, v3
	v_add_co_u32 v23, vcc_lo, s14, v23
	global_load_dword v38, v[13:14], off
	v_add_co_ci_u32_e64 v24, null, s15, v24, vcc_lo
	v_lshlrev_b64 v[13:14], 2, v[5:6]
	v_add_nc_u32_e32 v5, -2, v3
	v_add_co_u32 v25, vcc_lo, s12, v25
	v_add_co_ci_u32_e64 v26, null, s13, v26, vcc_lo
	v_lshlrev_b64 v[27:28], 2, v[5:6]
	v_add_nc_u32_e32 v5, -1, v3
	v_add_co_u32 v13, vcc_lo, s12, v13
	v_add_co_ci_u32_e64 v14, null, s13, v14, vcc_lo
	v_lshlrev_b64 v[4:5], 2, v[5:6]
	global_load_dword v25, v[25:26], off
	global_load_dwordx2 v[23:24], v[23:24], off
	global_load_dword v26, v[13:14], off
	v_add_co_u32 v13, vcc_lo, s12, v27
	v_add_co_ci_u32_e64 v14, null, s13, v28, vcc_lo
	v_add_co_u32 v4, vcc_lo, s12, v4
	v_add_co_ci_u32_e64 v5, null, s13, v5, vcc_lo
	s_clause 0x2
	global_load_dword v13, v[13:14], off
	global_load_dword v4, v[4:5], off
	;; [unrolled: 1-line block ×3, first 2 shown]
	v_cmp_ge_i32_e32 vcc_lo, v7, v12
	v_add_nc_u32_e32 v3, 0x90, v3
	s_or_b32 s3, vcc_lo, s3
	s_waitcnt vmcnt(13)
	v_fmac_f32_e32 v9, v15, v19
	v_fmac_f32_e32 v11, v16, v19
	;; [unrolled: 1-line block ×6, first 2 shown]
	s_waitcnt vmcnt(12)
	v_fmac_f32_e32 v9, v33, v21
	s_waitcnt vmcnt(11)
	v_fmac_f32_e32 v11, v8, v21
	;; [unrolled: 2-line block ×7, first 2 shown]
	v_fmac_f32_e32 v11, v25, v23
	s_waitcnt vmcnt(3)
	v_fmac_f32_e32 v10, v26, v23
	s_waitcnt vmcnt(2)
	;; [unrolled: 2-line block ×4, first 2 shown]
	v_fmac_f32_e32 v10, v5, v24
	s_andn2_b32 exec_lo, exec_lo, s3
	s_cbranch_execnz .LBB21_9
; %bb.10:
	s_or_b32 exec_lo, exec_lo, s3
.LBB21_11:
	s_or_b32 exec_lo, exec_lo, s1
	s_cbranch_execz .LBB21_13
	s_branch .LBB21_18
.LBB21_12:
                                        ; implicit-def: $vgpr9
                                        ; implicit-def: $vgpr10
                                        ; implicit-def: $vgpr11
.LBB21_13:
	v_mov_b32_e32 v9, 0
	v_mov_b32_e32 v10, 0
	;; [unrolled: 1-line block ×3, first 2 shown]
	s_and_saveexec_b32 s1, s0
	s_cbranch_execz .LBB21_17
; %bb.14:
	v_mad_u64_u32 v[4:5], null, v2, 18, 17
	v_mov_b32_e32 v7, 0
	v_mov_b32_e32 v9, 0
	;; [unrolled: 1-line block ×4, first 2 shown]
	s_mov_b32 s0, 0
.LBB21_15:                              ; =>This Inner Loop Header: Depth=1
	v_ashrrev_i32_e32 v3, 31, v2
	v_add_nc_u32_e32 v13, -11, v4
	v_mov_b32_e32 v14, v7
	v_add_nc_u32_e32 v15, -5, v4
	v_mov_b32_e32 v16, v7
	v_lshlrev_b64 v[5:6], 2, v[2:3]
	v_mov_b32_e32 v17, v7
	v_lshlrev_b64 v[13:14], 2, v[13:14]
	v_add_nc_u32_e32 v2, 8, v2
	v_lshlrev_b64 v[15:16], 2, v[15:16]
	v_add_co_u32 v5, vcc_lo, s10, v5
	v_add_co_ci_u32_e64 v6, null, s11, v6, vcc_lo
	global_load_dword v3, v[5:6], off
	v_subrev_nc_u32_e32 v6, 17, v4
	v_mov_b32_e32 v5, v7
	v_lshlrev_b64 v[18:19], 2, v[6:7]
	v_add_nc_u32_e32 v6, -10, v4
	v_lshlrev_b64 v[20:21], 2, v[4:5]
	v_lshlrev_b64 v[22:23], 2, v[6:7]
	v_add_nc_u32_e32 v6, -4, v4
	v_add_co_u32 v18, vcc_lo, s12, v18
	v_add_co_ci_u32_e64 v19, null, s13, v19, vcc_lo
	v_lshlrev_b64 v[24:25], 2, v[6:7]
	v_add_nc_u32_e32 v6, -15, v4
	v_add_co_u32 v13, vcc_lo, s12, v13
	v_add_co_ci_u32_e64 v14, null, s13, v14, vcc_lo
	v_add_co_u32 v15, vcc_lo, s12, v15
	v_add_co_ci_u32_e64 v16, null, s13, v16, vcc_lo
	v_add_co_u32 v20, vcc_lo, s12, v20
	v_lshlrev_b64 v[5:6], 2, v[6:7]
	v_add_co_ci_u32_e64 v21, null, s13, v21, vcc_lo
	v_add_co_u32 v22, vcc_lo, s12, v22
	v_add_co_ci_u32_e64 v23, null, s13, v23, vcc_lo
	s_clause 0x2
	global_load_dwordx2 v[18:19], v[18:19], off
	global_load_dword v8, v[13:14], off
	global_load_dword v30, v[15:16], off
	v_add_co_u32 v13, vcc_lo, s12, v24
	v_add_co_ci_u32_e64 v14, null, s13, v25, vcc_lo
	v_add_co_u32 v5, vcc_lo, s12, v5
	v_add_co_ci_u32_e64 v6, null, s13, v6, vcc_lo
	s_clause 0x2
	global_load_dword v31, v[22:23], off
	global_load_dword v32, v[13:14], off
	;; [unrolled: 1-line block ×3, first 2 shown]
	s_waitcnt vmcnt(6)
	v_subrev_nc_u32_e32 v3, s18, v3
	v_mul_lo_u32 v16, v3, 6
	v_add_nc_u32_e32 v6, 2, v16
	v_lshlrev_b64 v[13:14], 2, v[16:17]
	v_lshlrev_b64 v[22:23], 2, v[6:7]
	v_add_nc_u32_e32 v6, -9, v4
	v_add_co_u32 v13, vcc_lo, s14, v13
	v_add_co_ci_u32_e64 v14, null, s15, v14, vcc_lo
	v_lshlrev_b64 v[24:25], 2, v[6:7]
	v_add_nc_u32_e32 v6, -3, v4
	v_add_co_u32 v22, vcc_lo, s14, v22
	v_add_co_ci_u32_e64 v23, null, s15, v23, vcc_lo
	;; [unrolled: 4-line block ×3, first 2 shown]
	v_lshlrev_b64 v[28:29], 2, v[6:7]
	v_add_nc_u32_e32 v6, -8, v4
	global_load_dwordx2 v[13:14], v[13:14], off
	global_load_dword v3, v[24:25], off
	v_add_co_u32 v24, vcc_lo, s12, v26
	v_add_co_ci_u32_e64 v25, null, s13, v27, vcc_lo
	v_lshlrev_b64 v[26:27], 2, v[6:7]
	v_add_co_u32 v28, vcc_lo, s12, v28
	v_add_co_ci_u32_e64 v29, null, s13, v29, vcc_lo
	v_add_nc_u32_e32 v6, -2, v4
	v_add_co_u32 v26, vcc_lo, s12, v26
	v_add_co_ci_u32_e64 v27, null, s13, v27, vcc_lo
	s_clause 0x1
	global_load_dword v17, v[24:25], off
	global_load_dword v34, v[28:29], off
	global_load_dwordx2 v[22:23], v[22:23], off
	global_load_dword v35, v[26:27], off
	v_lshlrev_b64 v[24:25], 2, v[6:7]
	v_add_nc_u32_e32 v6, -13, v4
	v_lshlrev_b64 v[28:29], 2, v[6:7]
	v_add_nc_u32_e32 v6, 4, v16
	v_add_co_u32 v15, vcc_lo, s12, v24
	v_add_co_ci_u32_e64 v16, null, s13, v25, vcc_lo
	v_lshlrev_b64 v[24:25], 2, v[6:7]
	v_add_nc_u32_e32 v6, -7, v4
	global_load_dword v36, v[15:16], off
	v_add_co_u32 v15, vcc_lo, s12, v28
	v_add_co_ci_u32_e64 v16, null, s13, v29, vcc_lo
	v_lshlrev_b64 v[26:27], 2, v[6:7]
	v_add_nc_u32_e32 v6, -1, v4
	v_add_co_u32 v24, vcc_lo, s14, v24
	global_load_dword v37, v[15:16], off
	v_add_co_ci_u32_e64 v25, null, s15, v25, vcc_lo
	v_lshlrev_b64 v[15:16], 2, v[6:7]
	v_add_nc_u32_e32 v6, -12, v4
	v_add_co_u32 v26, vcc_lo, s12, v26
	v_add_co_ci_u32_e64 v27, null, s13, v27, vcc_lo
	v_lshlrev_b64 v[28:29], 2, v[6:7]
	v_add_nc_u32_e32 v6, -6, v4
	v_add_co_u32 v15, vcc_lo, s12, v15
	v_add_co_ci_u32_e64 v16, null, s13, v16, vcc_lo
	v_lshlrev_b64 v[5:6], 2, v[6:7]
	global_load_dword v26, v[26:27], off
	global_load_dwordx2 v[24:25], v[24:25], off
	global_load_dword v27, v[15:16], off
	v_add_co_u32 v15, vcc_lo, s12, v28
	v_add_co_ci_u32_e64 v16, null, s13, v29, vcc_lo
	v_add_co_u32 v5, vcc_lo, s12, v5
	v_add_co_ci_u32_e64 v6, null, s13, v6, vcc_lo
	s_clause 0x2
	global_load_dword v15, v[15:16], off
	global_load_dword v5, v[5:6], off
	global_load_dword v6, v[20:21], off
	v_cmp_ge_i32_e32 vcc_lo, v2, v12
	v_add_nc_u32_e32 v4, 0x90, v4
	s_or_b32 s0, vcc_lo, s0
	s_waitcnt vmcnt(13)
	v_fmac_f32_e32 v9, v18, v13
	v_fmac_f32_e32 v11, v8, v13
	;; [unrolled: 1-line block ×6, first 2 shown]
	s_waitcnt vmcnt(9)
	v_fmac_f32_e32 v9, v33, v22
	v_fmac_f32_e32 v11, v3, v22
	;; [unrolled: 1-line block ×4, first 2 shown]
	s_waitcnt vmcnt(8)
	v_fmac_f32_e32 v11, v35, v23
	s_waitcnt vmcnt(7)
	v_fmac_f32_e32 v10, v36, v23
	;; [unrolled: 2-line block ×3, first 2 shown]
	v_fmac_f32_e32 v11, v26, v24
	s_waitcnt vmcnt(3)
	v_fmac_f32_e32 v10, v27, v24
	s_waitcnt vmcnt(2)
	;; [unrolled: 2-line block ×4, first 2 shown]
	v_fmac_f32_e32 v10, v6, v25
	s_andn2_b32 exec_lo, exec_lo, s0
	s_cbranch_execnz .LBB21_15
; %bb.16:
	s_or_b32 exec_lo, exec_lo, s0
.LBB21_17:
	s_or_b32 exec_lo, exec_lo, s1
.LBB21_18:
	v_mbcnt_lo_u32_b32 v2, -1, 0
	s_mov_b32 s3, -1
	v_xor_b32_e32 v3, 4, v2
	v_xor_b32_e32 v6, 2, v2
	v_cmp_gt_i32_e32 vcc_lo, 32, v3
	v_cndmask_b32_e32 v3, v2, v3, vcc_lo
	v_cmp_gt_i32_e32 vcc_lo, 32, v6
	v_lshlrev_b32_e32 v3, 2, v3
	v_cndmask_b32_e32 v6, v2, v6, vcc_lo
	ds_bpermute_b32 v4, v3, v9
	ds_bpermute_b32 v5, v3, v11
	;; [unrolled: 1-line block ×3, first 2 shown]
	v_lshlrev_b32_e32 v6, 2, v6
	s_waitcnt lgkmcnt(2)
	v_add_f32_e32 v4, v9, v4
	s_waitcnt lgkmcnt(1)
	v_add_f32_e32 v5, v11, v5
	;; [unrolled: 2-line block ×3, first 2 shown]
	v_xor_b32_e32 v9, 1, v2
	ds_bpermute_b32 v3, v6, v4
	ds_bpermute_b32 v8, v6, v5
	;; [unrolled: 1-line block ×3, first 2 shown]
	v_cmp_gt_i32_e32 vcc_lo, 32, v9
	v_cndmask_b32_e32 v2, v2, v9, vcc_lo
	v_cmp_eq_u32_e32 vcc_lo, 7, v0
	v_lshlrev_b32_e32 v9, 2, v2
	s_waitcnt lgkmcnt(2)
	v_add_f32_e32 v2, v4, v3
	s_waitcnt lgkmcnt(1)
	v_add_f32_e32 v3, v5, v8
	;; [unrolled: 2-line block ×3, first 2 shown]
	ds_bpermute_b32 v5, v9, v2
	ds_bpermute_b32 v6, v9, v3
	;; [unrolled: 1-line block ×3, first 2 shown]
	s_and_b32 exec_lo, exec_lo, vcc_lo
	s_cbranch_execz .LBB21_23
; %bb.19:
	s_load_dwordx2 s[0:1], s[4:5], 0x38
	s_waitcnt lgkmcnt(0)
	v_add_f32_e32 v0, v2, v5
	v_add_f32_e32 v2, v3, v6
	;; [unrolled: 1-line block ×3, first 2 shown]
	v_lshl_add_u32 v3, v1, 1, v1
	v_cmp_eq_f32_e64 s4, s2, 0
	v_mul_f32_e32 v0, s16, v0
	v_mul_f32_e32 v1, s16, v2
	;; [unrolled: 1-line block ×3, first 2 shown]
	v_ashrrev_i32_e32 v4, 31, v3
	s_and_b32 vcc_lo, exec_lo, s4
	s_cbranch_vccz .LBB21_21
; %bb.20:
	v_lshlrev_b64 v[5:6], 2, v[3:4]
	s_mov_b32 s3, 0
	v_add_co_u32 v5, vcc_lo, s0, v5
	v_add_co_ci_u32_e64 v6, null, s1, v6, vcc_lo
	global_store_dwordx3 v[5:6], v[0:2], off
.LBB21_21:
	s_andn2_b32 vcc_lo, exec_lo, s3
	s_cbranch_vccnz .LBB21_23
; %bb.22:
	v_lshlrev_b64 v[3:4], 2, v[3:4]
	v_add_co_u32 v6, vcc_lo, s0, v3
	v_add_co_ci_u32_e64 v7, null, s1, v4, vcc_lo
	global_load_dwordx3 v[3:5], v[6:7], off
	s_waitcnt vmcnt(0)
	v_fmac_f32_e32 v0, s2, v3
	v_fmac_f32_e32 v1, s2, v4
	;; [unrolled: 1-line block ×3, first 2 shown]
	global_store_dwordx3 v[6:7], v[0:2], off
.LBB21_23:
	s_endpgm
	.section	.rodata,"a",@progbits
	.p2align	6, 0x0
	.amdhsa_kernel _ZN9rocsparseL19gebsrmvn_3xn_kernelILj128ELj6ELj8EfEEvi20rocsparse_direction_NS_24const_host_device_scalarIT2_EEPKiS6_PKS3_S8_S4_PS3_21rocsparse_index_base_b
		.amdhsa_group_segment_fixed_size 0
		.amdhsa_private_segment_fixed_size 0
		.amdhsa_kernarg_size 72
		.amdhsa_user_sgpr_count 6
		.amdhsa_user_sgpr_private_segment_buffer 1
		.amdhsa_user_sgpr_dispatch_ptr 0
		.amdhsa_user_sgpr_queue_ptr 0
		.amdhsa_user_sgpr_kernarg_segment_ptr 1
		.amdhsa_user_sgpr_dispatch_id 0
		.amdhsa_user_sgpr_flat_scratch_init 0
		.amdhsa_user_sgpr_private_segment_size 0
		.amdhsa_wavefront_size32 1
		.amdhsa_uses_dynamic_stack 0
		.amdhsa_system_sgpr_private_segment_wavefront_offset 0
		.amdhsa_system_sgpr_workgroup_id_x 1
		.amdhsa_system_sgpr_workgroup_id_y 0
		.amdhsa_system_sgpr_workgroup_id_z 0
		.amdhsa_system_sgpr_workgroup_info 0
		.amdhsa_system_vgpr_workitem_id 0
		.amdhsa_next_free_vgpr 39
		.amdhsa_next_free_sgpr 20
		.amdhsa_reserve_vcc 1
		.amdhsa_reserve_flat_scratch 0
		.amdhsa_float_round_mode_32 0
		.amdhsa_float_round_mode_16_64 0
		.amdhsa_float_denorm_mode_32 3
		.amdhsa_float_denorm_mode_16_64 3
		.amdhsa_dx10_clamp 1
		.amdhsa_ieee_mode 1
		.amdhsa_fp16_overflow 0
		.amdhsa_workgroup_processor_mode 1
		.amdhsa_memory_ordered 1
		.amdhsa_forward_progress 1
		.amdhsa_shared_vgpr_count 0
		.amdhsa_exception_fp_ieee_invalid_op 0
		.amdhsa_exception_fp_denorm_src 0
		.amdhsa_exception_fp_ieee_div_zero 0
		.amdhsa_exception_fp_ieee_overflow 0
		.amdhsa_exception_fp_ieee_underflow 0
		.amdhsa_exception_fp_ieee_inexact 0
		.amdhsa_exception_int_div_zero 0
	.end_amdhsa_kernel
	.section	.text._ZN9rocsparseL19gebsrmvn_3xn_kernelILj128ELj6ELj8EfEEvi20rocsparse_direction_NS_24const_host_device_scalarIT2_EEPKiS6_PKS3_S8_S4_PS3_21rocsparse_index_base_b,"axG",@progbits,_ZN9rocsparseL19gebsrmvn_3xn_kernelILj128ELj6ELj8EfEEvi20rocsparse_direction_NS_24const_host_device_scalarIT2_EEPKiS6_PKS3_S8_S4_PS3_21rocsparse_index_base_b,comdat
.Lfunc_end21:
	.size	_ZN9rocsparseL19gebsrmvn_3xn_kernelILj128ELj6ELj8EfEEvi20rocsparse_direction_NS_24const_host_device_scalarIT2_EEPKiS6_PKS3_S8_S4_PS3_21rocsparse_index_base_b, .Lfunc_end21-_ZN9rocsparseL19gebsrmvn_3xn_kernelILj128ELj6ELj8EfEEvi20rocsparse_direction_NS_24const_host_device_scalarIT2_EEPKiS6_PKS3_S8_S4_PS3_21rocsparse_index_base_b
                                        ; -- End function
	.set _ZN9rocsparseL19gebsrmvn_3xn_kernelILj128ELj6ELj8EfEEvi20rocsparse_direction_NS_24const_host_device_scalarIT2_EEPKiS6_PKS3_S8_S4_PS3_21rocsparse_index_base_b.num_vgpr, 39
	.set _ZN9rocsparseL19gebsrmvn_3xn_kernelILj128ELj6ELj8EfEEvi20rocsparse_direction_NS_24const_host_device_scalarIT2_EEPKiS6_PKS3_S8_S4_PS3_21rocsparse_index_base_b.num_agpr, 0
	.set _ZN9rocsparseL19gebsrmvn_3xn_kernelILj128ELj6ELj8EfEEvi20rocsparse_direction_NS_24const_host_device_scalarIT2_EEPKiS6_PKS3_S8_S4_PS3_21rocsparse_index_base_b.numbered_sgpr, 20
	.set _ZN9rocsparseL19gebsrmvn_3xn_kernelILj128ELj6ELj8EfEEvi20rocsparse_direction_NS_24const_host_device_scalarIT2_EEPKiS6_PKS3_S8_S4_PS3_21rocsparse_index_base_b.num_named_barrier, 0
	.set _ZN9rocsparseL19gebsrmvn_3xn_kernelILj128ELj6ELj8EfEEvi20rocsparse_direction_NS_24const_host_device_scalarIT2_EEPKiS6_PKS3_S8_S4_PS3_21rocsparse_index_base_b.private_seg_size, 0
	.set _ZN9rocsparseL19gebsrmvn_3xn_kernelILj128ELj6ELj8EfEEvi20rocsparse_direction_NS_24const_host_device_scalarIT2_EEPKiS6_PKS3_S8_S4_PS3_21rocsparse_index_base_b.uses_vcc, 1
	.set _ZN9rocsparseL19gebsrmvn_3xn_kernelILj128ELj6ELj8EfEEvi20rocsparse_direction_NS_24const_host_device_scalarIT2_EEPKiS6_PKS3_S8_S4_PS3_21rocsparse_index_base_b.uses_flat_scratch, 0
	.set _ZN9rocsparseL19gebsrmvn_3xn_kernelILj128ELj6ELj8EfEEvi20rocsparse_direction_NS_24const_host_device_scalarIT2_EEPKiS6_PKS3_S8_S4_PS3_21rocsparse_index_base_b.has_dyn_sized_stack, 0
	.set _ZN9rocsparseL19gebsrmvn_3xn_kernelILj128ELj6ELj8EfEEvi20rocsparse_direction_NS_24const_host_device_scalarIT2_EEPKiS6_PKS3_S8_S4_PS3_21rocsparse_index_base_b.has_recursion, 0
	.set _ZN9rocsparseL19gebsrmvn_3xn_kernelILj128ELj6ELj8EfEEvi20rocsparse_direction_NS_24const_host_device_scalarIT2_EEPKiS6_PKS3_S8_S4_PS3_21rocsparse_index_base_b.has_indirect_call, 0
	.section	.AMDGPU.csdata,"",@progbits
; Kernel info:
; codeLenInByte = 2588
; TotalNumSgprs: 22
; NumVgprs: 39
; ScratchSize: 0
; MemoryBound: 0
; FloatMode: 240
; IeeeMode: 1
; LDSByteSize: 0 bytes/workgroup (compile time only)
; SGPRBlocks: 0
; VGPRBlocks: 4
; NumSGPRsForWavesPerEU: 22
; NumVGPRsForWavesPerEU: 39
; Occupancy: 16
; WaveLimiterHint : 1
; COMPUTE_PGM_RSRC2:SCRATCH_EN: 0
; COMPUTE_PGM_RSRC2:USER_SGPR: 6
; COMPUTE_PGM_RSRC2:TRAP_HANDLER: 0
; COMPUTE_PGM_RSRC2:TGID_X_EN: 1
; COMPUTE_PGM_RSRC2:TGID_Y_EN: 0
; COMPUTE_PGM_RSRC2:TGID_Z_EN: 0
; COMPUTE_PGM_RSRC2:TIDIG_COMP_CNT: 0
	.section	.text._ZN9rocsparseL19gebsrmvn_3xn_kernelILj128ELj6ELj16EfEEvi20rocsparse_direction_NS_24const_host_device_scalarIT2_EEPKiS6_PKS3_S8_S4_PS3_21rocsparse_index_base_b,"axG",@progbits,_ZN9rocsparseL19gebsrmvn_3xn_kernelILj128ELj6ELj16EfEEvi20rocsparse_direction_NS_24const_host_device_scalarIT2_EEPKiS6_PKS3_S8_S4_PS3_21rocsparse_index_base_b,comdat
	.globl	_ZN9rocsparseL19gebsrmvn_3xn_kernelILj128ELj6ELj16EfEEvi20rocsparse_direction_NS_24const_host_device_scalarIT2_EEPKiS6_PKS3_S8_S4_PS3_21rocsparse_index_base_b ; -- Begin function _ZN9rocsparseL19gebsrmvn_3xn_kernelILj128ELj6ELj16EfEEvi20rocsparse_direction_NS_24const_host_device_scalarIT2_EEPKiS6_PKS3_S8_S4_PS3_21rocsparse_index_base_b
	.p2align	8
	.type	_ZN9rocsparseL19gebsrmvn_3xn_kernelILj128ELj6ELj16EfEEvi20rocsparse_direction_NS_24const_host_device_scalarIT2_EEPKiS6_PKS3_S8_S4_PS3_21rocsparse_index_base_b,@function
_ZN9rocsparseL19gebsrmvn_3xn_kernelILj128ELj6ELj16EfEEvi20rocsparse_direction_NS_24const_host_device_scalarIT2_EEPKiS6_PKS3_S8_S4_PS3_21rocsparse_index_base_b: ; @_ZN9rocsparseL19gebsrmvn_3xn_kernelILj128ELj6ELj16EfEEvi20rocsparse_direction_NS_24const_host_device_scalarIT2_EEPKiS6_PKS3_S8_S4_PS3_21rocsparse_index_base_b
; %bb.0:
	s_clause 0x2
	s_load_dwordx2 s[18:19], s[4:5], 0x40
	s_load_dwordx2 s[16:17], s[4:5], 0x8
	;; [unrolled: 1-line block ×3, first 2 shown]
	s_waitcnt lgkmcnt(0)
	s_bitcmp1_b32 s19, 0
	s_cselect_b32 s0, -1, 0
	s_and_b32 vcc_lo, exec_lo, s0
	s_xor_b32 s0, s0, -1
	s_cbranch_vccnz .LBB22_2
; %bb.1:
	s_load_dword s16, s[16:17], 0x0
.LBB22_2:
	s_andn2_b32 vcc_lo, exec_lo, s0
	s_cbranch_vccnz .LBB22_4
; %bb.3:
	s_load_dword s2, s[2:3], 0x0
.LBB22_4:
	s_waitcnt lgkmcnt(0)
	v_cmp_eq_f32_e64 s0, s16, 0
	v_cmp_eq_f32_e64 s1, s2, 1.0
	s_and_b32 s0, s0, s1
	s_and_b32 vcc_lo, exec_lo, s0
	s_cbranch_vccnz .LBB22_23
; %bb.5:
	s_load_dwordx2 s[0:1], s[4:5], 0x0
	v_lshrrev_b32_e32 v1, 4, v0
	v_lshl_or_b32 v1, s6, 3, v1
	s_waitcnt lgkmcnt(0)
	v_cmp_gt_i32_e32 vcc_lo, s0, v1
	s_and_saveexec_b32 s0, vcc_lo
	s_cbranch_execz .LBB22_23
; %bb.6:
	s_load_dwordx8 s[8:15], s[4:5], 0x10
	v_ashrrev_i32_e32 v2, 31, v1
	v_and_b32_e32 v0, 15, v0
	s_cmp_lg_u32 s1, 0
	v_lshlrev_b64 v[2:3], 2, v[1:2]
	s_waitcnt lgkmcnt(0)
	v_add_co_u32 v2, vcc_lo, s8, v2
	v_add_co_ci_u32_e64 v3, null, s9, v3, vcc_lo
	global_load_dwordx2 v[2:3], v[2:3], off
	s_waitcnt vmcnt(0)
	v_subrev_nc_u32_e32 v2, s18, v2
	v_subrev_nc_u32_e32 v12, s18, v3
	v_add_nc_u32_e32 v2, v2, v0
	v_cmp_lt_i32_e64 s0, v2, v12
	s_cbranch_scc0 .LBB22_12
; %bb.7:
	v_mov_b32_e32 v9, 0
	v_mov_b32_e32 v10, 0
	;; [unrolled: 1-line block ×3, first 2 shown]
	s_and_saveexec_b32 s1, s0
	s_cbranch_execz .LBB22_11
; %bb.8:
	v_mad_u64_u32 v[3:4], null, v2, 18, 17
	v_mov_b32_e32 v6, 0
	v_mov_b32_e32 v7, v2
	;; [unrolled: 1-line block ×5, first 2 shown]
	s_mov_b32 s3, 0
.LBB22_9:                               ; =>This Inner Loop Header: Depth=1
	v_ashrrev_i32_e32 v8, 31, v7
	v_mov_b32_e32 v14, v6
	v_lshlrev_b64 v[4:5], 2, v[7:8]
	v_add_nc_u32_e32 v7, 16, v7
	v_add_co_u32 v4, vcc_lo, s10, v4
	v_add_co_ci_u32_e64 v5, null, s11, v5, vcc_lo
	global_load_dword v8, v[4:5], off
	v_subrev_nc_u32_e32 v5, 17, v3
	v_mov_b32_e32 v4, v6
	v_lshlrev_b64 v[15:16], 2, v[5:6]
	v_add_nc_u32_e32 v5, -15, v3
	v_lshlrev_b64 v[17:18], 2, v[3:4]
	v_lshlrev_b64 v[19:20], 2, v[5:6]
	v_add_nc_u32_e32 v5, -14, v3
	v_add_co_u32 v15, vcc_lo, s12, v15
	v_add_co_ci_u32_e64 v16, null, s13, v16, vcc_lo
	v_add_co_u32 v17, vcc_lo, s12, v17
	v_lshlrev_b64 v[21:22], 2, v[5:6]
	v_add_nc_u32_e32 v5, -13, v3
	v_add_co_ci_u32_e64 v18, null, s13, v18, vcc_lo
	v_add_co_u32 v19, vcc_lo, s12, v19
	v_add_co_ci_u32_e64 v20, null, s13, v20, vcc_lo
	v_lshlrev_b64 v[23:24], 2, v[5:6]
	v_add_nc_u32_e32 v5, -12, v3
	s_clause 0x1
	global_load_dwordx2 v[15:16], v[15:16], off
	global_load_dword v29, v[19:20], off
	v_add_co_u32 v19, vcc_lo, s12, v21
	v_add_co_ci_u32_e64 v20, null, s13, v22, vcc_lo
	v_lshlrev_b64 v[21:22], 2, v[5:6]
	v_add_nc_u32_e32 v5, -11, v3
	v_add_co_u32 v23, vcc_lo, s12, v23
	v_add_co_ci_u32_e64 v24, null, s13, v24, vcc_lo
	v_lshlrev_b64 v[4:5], 2, v[5:6]
	s_clause 0x1
	global_load_dword v30, v[19:20], off
	global_load_dword v31, v[23:24], off
	v_add_co_u32 v19, vcc_lo, s12, v21
	v_add_co_ci_u32_e64 v20, null, s13, v22, vcc_lo
	v_add_co_u32 v4, vcc_lo, s12, v4
	v_add_co_ci_u32_e64 v5, null, s13, v5, vcc_lo
	s_clause 0x1
	global_load_dword v32, v[19:20], off
	global_load_dword v33, v[4:5], off
	s_waitcnt vmcnt(6)
	v_subrev_nc_u32_e32 v4, s18, v8
	v_mul_lo_u32 v13, v4, 6
	v_add_nc_u32_e32 v5, 2, v13
	v_lshlrev_b64 v[19:20], 2, v[13:14]
	v_lshlrev_b64 v[21:22], 2, v[5:6]
	v_add_nc_u32_e32 v5, -10, v3
	v_add_co_u32 v19, vcc_lo, s14, v19
	v_add_co_ci_u32_e64 v20, null, s15, v20, vcc_lo
	v_lshlrev_b64 v[23:24], 2, v[5:6]
	v_add_nc_u32_e32 v5, -9, v3
	v_add_co_u32 v21, vcc_lo, s14, v21
	v_add_co_ci_u32_e64 v22, null, s15, v22, vcc_lo
	;; [unrolled: 4-line block ×3, first 2 shown]
	v_lshlrev_b64 v[27:28], 2, v[5:6]
	v_add_nc_u32_e32 v5, -7, v3
	s_clause 0x1
	global_load_dwordx2 v[19:20], v[19:20], off
	global_load_dwordx2 v[21:22], v[21:22], off
	global_load_dword v8, v[23:24], off
	v_add_co_u32 v23, vcc_lo, s12, v25
	v_add_co_ci_u32_e64 v24, null, s13, v26, vcc_lo
	v_lshlrev_b64 v[25:26], 2, v[5:6]
	v_add_co_u32 v27, vcc_lo, s12, v27
	v_add_co_ci_u32_e64 v28, null, s13, v28, vcc_lo
	v_add_nc_u32_e32 v5, -6, v3
	v_add_co_u32 v25, vcc_lo, s12, v25
	v_add_co_ci_u32_e64 v26, null, s13, v26, vcc_lo
	s_clause 0x2
	global_load_dword v34, v[23:24], off
	global_load_dword v35, v[27:28], off
	;; [unrolled: 1-line block ×3, first 2 shown]
	v_lshlrev_b64 v[23:24], 2, v[5:6]
	v_add_nc_u32_e32 v5, -5, v3
	v_lshlrev_b64 v[27:28], 2, v[5:6]
	v_add_nc_u32_e32 v5, 4, v13
	v_add_co_u32 v13, vcc_lo, s12, v23
	v_add_co_ci_u32_e64 v14, null, s13, v24, vcc_lo
	v_lshlrev_b64 v[23:24], 2, v[5:6]
	v_add_nc_u32_e32 v5, -4, v3
	global_load_dword v37, v[13:14], off
	v_add_co_u32 v13, vcc_lo, s12, v27
	v_add_co_ci_u32_e64 v14, null, s13, v28, vcc_lo
	v_lshlrev_b64 v[25:26], 2, v[5:6]
	v_add_nc_u32_e32 v5, -3, v3
	v_add_co_u32 v23, vcc_lo, s14, v23
	global_load_dword v38, v[13:14], off
	v_add_co_ci_u32_e64 v24, null, s15, v24, vcc_lo
	v_lshlrev_b64 v[13:14], 2, v[5:6]
	v_add_nc_u32_e32 v5, -2, v3
	v_add_co_u32 v25, vcc_lo, s12, v25
	v_add_co_ci_u32_e64 v26, null, s13, v26, vcc_lo
	v_lshlrev_b64 v[27:28], 2, v[5:6]
	v_add_nc_u32_e32 v5, -1, v3
	v_add_co_u32 v13, vcc_lo, s12, v13
	v_add_co_ci_u32_e64 v14, null, s13, v14, vcc_lo
	v_lshlrev_b64 v[4:5], 2, v[5:6]
	global_load_dword v25, v[25:26], off
	global_load_dwordx2 v[23:24], v[23:24], off
	global_load_dword v26, v[13:14], off
	v_add_co_u32 v13, vcc_lo, s12, v27
	v_add_co_ci_u32_e64 v14, null, s13, v28, vcc_lo
	v_add_co_u32 v4, vcc_lo, s12, v4
	v_add_co_ci_u32_e64 v5, null, s13, v5, vcc_lo
	s_clause 0x2
	global_load_dword v13, v[13:14], off
	global_load_dword v4, v[4:5], off
	;; [unrolled: 1-line block ×3, first 2 shown]
	v_cmp_ge_i32_e32 vcc_lo, v7, v12
	v_add_nc_u32_e32 v3, 0x120, v3
	s_or_b32 s3, vcc_lo, s3
	s_waitcnt vmcnt(13)
	v_fmac_f32_e32 v9, v15, v19
	v_fmac_f32_e32 v11, v16, v19
	;; [unrolled: 1-line block ×6, first 2 shown]
	s_waitcnt vmcnt(12)
	v_fmac_f32_e32 v9, v33, v21
	s_waitcnt vmcnt(11)
	v_fmac_f32_e32 v11, v8, v21
	;; [unrolled: 2-line block ×7, first 2 shown]
	v_fmac_f32_e32 v11, v25, v23
	s_waitcnt vmcnt(3)
	v_fmac_f32_e32 v10, v26, v23
	s_waitcnt vmcnt(2)
	;; [unrolled: 2-line block ×4, first 2 shown]
	v_fmac_f32_e32 v10, v5, v24
	s_andn2_b32 exec_lo, exec_lo, s3
	s_cbranch_execnz .LBB22_9
; %bb.10:
	s_or_b32 exec_lo, exec_lo, s3
.LBB22_11:
	s_or_b32 exec_lo, exec_lo, s1
	s_cbranch_execz .LBB22_13
	s_branch .LBB22_18
.LBB22_12:
                                        ; implicit-def: $vgpr9
                                        ; implicit-def: $vgpr10
                                        ; implicit-def: $vgpr11
.LBB22_13:
	v_mov_b32_e32 v9, 0
	v_mov_b32_e32 v10, 0
	;; [unrolled: 1-line block ×3, first 2 shown]
	s_and_saveexec_b32 s1, s0
	s_cbranch_execz .LBB22_17
; %bb.14:
	v_mad_u64_u32 v[4:5], null, v2, 18, 17
	v_mov_b32_e32 v7, 0
	v_mov_b32_e32 v9, 0
	;; [unrolled: 1-line block ×4, first 2 shown]
	s_mov_b32 s0, 0
.LBB22_15:                              ; =>This Inner Loop Header: Depth=1
	v_ashrrev_i32_e32 v3, 31, v2
	v_add_nc_u32_e32 v13, -11, v4
	v_mov_b32_e32 v14, v7
	v_add_nc_u32_e32 v15, -5, v4
	v_mov_b32_e32 v16, v7
	v_lshlrev_b64 v[5:6], 2, v[2:3]
	v_mov_b32_e32 v17, v7
	v_lshlrev_b64 v[13:14], 2, v[13:14]
	v_add_nc_u32_e32 v2, 16, v2
	v_lshlrev_b64 v[15:16], 2, v[15:16]
	v_add_co_u32 v5, vcc_lo, s10, v5
	v_add_co_ci_u32_e64 v6, null, s11, v6, vcc_lo
	global_load_dword v3, v[5:6], off
	v_subrev_nc_u32_e32 v6, 17, v4
	v_mov_b32_e32 v5, v7
	v_lshlrev_b64 v[18:19], 2, v[6:7]
	v_add_nc_u32_e32 v6, -10, v4
	v_lshlrev_b64 v[20:21], 2, v[4:5]
	v_lshlrev_b64 v[22:23], 2, v[6:7]
	v_add_nc_u32_e32 v6, -4, v4
	v_add_co_u32 v18, vcc_lo, s12, v18
	v_add_co_ci_u32_e64 v19, null, s13, v19, vcc_lo
	v_lshlrev_b64 v[24:25], 2, v[6:7]
	v_add_nc_u32_e32 v6, -15, v4
	v_add_co_u32 v13, vcc_lo, s12, v13
	v_add_co_ci_u32_e64 v14, null, s13, v14, vcc_lo
	v_add_co_u32 v15, vcc_lo, s12, v15
	v_add_co_ci_u32_e64 v16, null, s13, v16, vcc_lo
	v_add_co_u32 v20, vcc_lo, s12, v20
	v_lshlrev_b64 v[5:6], 2, v[6:7]
	v_add_co_ci_u32_e64 v21, null, s13, v21, vcc_lo
	v_add_co_u32 v22, vcc_lo, s12, v22
	v_add_co_ci_u32_e64 v23, null, s13, v23, vcc_lo
	s_clause 0x2
	global_load_dwordx2 v[18:19], v[18:19], off
	global_load_dword v8, v[13:14], off
	global_load_dword v30, v[15:16], off
	v_add_co_u32 v13, vcc_lo, s12, v24
	v_add_co_ci_u32_e64 v14, null, s13, v25, vcc_lo
	v_add_co_u32 v5, vcc_lo, s12, v5
	v_add_co_ci_u32_e64 v6, null, s13, v6, vcc_lo
	s_clause 0x2
	global_load_dword v31, v[22:23], off
	global_load_dword v32, v[13:14], off
	;; [unrolled: 1-line block ×3, first 2 shown]
	s_waitcnt vmcnt(6)
	v_subrev_nc_u32_e32 v3, s18, v3
	v_mul_lo_u32 v16, v3, 6
	v_add_nc_u32_e32 v6, 2, v16
	v_lshlrev_b64 v[13:14], 2, v[16:17]
	v_lshlrev_b64 v[22:23], 2, v[6:7]
	v_add_nc_u32_e32 v6, -9, v4
	v_add_co_u32 v13, vcc_lo, s14, v13
	v_add_co_ci_u32_e64 v14, null, s15, v14, vcc_lo
	v_lshlrev_b64 v[24:25], 2, v[6:7]
	v_add_nc_u32_e32 v6, -3, v4
	v_add_co_u32 v22, vcc_lo, s14, v22
	v_add_co_ci_u32_e64 v23, null, s15, v23, vcc_lo
	;; [unrolled: 4-line block ×3, first 2 shown]
	v_lshlrev_b64 v[28:29], 2, v[6:7]
	v_add_nc_u32_e32 v6, -8, v4
	global_load_dwordx2 v[13:14], v[13:14], off
	global_load_dword v3, v[24:25], off
	v_add_co_u32 v24, vcc_lo, s12, v26
	v_add_co_ci_u32_e64 v25, null, s13, v27, vcc_lo
	v_lshlrev_b64 v[26:27], 2, v[6:7]
	v_add_co_u32 v28, vcc_lo, s12, v28
	v_add_co_ci_u32_e64 v29, null, s13, v29, vcc_lo
	v_add_nc_u32_e32 v6, -2, v4
	v_add_co_u32 v26, vcc_lo, s12, v26
	v_add_co_ci_u32_e64 v27, null, s13, v27, vcc_lo
	s_clause 0x1
	global_load_dword v17, v[24:25], off
	global_load_dword v34, v[28:29], off
	global_load_dwordx2 v[22:23], v[22:23], off
	global_load_dword v35, v[26:27], off
	v_lshlrev_b64 v[24:25], 2, v[6:7]
	v_add_nc_u32_e32 v6, -13, v4
	v_lshlrev_b64 v[28:29], 2, v[6:7]
	v_add_nc_u32_e32 v6, 4, v16
	v_add_co_u32 v15, vcc_lo, s12, v24
	v_add_co_ci_u32_e64 v16, null, s13, v25, vcc_lo
	v_lshlrev_b64 v[24:25], 2, v[6:7]
	v_add_nc_u32_e32 v6, -7, v4
	global_load_dword v36, v[15:16], off
	v_add_co_u32 v15, vcc_lo, s12, v28
	v_add_co_ci_u32_e64 v16, null, s13, v29, vcc_lo
	v_lshlrev_b64 v[26:27], 2, v[6:7]
	v_add_nc_u32_e32 v6, -1, v4
	v_add_co_u32 v24, vcc_lo, s14, v24
	global_load_dword v37, v[15:16], off
	v_add_co_ci_u32_e64 v25, null, s15, v25, vcc_lo
	v_lshlrev_b64 v[15:16], 2, v[6:7]
	v_add_nc_u32_e32 v6, -12, v4
	v_add_co_u32 v26, vcc_lo, s12, v26
	v_add_co_ci_u32_e64 v27, null, s13, v27, vcc_lo
	v_lshlrev_b64 v[28:29], 2, v[6:7]
	v_add_nc_u32_e32 v6, -6, v4
	v_add_co_u32 v15, vcc_lo, s12, v15
	v_add_co_ci_u32_e64 v16, null, s13, v16, vcc_lo
	v_lshlrev_b64 v[5:6], 2, v[6:7]
	global_load_dword v26, v[26:27], off
	global_load_dwordx2 v[24:25], v[24:25], off
	global_load_dword v27, v[15:16], off
	v_add_co_u32 v15, vcc_lo, s12, v28
	v_add_co_ci_u32_e64 v16, null, s13, v29, vcc_lo
	v_add_co_u32 v5, vcc_lo, s12, v5
	v_add_co_ci_u32_e64 v6, null, s13, v6, vcc_lo
	s_clause 0x2
	global_load_dword v15, v[15:16], off
	global_load_dword v5, v[5:6], off
	;; [unrolled: 1-line block ×3, first 2 shown]
	v_cmp_ge_i32_e32 vcc_lo, v2, v12
	v_add_nc_u32_e32 v4, 0x120, v4
	s_or_b32 s0, vcc_lo, s0
	s_waitcnt vmcnt(13)
	v_fmac_f32_e32 v9, v18, v13
	v_fmac_f32_e32 v11, v8, v13
	;; [unrolled: 1-line block ×6, first 2 shown]
	s_waitcnt vmcnt(9)
	v_fmac_f32_e32 v9, v33, v22
	v_fmac_f32_e32 v11, v3, v22
	;; [unrolled: 1-line block ×4, first 2 shown]
	s_waitcnt vmcnt(8)
	v_fmac_f32_e32 v11, v35, v23
	s_waitcnt vmcnt(7)
	v_fmac_f32_e32 v10, v36, v23
	;; [unrolled: 2-line block ×3, first 2 shown]
	v_fmac_f32_e32 v11, v26, v24
	s_waitcnt vmcnt(3)
	v_fmac_f32_e32 v10, v27, v24
	s_waitcnt vmcnt(2)
	;; [unrolled: 2-line block ×4, first 2 shown]
	v_fmac_f32_e32 v10, v6, v25
	s_andn2_b32 exec_lo, exec_lo, s0
	s_cbranch_execnz .LBB22_15
; %bb.16:
	s_or_b32 exec_lo, exec_lo, s0
.LBB22_17:
	s_or_b32 exec_lo, exec_lo, s1
.LBB22_18:
	v_mbcnt_lo_u32_b32 v2, -1, 0
	s_mov_b32 s3, -1
	v_xor_b32_e32 v3, 8, v2
	v_xor_b32_e32 v6, 4, v2
	v_cmp_gt_i32_e32 vcc_lo, 32, v3
	v_cndmask_b32_e32 v3, v2, v3, vcc_lo
	v_cmp_gt_i32_e32 vcc_lo, 32, v6
	v_lshlrev_b32_e32 v3, 2, v3
	v_cndmask_b32_e32 v6, v2, v6, vcc_lo
	ds_bpermute_b32 v4, v3, v9
	ds_bpermute_b32 v5, v3, v11
	;; [unrolled: 1-line block ×3, first 2 shown]
	v_lshlrev_b32_e32 v6, 2, v6
	s_waitcnt lgkmcnt(2)
	v_add_f32_e32 v4, v9, v4
	s_waitcnt lgkmcnt(1)
	v_add_f32_e32 v5, v11, v5
	;; [unrolled: 2-line block ×3, first 2 shown]
	v_xor_b32_e32 v9, 2, v2
	ds_bpermute_b32 v7, v6, v4
	ds_bpermute_b32 v8, v6, v5
	;; [unrolled: 1-line block ×3, first 2 shown]
	v_cmp_gt_i32_e32 vcc_lo, 32, v9
	v_cndmask_b32_e32 v9, v2, v9, vcc_lo
	v_lshlrev_b32_e32 v9, 2, v9
	s_waitcnt lgkmcnt(2)
	v_add_f32_e32 v4, v4, v7
	s_waitcnt lgkmcnt(1)
	v_add_f32_e32 v5, v5, v8
	;; [unrolled: 2-line block ×3, first 2 shown]
	ds_bpermute_b32 v3, v9, v4
	ds_bpermute_b32 v7, v9, v5
	;; [unrolled: 1-line block ×3, first 2 shown]
	v_xor_b32_e32 v9, 1, v2
	v_cmp_gt_i32_e32 vcc_lo, 32, v9
	v_cndmask_b32_e32 v2, v2, v9, vcc_lo
	v_cmp_eq_u32_e32 vcc_lo, 15, v0
	v_lshlrev_b32_e32 v9, 2, v2
	s_waitcnt lgkmcnt(2)
	v_add_f32_e32 v2, v4, v3
	s_waitcnt lgkmcnt(1)
	v_add_f32_e32 v3, v5, v7
	;; [unrolled: 2-line block ×3, first 2 shown]
	ds_bpermute_b32 v5, v9, v2
	ds_bpermute_b32 v6, v9, v3
	;; [unrolled: 1-line block ×3, first 2 shown]
	s_and_b32 exec_lo, exec_lo, vcc_lo
	s_cbranch_execz .LBB22_23
; %bb.19:
	s_load_dwordx2 s[0:1], s[4:5], 0x38
	s_waitcnt lgkmcnt(0)
	v_add_f32_e32 v0, v2, v5
	v_add_f32_e32 v2, v3, v6
	;; [unrolled: 1-line block ×3, first 2 shown]
	v_lshl_add_u32 v3, v1, 1, v1
	v_cmp_eq_f32_e64 s4, s2, 0
	v_mul_f32_e32 v0, s16, v0
	v_mul_f32_e32 v1, s16, v2
	;; [unrolled: 1-line block ×3, first 2 shown]
	v_ashrrev_i32_e32 v4, 31, v3
	s_and_b32 vcc_lo, exec_lo, s4
	s_cbranch_vccz .LBB22_21
; %bb.20:
	v_lshlrev_b64 v[5:6], 2, v[3:4]
	s_mov_b32 s3, 0
	v_add_co_u32 v5, vcc_lo, s0, v5
	v_add_co_ci_u32_e64 v6, null, s1, v6, vcc_lo
	global_store_dwordx3 v[5:6], v[0:2], off
.LBB22_21:
	s_andn2_b32 vcc_lo, exec_lo, s3
	s_cbranch_vccnz .LBB22_23
; %bb.22:
	v_lshlrev_b64 v[3:4], 2, v[3:4]
	v_add_co_u32 v6, vcc_lo, s0, v3
	v_add_co_ci_u32_e64 v7, null, s1, v4, vcc_lo
	global_load_dwordx3 v[3:5], v[6:7], off
	s_waitcnt vmcnt(0)
	v_fmac_f32_e32 v0, s2, v3
	v_fmac_f32_e32 v1, s2, v4
	;; [unrolled: 1-line block ×3, first 2 shown]
	global_store_dwordx3 v[6:7], v[0:2], off
.LBB22_23:
	s_endpgm
	.section	.rodata,"a",@progbits
	.p2align	6, 0x0
	.amdhsa_kernel _ZN9rocsparseL19gebsrmvn_3xn_kernelILj128ELj6ELj16EfEEvi20rocsparse_direction_NS_24const_host_device_scalarIT2_EEPKiS6_PKS3_S8_S4_PS3_21rocsparse_index_base_b
		.amdhsa_group_segment_fixed_size 0
		.amdhsa_private_segment_fixed_size 0
		.amdhsa_kernarg_size 72
		.amdhsa_user_sgpr_count 6
		.amdhsa_user_sgpr_private_segment_buffer 1
		.amdhsa_user_sgpr_dispatch_ptr 0
		.amdhsa_user_sgpr_queue_ptr 0
		.amdhsa_user_sgpr_kernarg_segment_ptr 1
		.amdhsa_user_sgpr_dispatch_id 0
		.amdhsa_user_sgpr_flat_scratch_init 0
		.amdhsa_user_sgpr_private_segment_size 0
		.amdhsa_wavefront_size32 1
		.amdhsa_uses_dynamic_stack 0
		.amdhsa_system_sgpr_private_segment_wavefront_offset 0
		.amdhsa_system_sgpr_workgroup_id_x 1
		.amdhsa_system_sgpr_workgroup_id_y 0
		.amdhsa_system_sgpr_workgroup_id_z 0
		.amdhsa_system_sgpr_workgroup_info 0
		.amdhsa_system_vgpr_workitem_id 0
		.amdhsa_next_free_vgpr 39
		.amdhsa_next_free_sgpr 20
		.amdhsa_reserve_vcc 1
		.amdhsa_reserve_flat_scratch 0
		.amdhsa_float_round_mode_32 0
		.amdhsa_float_round_mode_16_64 0
		.amdhsa_float_denorm_mode_32 3
		.amdhsa_float_denorm_mode_16_64 3
		.amdhsa_dx10_clamp 1
		.amdhsa_ieee_mode 1
		.amdhsa_fp16_overflow 0
		.amdhsa_workgroup_processor_mode 1
		.amdhsa_memory_ordered 1
		.amdhsa_forward_progress 1
		.amdhsa_shared_vgpr_count 0
		.amdhsa_exception_fp_ieee_invalid_op 0
		.amdhsa_exception_fp_denorm_src 0
		.amdhsa_exception_fp_ieee_div_zero 0
		.amdhsa_exception_fp_ieee_overflow 0
		.amdhsa_exception_fp_ieee_underflow 0
		.amdhsa_exception_fp_ieee_inexact 0
		.amdhsa_exception_int_div_zero 0
	.end_amdhsa_kernel
	.section	.text._ZN9rocsparseL19gebsrmvn_3xn_kernelILj128ELj6ELj16EfEEvi20rocsparse_direction_NS_24const_host_device_scalarIT2_EEPKiS6_PKS3_S8_S4_PS3_21rocsparse_index_base_b,"axG",@progbits,_ZN9rocsparseL19gebsrmvn_3xn_kernelILj128ELj6ELj16EfEEvi20rocsparse_direction_NS_24const_host_device_scalarIT2_EEPKiS6_PKS3_S8_S4_PS3_21rocsparse_index_base_b,comdat
.Lfunc_end22:
	.size	_ZN9rocsparseL19gebsrmvn_3xn_kernelILj128ELj6ELj16EfEEvi20rocsparse_direction_NS_24const_host_device_scalarIT2_EEPKiS6_PKS3_S8_S4_PS3_21rocsparse_index_base_b, .Lfunc_end22-_ZN9rocsparseL19gebsrmvn_3xn_kernelILj128ELj6ELj16EfEEvi20rocsparse_direction_NS_24const_host_device_scalarIT2_EEPKiS6_PKS3_S8_S4_PS3_21rocsparse_index_base_b
                                        ; -- End function
	.set _ZN9rocsparseL19gebsrmvn_3xn_kernelILj128ELj6ELj16EfEEvi20rocsparse_direction_NS_24const_host_device_scalarIT2_EEPKiS6_PKS3_S8_S4_PS3_21rocsparse_index_base_b.num_vgpr, 39
	.set _ZN9rocsparseL19gebsrmvn_3xn_kernelILj128ELj6ELj16EfEEvi20rocsparse_direction_NS_24const_host_device_scalarIT2_EEPKiS6_PKS3_S8_S4_PS3_21rocsparse_index_base_b.num_agpr, 0
	.set _ZN9rocsparseL19gebsrmvn_3xn_kernelILj128ELj6ELj16EfEEvi20rocsparse_direction_NS_24const_host_device_scalarIT2_EEPKiS6_PKS3_S8_S4_PS3_21rocsparse_index_base_b.numbered_sgpr, 20
	.set _ZN9rocsparseL19gebsrmvn_3xn_kernelILj128ELj6ELj16EfEEvi20rocsparse_direction_NS_24const_host_device_scalarIT2_EEPKiS6_PKS3_S8_S4_PS3_21rocsparse_index_base_b.num_named_barrier, 0
	.set _ZN9rocsparseL19gebsrmvn_3xn_kernelILj128ELj6ELj16EfEEvi20rocsparse_direction_NS_24const_host_device_scalarIT2_EEPKiS6_PKS3_S8_S4_PS3_21rocsparse_index_base_b.private_seg_size, 0
	.set _ZN9rocsparseL19gebsrmvn_3xn_kernelILj128ELj6ELj16EfEEvi20rocsparse_direction_NS_24const_host_device_scalarIT2_EEPKiS6_PKS3_S8_S4_PS3_21rocsparse_index_base_b.uses_vcc, 1
	.set _ZN9rocsparseL19gebsrmvn_3xn_kernelILj128ELj6ELj16EfEEvi20rocsparse_direction_NS_24const_host_device_scalarIT2_EEPKiS6_PKS3_S8_S4_PS3_21rocsparse_index_base_b.uses_flat_scratch, 0
	.set _ZN9rocsparseL19gebsrmvn_3xn_kernelILj128ELj6ELj16EfEEvi20rocsparse_direction_NS_24const_host_device_scalarIT2_EEPKiS6_PKS3_S8_S4_PS3_21rocsparse_index_base_b.has_dyn_sized_stack, 0
	.set _ZN9rocsparseL19gebsrmvn_3xn_kernelILj128ELj6ELj16EfEEvi20rocsparse_direction_NS_24const_host_device_scalarIT2_EEPKiS6_PKS3_S8_S4_PS3_21rocsparse_index_base_b.has_recursion, 0
	.set _ZN9rocsparseL19gebsrmvn_3xn_kernelILj128ELj6ELj16EfEEvi20rocsparse_direction_NS_24const_host_device_scalarIT2_EEPKiS6_PKS3_S8_S4_PS3_21rocsparse_index_base_b.has_indirect_call, 0
	.section	.AMDGPU.csdata,"",@progbits
; Kernel info:
; codeLenInByte = 2652
; TotalNumSgprs: 22
; NumVgprs: 39
; ScratchSize: 0
; MemoryBound: 0
; FloatMode: 240
; IeeeMode: 1
; LDSByteSize: 0 bytes/workgroup (compile time only)
; SGPRBlocks: 0
; VGPRBlocks: 4
; NumSGPRsForWavesPerEU: 22
; NumVGPRsForWavesPerEU: 39
; Occupancy: 16
; WaveLimiterHint : 1
; COMPUTE_PGM_RSRC2:SCRATCH_EN: 0
; COMPUTE_PGM_RSRC2:USER_SGPR: 6
; COMPUTE_PGM_RSRC2:TRAP_HANDLER: 0
; COMPUTE_PGM_RSRC2:TGID_X_EN: 1
; COMPUTE_PGM_RSRC2:TGID_Y_EN: 0
; COMPUTE_PGM_RSRC2:TGID_Z_EN: 0
; COMPUTE_PGM_RSRC2:TIDIG_COMP_CNT: 0
	.section	.text._ZN9rocsparseL19gebsrmvn_3xn_kernelILj128ELj6ELj32EfEEvi20rocsparse_direction_NS_24const_host_device_scalarIT2_EEPKiS6_PKS3_S8_S4_PS3_21rocsparse_index_base_b,"axG",@progbits,_ZN9rocsparseL19gebsrmvn_3xn_kernelILj128ELj6ELj32EfEEvi20rocsparse_direction_NS_24const_host_device_scalarIT2_EEPKiS6_PKS3_S8_S4_PS3_21rocsparse_index_base_b,comdat
	.globl	_ZN9rocsparseL19gebsrmvn_3xn_kernelILj128ELj6ELj32EfEEvi20rocsparse_direction_NS_24const_host_device_scalarIT2_EEPKiS6_PKS3_S8_S4_PS3_21rocsparse_index_base_b ; -- Begin function _ZN9rocsparseL19gebsrmvn_3xn_kernelILj128ELj6ELj32EfEEvi20rocsparse_direction_NS_24const_host_device_scalarIT2_EEPKiS6_PKS3_S8_S4_PS3_21rocsparse_index_base_b
	.p2align	8
	.type	_ZN9rocsparseL19gebsrmvn_3xn_kernelILj128ELj6ELj32EfEEvi20rocsparse_direction_NS_24const_host_device_scalarIT2_EEPKiS6_PKS3_S8_S4_PS3_21rocsparse_index_base_b,@function
_ZN9rocsparseL19gebsrmvn_3xn_kernelILj128ELj6ELj32EfEEvi20rocsparse_direction_NS_24const_host_device_scalarIT2_EEPKiS6_PKS3_S8_S4_PS3_21rocsparse_index_base_b: ; @_ZN9rocsparseL19gebsrmvn_3xn_kernelILj128ELj6ELj32EfEEvi20rocsparse_direction_NS_24const_host_device_scalarIT2_EEPKiS6_PKS3_S8_S4_PS3_21rocsparse_index_base_b
; %bb.0:
	s_clause 0x2
	s_load_dwordx2 s[18:19], s[4:5], 0x40
	s_load_dwordx2 s[16:17], s[4:5], 0x8
	;; [unrolled: 1-line block ×3, first 2 shown]
	s_waitcnt lgkmcnt(0)
	s_bitcmp1_b32 s19, 0
	s_cselect_b32 s0, -1, 0
	s_and_b32 vcc_lo, exec_lo, s0
	s_xor_b32 s0, s0, -1
	s_cbranch_vccnz .LBB23_2
; %bb.1:
	s_load_dword s16, s[16:17], 0x0
.LBB23_2:
	s_andn2_b32 vcc_lo, exec_lo, s0
	s_cbranch_vccnz .LBB23_4
; %bb.3:
	s_load_dword s2, s[2:3], 0x0
.LBB23_4:
	s_waitcnt lgkmcnt(0)
	v_cmp_eq_f32_e64 s0, s16, 0
	v_cmp_eq_f32_e64 s1, s2, 1.0
	s_and_b32 s0, s0, s1
	s_and_b32 vcc_lo, exec_lo, s0
	s_cbranch_vccnz .LBB23_23
; %bb.5:
	s_load_dwordx2 s[0:1], s[4:5], 0x0
	v_lshrrev_b32_e32 v1, 5, v0
	v_lshl_or_b32 v1, s6, 2, v1
	s_waitcnt lgkmcnt(0)
	v_cmp_gt_i32_e32 vcc_lo, s0, v1
	s_and_saveexec_b32 s0, vcc_lo
	s_cbranch_execz .LBB23_23
; %bb.6:
	s_load_dwordx8 s[8:15], s[4:5], 0x10
	v_ashrrev_i32_e32 v2, 31, v1
	v_and_b32_e32 v0, 31, v0
	s_cmp_lg_u32 s1, 0
	v_lshlrev_b64 v[2:3], 2, v[1:2]
	s_waitcnt lgkmcnt(0)
	v_add_co_u32 v2, vcc_lo, s8, v2
	v_add_co_ci_u32_e64 v3, null, s9, v3, vcc_lo
	global_load_dwordx2 v[2:3], v[2:3], off
	s_waitcnt vmcnt(0)
	v_subrev_nc_u32_e32 v2, s18, v2
	v_subrev_nc_u32_e32 v12, s18, v3
	v_add_nc_u32_e32 v2, v2, v0
	v_cmp_lt_i32_e64 s0, v2, v12
	s_cbranch_scc0 .LBB23_12
; %bb.7:
	v_mov_b32_e32 v9, 0
	v_mov_b32_e32 v10, 0
	;; [unrolled: 1-line block ×3, first 2 shown]
	s_and_saveexec_b32 s1, s0
	s_cbranch_execz .LBB23_11
; %bb.8:
	v_mad_u64_u32 v[3:4], null, v2, 18, 17
	v_mov_b32_e32 v6, 0
	v_mov_b32_e32 v7, v2
	;; [unrolled: 1-line block ×5, first 2 shown]
	s_mov_b32 s3, 0
.LBB23_9:                               ; =>This Inner Loop Header: Depth=1
	v_ashrrev_i32_e32 v8, 31, v7
	v_mov_b32_e32 v14, v6
	v_lshlrev_b64 v[4:5], 2, v[7:8]
	v_add_nc_u32_e32 v7, 32, v7
	v_add_co_u32 v4, vcc_lo, s10, v4
	v_add_co_ci_u32_e64 v5, null, s11, v5, vcc_lo
	global_load_dword v8, v[4:5], off
	v_subrev_nc_u32_e32 v5, 17, v3
	v_mov_b32_e32 v4, v6
	v_lshlrev_b64 v[15:16], 2, v[5:6]
	v_add_nc_u32_e32 v5, -15, v3
	v_lshlrev_b64 v[17:18], 2, v[3:4]
	v_lshlrev_b64 v[19:20], 2, v[5:6]
	v_add_nc_u32_e32 v5, -14, v3
	v_add_co_u32 v15, vcc_lo, s12, v15
	v_add_co_ci_u32_e64 v16, null, s13, v16, vcc_lo
	v_add_co_u32 v17, vcc_lo, s12, v17
	v_lshlrev_b64 v[21:22], 2, v[5:6]
	v_add_nc_u32_e32 v5, -13, v3
	v_add_co_ci_u32_e64 v18, null, s13, v18, vcc_lo
	v_add_co_u32 v19, vcc_lo, s12, v19
	v_add_co_ci_u32_e64 v20, null, s13, v20, vcc_lo
	v_lshlrev_b64 v[23:24], 2, v[5:6]
	v_add_nc_u32_e32 v5, -12, v3
	s_clause 0x1
	global_load_dwordx2 v[15:16], v[15:16], off
	global_load_dword v29, v[19:20], off
	v_add_co_u32 v19, vcc_lo, s12, v21
	v_add_co_ci_u32_e64 v20, null, s13, v22, vcc_lo
	v_lshlrev_b64 v[21:22], 2, v[5:6]
	v_add_nc_u32_e32 v5, -11, v3
	v_add_co_u32 v23, vcc_lo, s12, v23
	v_add_co_ci_u32_e64 v24, null, s13, v24, vcc_lo
	v_lshlrev_b64 v[4:5], 2, v[5:6]
	s_clause 0x1
	global_load_dword v30, v[19:20], off
	global_load_dword v31, v[23:24], off
	v_add_co_u32 v19, vcc_lo, s12, v21
	v_add_co_ci_u32_e64 v20, null, s13, v22, vcc_lo
	v_add_co_u32 v4, vcc_lo, s12, v4
	v_add_co_ci_u32_e64 v5, null, s13, v5, vcc_lo
	s_clause 0x1
	global_load_dword v32, v[19:20], off
	global_load_dword v33, v[4:5], off
	s_waitcnt vmcnt(6)
	v_subrev_nc_u32_e32 v4, s18, v8
	v_mul_lo_u32 v13, v4, 6
	v_add_nc_u32_e32 v5, 2, v13
	v_lshlrev_b64 v[19:20], 2, v[13:14]
	v_lshlrev_b64 v[21:22], 2, v[5:6]
	v_add_nc_u32_e32 v5, -10, v3
	v_add_co_u32 v19, vcc_lo, s14, v19
	v_add_co_ci_u32_e64 v20, null, s15, v20, vcc_lo
	v_lshlrev_b64 v[23:24], 2, v[5:6]
	v_add_nc_u32_e32 v5, -9, v3
	v_add_co_u32 v21, vcc_lo, s14, v21
	v_add_co_ci_u32_e64 v22, null, s15, v22, vcc_lo
	;; [unrolled: 4-line block ×3, first 2 shown]
	v_lshlrev_b64 v[27:28], 2, v[5:6]
	v_add_nc_u32_e32 v5, -7, v3
	s_clause 0x1
	global_load_dwordx2 v[19:20], v[19:20], off
	global_load_dwordx2 v[21:22], v[21:22], off
	global_load_dword v8, v[23:24], off
	v_add_co_u32 v23, vcc_lo, s12, v25
	v_add_co_ci_u32_e64 v24, null, s13, v26, vcc_lo
	v_lshlrev_b64 v[25:26], 2, v[5:6]
	v_add_co_u32 v27, vcc_lo, s12, v27
	v_add_co_ci_u32_e64 v28, null, s13, v28, vcc_lo
	v_add_nc_u32_e32 v5, -6, v3
	v_add_co_u32 v25, vcc_lo, s12, v25
	v_add_co_ci_u32_e64 v26, null, s13, v26, vcc_lo
	s_clause 0x2
	global_load_dword v34, v[23:24], off
	global_load_dword v35, v[27:28], off
	global_load_dword v36, v[25:26], off
	v_lshlrev_b64 v[23:24], 2, v[5:6]
	v_add_nc_u32_e32 v5, -5, v3
	v_lshlrev_b64 v[27:28], 2, v[5:6]
	v_add_nc_u32_e32 v5, 4, v13
	v_add_co_u32 v13, vcc_lo, s12, v23
	v_add_co_ci_u32_e64 v14, null, s13, v24, vcc_lo
	v_lshlrev_b64 v[23:24], 2, v[5:6]
	v_add_nc_u32_e32 v5, -4, v3
	global_load_dword v37, v[13:14], off
	v_add_co_u32 v13, vcc_lo, s12, v27
	v_add_co_ci_u32_e64 v14, null, s13, v28, vcc_lo
	v_lshlrev_b64 v[25:26], 2, v[5:6]
	v_add_nc_u32_e32 v5, -3, v3
	v_add_co_u32 v23, vcc_lo, s14, v23
	global_load_dword v38, v[13:14], off
	v_add_co_ci_u32_e64 v24, null, s15, v24, vcc_lo
	v_lshlrev_b64 v[13:14], 2, v[5:6]
	v_add_nc_u32_e32 v5, -2, v3
	v_add_co_u32 v25, vcc_lo, s12, v25
	v_add_co_ci_u32_e64 v26, null, s13, v26, vcc_lo
	v_lshlrev_b64 v[27:28], 2, v[5:6]
	v_add_nc_u32_e32 v5, -1, v3
	v_add_co_u32 v13, vcc_lo, s12, v13
	v_add_co_ci_u32_e64 v14, null, s13, v14, vcc_lo
	v_lshlrev_b64 v[4:5], 2, v[5:6]
	global_load_dword v25, v[25:26], off
	global_load_dwordx2 v[23:24], v[23:24], off
	global_load_dword v26, v[13:14], off
	v_add_co_u32 v13, vcc_lo, s12, v27
	v_add_co_ci_u32_e64 v14, null, s13, v28, vcc_lo
	v_add_co_u32 v4, vcc_lo, s12, v4
	v_add_co_ci_u32_e64 v5, null, s13, v5, vcc_lo
	s_clause 0x2
	global_load_dword v13, v[13:14], off
	global_load_dword v4, v[4:5], off
	;; [unrolled: 1-line block ×3, first 2 shown]
	v_cmp_ge_i32_e32 vcc_lo, v7, v12
	v_add_nc_u32_e32 v3, 0x240, v3
	s_or_b32 s3, vcc_lo, s3
	s_waitcnt vmcnt(13)
	v_fmac_f32_e32 v9, v15, v19
	v_fmac_f32_e32 v11, v16, v19
	v_fmac_f32_e32 v10, v29, v19
	v_fmac_f32_e32 v9, v30, v20
	v_fmac_f32_e32 v11, v31, v20
	v_fmac_f32_e32 v10, v32, v20
	s_waitcnt vmcnt(12)
	v_fmac_f32_e32 v9, v33, v21
	s_waitcnt vmcnt(11)
	v_fmac_f32_e32 v11, v8, v21
	;; [unrolled: 2-line block ×7, first 2 shown]
	v_fmac_f32_e32 v11, v25, v23
	s_waitcnt vmcnt(3)
	v_fmac_f32_e32 v10, v26, v23
	s_waitcnt vmcnt(2)
	;; [unrolled: 2-line block ×4, first 2 shown]
	v_fmac_f32_e32 v10, v5, v24
	s_andn2_b32 exec_lo, exec_lo, s3
	s_cbranch_execnz .LBB23_9
; %bb.10:
	s_or_b32 exec_lo, exec_lo, s3
.LBB23_11:
	s_or_b32 exec_lo, exec_lo, s1
	s_cbranch_execz .LBB23_13
	s_branch .LBB23_18
.LBB23_12:
                                        ; implicit-def: $vgpr9
                                        ; implicit-def: $vgpr10
                                        ; implicit-def: $vgpr11
.LBB23_13:
	v_mov_b32_e32 v9, 0
	v_mov_b32_e32 v10, 0
	;; [unrolled: 1-line block ×3, first 2 shown]
	s_and_saveexec_b32 s1, s0
	s_cbranch_execz .LBB23_17
; %bb.14:
	v_mad_u64_u32 v[4:5], null, v2, 18, 17
	v_mov_b32_e32 v7, 0
	v_mov_b32_e32 v9, 0
	v_mov_b32_e32 v10, 0
	v_mov_b32_e32 v11, 0
	s_mov_b32 s0, 0
.LBB23_15:                              ; =>This Inner Loop Header: Depth=1
	v_ashrrev_i32_e32 v3, 31, v2
	v_add_nc_u32_e32 v13, -11, v4
	v_mov_b32_e32 v14, v7
	v_add_nc_u32_e32 v15, -5, v4
	v_mov_b32_e32 v16, v7
	v_lshlrev_b64 v[5:6], 2, v[2:3]
	v_mov_b32_e32 v17, v7
	v_lshlrev_b64 v[13:14], 2, v[13:14]
	v_add_nc_u32_e32 v2, 32, v2
	v_lshlrev_b64 v[15:16], 2, v[15:16]
	v_add_co_u32 v5, vcc_lo, s10, v5
	v_add_co_ci_u32_e64 v6, null, s11, v6, vcc_lo
	global_load_dword v3, v[5:6], off
	v_subrev_nc_u32_e32 v6, 17, v4
	v_mov_b32_e32 v5, v7
	v_lshlrev_b64 v[18:19], 2, v[6:7]
	v_add_nc_u32_e32 v6, -10, v4
	v_lshlrev_b64 v[20:21], 2, v[4:5]
	v_lshlrev_b64 v[22:23], 2, v[6:7]
	v_add_nc_u32_e32 v6, -4, v4
	v_add_co_u32 v18, vcc_lo, s12, v18
	v_add_co_ci_u32_e64 v19, null, s13, v19, vcc_lo
	v_lshlrev_b64 v[24:25], 2, v[6:7]
	v_add_nc_u32_e32 v6, -15, v4
	v_add_co_u32 v13, vcc_lo, s12, v13
	v_add_co_ci_u32_e64 v14, null, s13, v14, vcc_lo
	v_add_co_u32 v15, vcc_lo, s12, v15
	v_add_co_ci_u32_e64 v16, null, s13, v16, vcc_lo
	v_add_co_u32 v20, vcc_lo, s12, v20
	v_lshlrev_b64 v[5:6], 2, v[6:7]
	v_add_co_ci_u32_e64 v21, null, s13, v21, vcc_lo
	v_add_co_u32 v22, vcc_lo, s12, v22
	v_add_co_ci_u32_e64 v23, null, s13, v23, vcc_lo
	s_clause 0x2
	global_load_dwordx2 v[18:19], v[18:19], off
	global_load_dword v8, v[13:14], off
	global_load_dword v30, v[15:16], off
	v_add_co_u32 v13, vcc_lo, s12, v24
	v_add_co_ci_u32_e64 v14, null, s13, v25, vcc_lo
	v_add_co_u32 v5, vcc_lo, s12, v5
	v_add_co_ci_u32_e64 v6, null, s13, v6, vcc_lo
	s_clause 0x2
	global_load_dword v31, v[22:23], off
	global_load_dword v32, v[13:14], off
	;; [unrolled: 1-line block ×3, first 2 shown]
	s_waitcnt vmcnt(6)
	v_subrev_nc_u32_e32 v3, s18, v3
	v_mul_lo_u32 v16, v3, 6
	v_add_nc_u32_e32 v6, 2, v16
	v_lshlrev_b64 v[13:14], 2, v[16:17]
	v_lshlrev_b64 v[22:23], 2, v[6:7]
	v_add_nc_u32_e32 v6, -9, v4
	v_add_co_u32 v13, vcc_lo, s14, v13
	v_add_co_ci_u32_e64 v14, null, s15, v14, vcc_lo
	v_lshlrev_b64 v[24:25], 2, v[6:7]
	v_add_nc_u32_e32 v6, -3, v4
	v_add_co_u32 v22, vcc_lo, s14, v22
	v_add_co_ci_u32_e64 v23, null, s15, v23, vcc_lo
	;; [unrolled: 4-line block ×3, first 2 shown]
	v_lshlrev_b64 v[28:29], 2, v[6:7]
	v_add_nc_u32_e32 v6, -8, v4
	global_load_dwordx2 v[13:14], v[13:14], off
	global_load_dword v3, v[24:25], off
	v_add_co_u32 v24, vcc_lo, s12, v26
	v_add_co_ci_u32_e64 v25, null, s13, v27, vcc_lo
	v_lshlrev_b64 v[26:27], 2, v[6:7]
	v_add_co_u32 v28, vcc_lo, s12, v28
	v_add_co_ci_u32_e64 v29, null, s13, v29, vcc_lo
	v_add_nc_u32_e32 v6, -2, v4
	v_add_co_u32 v26, vcc_lo, s12, v26
	v_add_co_ci_u32_e64 v27, null, s13, v27, vcc_lo
	s_clause 0x1
	global_load_dword v17, v[24:25], off
	global_load_dword v34, v[28:29], off
	global_load_dwordx2 v[22:23], v[22:23], off
	global_load_dword v35, v[26:27], off
	v_lshlrev_b64 v[24:25], 2, v[6:7]
	v_add_nc_u32_e32 v6, -13, v4
	v_lshlrev_b64 v[28:29], 2, v[6:7]
	v_add_nc_u32_e32 v6, 4, v16
	v_add_co_u32 v15, vcc_lo, s12, v24
	v_add_co_ci_u32_e64 v16, null, s13, v25, vcc_lo
	v_lshlrev_b64 v[24:25], 2, v[6:7]
	v_add_nc_u32_e32 v6, -7, v4
	global_load_dword v36, v[15:16], off
	v_add_co_u32 v15, vcc_lo, s12, v28
	v_add_co_ci_u32_e64 v16, null, s13, v29, vcc_lo
	v_lshlrev_b64 v[26:27], 2, v[6:7]
	v_add_nc_u32_e32 v6, -1, v4
	v_add_co_u32 v24, vcc_lo, s14, v24
	global_load_dword v37, v[15:16], off
	v_add_co_ci_u32_e64 v25, null, s15, v25, vcc_lo
	v_lshlrev_b64 v[15:16], 2, v[6:7]
	v_add_nc_u32_e32 v6, -12, v4
	v_add_co_u32 v26, vcc_lo, s12, v26
	v_add_co_ci_u32_e64 v27, null, s13, v27, vcc_lo
	v_lshlrev_b64 v[28:29], 2, v[6:7]
	v_add_nc_u32_e32 v6, -6, v4
	v_add_co_u32 v15, vcc_lo, s12, v15
	v_add_co_ci_u32_e64 v16, null, s13, v16, vcc_lo
	v_lshlrev_b64 v[5:6], 2, v[6:7]
	global_load_dword v26, v[26:27], off
	global_load_dwordx2 v[24:25], v[24:25], off
	global_load_dword v27, v[15:16], off
	v_add_co_u32 v15, vcc_lo, s12, v28
	v_add_co_ci_u32_e64 v16, null, s13, v29, vcc_lo
	v_add_co_u32 v5, vcc_lo, s12, v5
	v_add_co_ci_u32_e64 v6, null, s13, v6, vcc_lo
	s_clause 0x2
	global_load_dword v15, v[15:16], off
	global_load_dword v5, v[5:6], off
	;; [unrolled: 1-line block ×3, first 2 shown]
	v_cmp_ge_i32_e32 vcc_lo, v2, v12
	v_add_nc_u32_e32 v4, 0x240, v4
	s_or_b32 s0, vcc_lo, s0
	s_waitcnt vmcnt(13)
	v_fmac_f32_e32 v9, v18, v13
	v_fmac_f32_e32 v11, v8, v13
	;; [unrolled: 1-line block ×6, first 2 shown]
	s_waitcnt vmcnt(9)
	v_fmac_f32_e32 v9, v33, v22
	v_fmac_f32_e32 v11, v3, v22
	v_fmac_f32_e32 v10, v17, v22
	v_fmac_f32_e32 v9, v34, v23
	s_waitcnt vmcnt(8)
	v_fmac_f32_e32 v11, v35, v23
	s_waitcnt vmcnt(7)
	v_fmac_f32_e32 v10, v36, v23
	;; [unrolled: 2-line block ×3, first 2 shown]
	v_fmac_f32_e32 v11, v26, v24
	s_waitcnt vmcnt(3)
	v_fmac_f32_e32 v10, v27, v24
	s_waitcnt vmcnt(2)
	;; [unrolled: 2-line block ×4, first 2 shown]
	v_fmac_f32_e32 v10, v6, v25
	s_andn2_b32 exec_lo, exec_lo, s0
	s_cbranch_execnz .LBB23_15
; %bb.16:
	s_or_b32 exec_lo, exec_lo, s0
.LBB23_17:
	s_or_b32 exec_lo, exec_lo, s1
.LBB23_18:
	v_mbcnt_lo_u32_b32 v2, -1, 0
	s_mov_b32 s3, -1
	v_xor_b32_e32 v3, 16, v2
	v_xor_b32_e32 v6, 8, v2
	v_cmp_gt_i32_e32 vcc_lo, 32, v3
	v_cndmask_b32_e32 v3, v2, v3, vcc_lo
	v_cmp_gt_i32_e32 vcc_lo, 32, v6
	v_lshlrev_b32_e32 v3, 2, v3
	v_cndmask_b32_e32 v6, v2, v6, vcc_lo
	ds_bpermute_b32 v4, v3, v9
	ds_bpermute_b32 v5, v3, v11
	;; [unrolled: 1-line block ×3, first 2 shown]
	v_lshlrev_b32_e32 v6, 2, v6
	s_waitcnt lgkmcnt(2)
	v_add_f32_e32 v4, v9, v4
	s_waitcnt lgkmcnt(1)
	v_add_f32_e32 v5, v11, v5
	;; [unrolled: 2-line block ×3, first 2 shown]
	v_xor_b32_e32 v9, 4, v2
	ds_bpermute_b32 v7, v6, v4
	ds_bpermute_b32 v8, v6, v5
	;; [unrolled: 1-line block ×3, first 2 shown]
	v_cmp_gt_i32_e32 vcc_lo, 32, v9
	v_cndmask_b32_e32 v9, v2, v9, vcc_lo
	v_lshlrev_b32_e32 v9, 2, v9
	s_waitcnt lgkmcnt(2)
	v_add_f32_e32 v4, v4, v7
	s_waitcnt lgkmcnt(1)
	v_add_f32_e32 v5, v5, v8
	;; [unrolled: 2-line block ×3, first 2 shown]
	ds_bpermute_b32 v6, v9, v4
	ds_bpermute_b32 v7, v9, v5
	;; [unrolled: 1-line block ×3, first 2 shown]
	v_xor_b32_e32 v9, 2, v2
	v_cmp_gt_i32_e32 vcc_lo, 32, v9
	v_cndmask_b32_e32 v9, v2, v9, vcc_lo
	v_lshlrev_b32_e32 v9, 2, v9
	s_waitcnt lgkmcnt(2)
	v_add_f32_e32 v4, v4, v6
	s_waitcnt lgkmcnt(1)
	v_add_f32_e32 v5, v5, v7
	s_waitcnt lgkmcnt(0)
	v_add_f32_e32 v6, v3, v8
	ds_bpermute_b32 v3, v9, v4
	ds_bpermute_b32 v7, v9, v5
	;; [unrolled: 1-line block ×3, first 2 shown]
	v_xor_b32_e32 v9, 1, v2
	v_cmp_gt_i32_e32 vcc_lo, 32, v9
	v_cndmask_b32_e32 v2, v2, v9, vcc_lo
	v_cmp_eq_u32_e32 vcc_lo, 31, v0
	v_lshlrev_b32_e32 v9, 2, v2
	s_waitcnt lgkmcnt(2)
	v_add_f32_e32 v2, v4, v3
	s_waitcnt lgkmcnt(1)
	v_add_f32_e32 v3, v5, v7
	;; [unrolled: 2-line block ×3, first 2 shown]
	ds_bpermute_b32 v5, v9, v2
	ds_bpermute_b32 v6, v9, v3
	;; [unrolled: 1-line block ×3, first 2 shown]
	s_and_b32 exec_lo, exec_lo, vcc_lo
	s_cbranch_execz .LBB23_23
; %bb.19:
	s_load_dwordx2 s[0:1], s[4:5], 0x38
	s_waitcnt lgkmcnt(0)
	v_add_f32_e32 v0, v2, v5
	v_add_f32_e32 v2, v3, v6
	;; [unrolled: 1-line block ×3, first 2 shown]
	v_lshl_add_u32 v3, v1, 1, v1
	v_cmp_eq_f32_e64 s4, s2, 0
	v_mul_f32_e32 v0, s16, v0
	v_mul_f32_e32 v1, s16, v2
	;; [unrolled: 1-line block ×3, first 2 shown]
	v_ashrrev_i32_e32 v4, 31, v3
	s_and_b32 vcc_lo, exec_lo, s4
	s_cbranch_vccz .LBB23_21
; %bb.20:
	v_lshlrev_b64 v[5:6], 2, v[3:4]
	s_mov_b32 s3, 0
	v_add_co_u32 v5, vcc_lo, s0, v5
	v_add_co_ci_u32_e64 v6, null, s1, v6, vcc_lo
	global_store_dwordx3 v[5:6], v[0:2], off
.LBB23_21:
	s_andn2_b32 vcc_lo, exec_lo, s3
	s_cbranch_vccnz .LBB23_23
; %bb.22:
	v_lshlrev_b64 v[3:4], 2, v[3:4]
	v_add_co_u32 v6, vcc_lo, s0, v3
	v_add_co_ci_u32_e64 v7, null, s1, v4, vcc_lo
	global_load_dwordx3 v[3:5], v[6:7], off
	s_waitcnt vmcnt(0)
	v_fmac_f32_e32 v0, s2, v3
	v_fmac_f32_e32 v1, s2, v4
	;; [unrolled: 1-line block ×3, first 2 shown]
	global_store_dwordx3 v[6:7], v[0:2], off
.LBB23_23:
	s_endpgm
	.section	.rodata,"a",@progbits
	.p2align	6, 0x0
	.amdhsa_kernel _ZN9rocsparseL19gebsrmvn_3xn_kernelILj128ELj6ELj32EfEEvi20rocsparse_direction_NS_24const_host_device_scalarIT2_EEPKiS6_PKS3_S8_S4_PS3_21rocsparse_index_base_b
		.amdhsa_group_segment_fixed_size 0
		.amdhsa_private_segment_fixed_size 0
		.amdhsa_kernarg_size 72
		.amdhsa_user_sgpr_count 6
		.amdhsa_user_sgpr_private_segment_buffer 1
		.amdhsa_user_sgpr_dispatch_ptr 0
		.amdhsa_user_sgpr_queue_ptr 0
		.amdhsa_user_sgpr_kernarg_segment_ptr 1
		.amdhsa_user_sgpr_dispatch_id 0
		.amdhsa_user_sgpr_flat_scratch_init 0
		.amdhsa_user_sgpr_private_segment_size 0
		.amdhsa_wavefront_size32 1
		.amdhsa_uses_dynamic_stack 0
		.amdhsa_system_sgpr_private_segment_wavefront_offset 0
		.amdhsa_system_sgpr_workgroup_id_x 1
		.amdhsa_system_sgpr_workgroup_id_y 0
		.amdhsa_system_sgpr_workgroup_id_z 0
		.amdhsa_system_sgpr_workgroup_info 0
		.amdhsa_system_vgpr_workitem_id 0
		.amdhsa_next_free_vgpr 39
		.amdhsa_next_free_sgpr 20
		.amdhsa_reserve_vcc 1
		.amdhsa_reserve_flat_scratch 0
		.amdhsa_float_round_mode_32 0
		.amdhsa_float_round_mode_16_64 0
		.amdhsa_float_denorm_mode_32 3
		.amdhsa_float_denorm_mode_16_64 3
		.amdhsa_dx10_clamp 1
		.amdhsa_ieee_mode 1
		.amdhsa_fp16_overflow 0
		.amdhsa_workgroup_processor_mode 1
		.amdhsa_memory_ordered 1
		.amdhsa_forward_progress 1
		.amdhsa_shared_vgpr_count 0
		.amdhsa_exception_fp_ieee_invalid_op 0
		.amdhsa_exception_fp_denorm_src 0
		.amdhsa_exception_fp_ieee_div_zero 0
		.amdhsa_exception_fp_ieee_overflow 0
		.amdhsa_exception_fp_ieee_underflow 0
		.amdhsa_exception_fp_ieee_inexact 0
		.amdhsa_exception_int_div_zero 0
	.end_amdhsa_kernel
	.section	.text._ZN9rocsparseL19gebsrmvn_3xn_kernelILj128ELj6ELj32EfEEvi20rocsparse_direction_NS_24const_host_device_scalarIT2_EEPKiS6_PKS3_S8_S4_PS3_21rocsparse_index_base_b,"axG",@progbits,_ZN9rocsparseL19gebsrmvn_3xn_kernelILj128ELj6ELj32EfEEvi20rocsparse_direction_NS_24const_host_device_scalarIT2_EEPKiS6_PKS3_S8_S4_PS3_21rocsparse_index_base_b,comdat
.Lfunc_end23:
	.size	_ZN9rocsparseL19gebsrmvn_3xn_kernelILj128ELj6ELj32EfEEvi20rocsparse_direction_NS_24const_host_device_scalarIT2_EEPKiS6_PKS3_S8_S4_PS3_21rocsparse_index_base_b, .Lfunc_end23-_ZN9rocsparseL19gebsrmvn_3xn_kernelILj128ELj6ELj32EfEEvi20rocsparse_direction_NS_24const_host_device_scalarIT2_EEPKiS6_PKS3_S8_S4_PS3_21rocsparse_index_base_b
                                        ; -- End function
	.set _ZN9rocsparseL19gebsrmvn_3xn_kernelILj128ELj6ELj32EfEEvi20rocsparse_direction_NS_24const_host_device_scalarIT2_EEPKiS6_PKS3_S8_S4_PS3_21rocsparse_index_base_b.num_vgpr, 39
	.set _ZN9rocsparseL19gebsrmvn_3xn_kernelILj128ELj6ELj32EfEEvi20rocsparse_direction_NS_24const_host_device_scalarIT2_EEPKiS6_PKS3_S8_S4_PS3_21rocsparse_index_base_b.num_agpr, 0
	.set _ZN9rocsparseL19gebsrmvn_3xn_kernelILj128ELj6ELj32EfEEvi20rocsparse_direction_NS_24const_host_device_scalarIT2_EEPKiS6_PKS3_S8_S4_PS3_21rocsparse_index_base_b.numbered_sgpr, 20
	.set _ZN9rocsparseL19gebsrmvn_3xn_kernelILj128ELj6ELj32EfEEvi20rocsparse_direction_NS_24const_host_device_scalarIT2_EEPKiS6_PKS3_S8_S4_PS3_21rocsparse_index_base_b.num_named_barrier, 0
	.set _ZN9rocsparseL19gebsrmvn_3xn_kernelILj128ELj6ELj32EfEEvi20rocsparse_direction_NS_24const_host_device_scalarIT2_EEPKiS6_PKS3_S8_S4_PS3_21rocsparse_index_base_b.private_seg_size, 0
	.set _ZN9rocsparseL19gebsrmvn_3xn_kernelILj128ELj6ELj32EfEEvi20rocsparse_direction_NS_24const_host_device_scalarIT2_EEPKiS6_PKS3_S8_S4_PS3_21rocsparse_index_base_b.uses_vcc, 1
	.set _ZN9rocsparseL19gebsrmvn_3xn_kernelILj128ELj6ELj32EfEEvi20rocsparse_direction_NS_24const_host_device_scalarIT2_EEPKiS6_PKS3_S8_S4_PS3_21rocsparse_index_base_b.uses_flat_scratch, 0
	.set _ZN9rocsparseL19gebsrmvn_3xn_kernelILj128ELj6ELj32EfEEvi20rocsparse_direction_NS_24const_host_device_scalarIT2_EEPKiS6_PKS3_S8_S4_PS3_21rocsparse_index_base_b.has_dyn_sized_stack, 0
	.set _ZN9rocsparseL19gebsrmvn_3xn_kernelILj128ELj6ELj32EfEEvi20rocsparse_direction_NS_24const_host_device_scalarIT2_EEPKiS6_PKS3_S8_S4_PS3_21rocsparse_index_base_b.has_recursion, 0
	.set _ZN9rocsparseL19gebsrmvn_3xn_kernelILj128ELj6ELj32EfEEvi20rocsparse_direction_NS_24const_host_device_scalarIT2_EEPKiS6_PKS3_S8_S4_PS3_21rocsparse_index_base_b.has_indirect_call, 0
	.section	.AMDGPU.csdata,"",@progbits
; Kernel info:
; codeLenInByte = 2716
; TotalNumSgprs: 22
; NumVgprs: 39
; ScratchSize: 0
; MemoryBound: 0
; FloatMode: 240
; IeeeMode: 1
; LDSByteSize: 0 bytes/workgroup (compile time only)
; SGPRBlocks: 0
; VGPRBlocks: 4
; NumSGPRsForWavesPerEU: 22
; NumVGPRsForWavesPerEU: 39
; Occupancy: 16
; WaveLimiterHint : 1
; COMPUTE_PGM_RSRC2:SCRATCH_EN: 0
; COMPUTE_PGM_RSRC2:USER_SGPR: 6
; COMPUTE_PGM_RSRC2:TRAP_HANDLER: 0
; COMPUTE_PGM_RSRC2:TGID_X_EN: 1
; COMPUTE_PGM_RSRC2:TGID_Y_EN: 0
; COMPUTE_PGM_RSRC2:TGID_Z_EN: 0
; COMPUTE_PGM_RSRC2:TIDIG_COMP_CNT: 0
	.section	.text._ZN9rocsparseL19gebsrmvn_3xn_kernelILj128ELj6ELj64EfEEvi20rocsparse_direction_NS_24const_host_device_scalarIT2_EEPKiS6_PKS3_S8_S4_PS3_21rocsparse_index_base_b,"axG",@progbits,_ZN9rocsparseL19gebsrmvn_3xn_kernelILj128ELj6ELj64EfEEvi20rocsparse_direction_NS_24const_host_device_scalarIT2_EEPKiS6_PKS3_S8_S4_PS3_21rocsparse_index_base_b,comdat
	.globl	_ZN9rocsparseL19gebsrmvn_3xn_kernelILj128ELj6ELj64EfEEvi20rocsparse_direction_NS_24const_host_device_scalarIT2_EEPKiS6_PKS3_S8_S4_PS3_21rocsparse_index_base_b ; -- Begin function _ZN9rocsparseL19gebsrmvn_3xn_kernelILj128ELj6ELj64EfEEvi20rocsparse_direction_NS_24const_host_device_scalarIT2_EEPKiS6_PKS3_S8_S4_PS3_21rocsparse_index_base_b
	.p2align	8
	.type	_ZN9rocsparseL19gebsrmvn_3xn_kernelILj128ELj6ELj64EfEEvi20rocsparse_direction_NS_24const_host_device_scalarIT2_EEPKiS6_PKS3_S8_S4_PS3_21rocsparse_index_base_b,@function
_ZN9rocsparseL19gebsrmvn_3xn_kernelILj128ELj6ELj64EfEEvi20rocsparse_direction_NS_24const_host_device_scalarIT2_EEPKiS6_PKS3_S8_S4_PS3_21rocsparse_index_base_b: ; @_ZN9rocsparseL19gebsrmvn_3xn_kernelILj128ELj6ELj64EfEEvi20rocsparse_direction_NS_24const_host_device_scalarIT2_EEPKiS6_PKS3_S8_S4_PS3_21rocsparse_index_base_b
; %bb.0:
	s_clause 0x2
	s_load_dwordx2 s[18:19], s[4:5], 0x40
	s_load_dwordx2 s[16:17], s[4:5], 0x8
	;; [unrolled: 1-line block ×3, first 2 shown]
	s_waitcnt lgkmcnt(0)
	s_bitcmp1_b32 s19, 0
	s_cselect_b32 s0, -1, 0
	s_and_b32 vcc_lo, exec_lo, s0
	s_xor_b32 s0, s0, -1
	s_cbranch_vccnz .LBB24_2
; %bb.1:
	s_load_dword s16, s[16:17], 0x0
.LBB24_2:
	s_andn2_b32 vcc_lo, exec_lo, s0
	s_cbranch_vccnz .LBB24_4
; %bb.3:
	s_load_dword s2, s[2:3], 0x0
.LBB24_4:
	s_waitcnt lgkmcnt(0)
	v_cmp_eq_f32_e64 s0, s16, 0
	v_cmp_eq_f32_e64 s1, s2, 1.0
	s_and_b32 s0, s0, s1
	s_and_b32 vcc_lo, exec_lo, s0
	s_cbranch_vccnz .LBB24_23
; %bb.5:
	s_load_dwordx2 s[0:1], s[4:5], 0x0
	v_lshrrev_b32_e32 v1, 6, v0
	v_lshl_or_b32 v1, s6, 1, v1
	s_waitcnt lgkmcnt(0)
	v_cmp_gt_i32_e32 vcc_lo, s0, v1
	s_and_saveexec_b32 s0, vcc_lo
	s_cbranch_execz .LBB24_23
; %bb.6:
	s_load_dwordx8 s[8:15], s[4:5], 0x10
	v_ashrrev_i32_e32 v2, 31, v1
	v_and_b32_e32 v0, 63, v0
	s_cmp_lg_u32 s1, 0
	v_lshlrev_b64 v[2:3], 2, v[1:2]
	s_waitcnt lgkmcnt(0)
	v_add_co_u32 v2, vcc_lo, s8, v2
	v_add_co_ci_u32_e64 v3, null, s9, v3, vcc_lo
	global_load_dwordx2 v[2:3], v[2:3], off
	s_waitcnt vmcnt(0)
	v_subrev_nc_u32_e32 v2, s18, v2
	v_subrev_nc_u32_e32 v12, s18, v3
	v_add_nc_u32_e32 v2, v2, v0
	v_cmp_lt_i32_e64 s0, v2, v12
	s_cbranch_scc0 .LBB24_12
; %bb.7:
	v_mov_b32_e32 v9, 0
	v_mov_b32_e32 v10, 0
	;; [unrolled: 1-line block ×3, first 2 shown]
	s_and_saveexec_b32 s1, s0
	s_cbranch_execz .LBB24_11
; %bb.8:
	v_mad_u64_u32 v[3:4], null, v2, 18, 17
	v_mov_b32_e32 v6, 0
	v_mov_b32_e32 v7, v2
	;; [unrolled: 1-line block ×5, first 2 shown]
	s_mov_b32 s3, 0
.LBB24_9:                               ; =>This Inner Loop Header: Depth=1
	v_ashrrev_i32_e32 v8, 31, v7
	v_mov_b32_e32 v14, v6
	v_lshlrev_b64 v[4:5], 2, v[7:8]
	v_add_nc_u32_e32 v7, 64, v7
	v_add_co_u32 v4, vcc_lo, s10, v4
	v_add_co_ci_u32_e64 v5, null, s11, v5, vcc_lo
	global_load_dword v8, v[4:5], off
	v_subrev_nc_u32_e32 v5, 17, v3
	v_mov_b32_e32 v4, v6
	v_lshlrev_b64 v[15:16], 2, v[5:6]
	v_add_nc_u32_e32 v5, -15, v3
	v_lshlrev_b64 v[17:18], 2, v[3:4]
	v_lshlrev_b64 v[19:20], 2, v[5:6]
	v_add_nc_u32_e32 v5, -14, v3
	v_add_co_u32 v15, vcc_lo, s12, v15
	v_add_co_ci_u32_e64 v16, null, s13, v16, vcc_lo
	v_add_co_u32 v17, vcc_lo, s12, v17
	v_lshlrev_b64 v[21:22], 2, v[5:6]
	v_add_nc_u32_e32 v5, -13, v3
	v_add_co_ci_u32_e64 v18, null, s13, v18, vcc_lo
	v_add_co_u32 v19, vcc_lo, s12, v19
	v_add_co_ci_u32_e64 v20, null, s13, v20, vcc_lo
	v_lshlrev_b64 v[23:24], 2, v[5:6]
	v_add_nc_u32_e32 v5, -12, v3
	s_clause 0x1
	global_load_dwordx2 v[15:16], v[15:16], off
	global_load_dword v29, v[19:20], off
	v_add_co_u32 v19, vcc_lo, s12, v21
	v_add_co_ci_u32_e64 v20, null, s13, v22, vcc_lo
	v_lshlrev_b64 v[21:22], 2, v[5:6]
	v_add_nc_u32_e32 v5, -11, v3
	v_add_co_u32 v23, vcc_lo, s12, v23
	v_add_co_ci_u32_e64 v24, null, s13, v24, vcc_lo
	v_lshlrev_b64 v[4:5], 2, v[5:6]
	s_clause 0x1
	global_load_dword v30, v[19:20], off
	global_load_dword v31, v[23:24], off
	v_add_co_u32 v19, vcc_lo, s12, v21
	v_add_co_ci_u32_e64 v20, null, s13, v22, vcc_lo
	v_add_co_u32 v4, vcc_lo, s12, v4
	v_add_co_ci_u32_e64 v5, null, s13, v5, vcc_lo
	s_clause 0x1
	global_load_dword v32, v[19:20], off
	global_load_dword v33, v[4:5], off
	s_waitcnt vmcnt(6)
	v_subrev_nc_u32_e32 v4, s18, v8
	v_mul_lo_u32 v13, v4, 6
	v_add_nc_u32_e32 v5, 2, v13
	v_lshlrev_b64 v[19:20], 2, v[13:14]
	v_lshlrev_b64 v[21:22], 2, v[5:6]
	v_add_nc_u32_e32 v5, -10, v3
	v_add_co_u32 v19, vcc_lo, s14, v19
	v_add_co_ci_u32_e64 v20, null, s15, v20, vcc_lo
	v_lshlrev_b64 v[23:24], 2, v[5:6]
	v_add_nc_u32_e32 v5, -9, v3
	v_add_co_u32 v21, vcc_lo, s14, v21
	v_add_co_ci_u32_e64 v22, null, s15, v22, vcc_lo
	;; [unrolled: 4-line block ×3, first 2 shown]
	v_lshlrev_b64 v[27:28], 2, v[5:6]
	v_add_nc_u32_e32 v5, -7, v3
	s_clause 0x1
	global_load_dwordx2 v[19:20], v[19:20], off
	global_load_dwordx2 v[21:22], v[21:22], off
	global_load_dword v8, v[23:24], off
	v_add_co_u32 v23, vcc_lo, s12, v25
	v_add_co_ci_u32_e64 v24, null, s13, v26, vcc_lo
	v_lshlrev_b64 v[25:26], 2, v[5:6]
	v_add_co_u32 v27, vcc_lo, s12, v27
	v_add_co_ci_u32_e64 v28, null, s13, v28, vcc_lo
	v_add_nc_u32_e32 v5, -6, v3
	v_add_co_u32 v25, vcc_lo, s12, v25
	v_add_co_ci_u32_e64 v26, null, s13, v26, vcc_lo
	s_clause 0x2
	global_load_dword v34, v[23:24], off
	global_load_dword v35, v[27:28], off
	global_load_dword v36, v[25:26], off
	v_lshlrev_b64 v[23:24], 2, v[5:6]
	v_add_nc_u32_e32 v5, -5, v3
	v_lshlrev_b64 v[27:28], 2, v[5:6]
	v_add_nc_u32_e32 v5, 4, v13
	v_add_co_u32 v13, vcc_lo, s12, v23
	v_add_co_ci_u32_e64 v14, null, s13, v24, vcc_lo
	v_lshlrev_b64 v[23:24], 2, v[5:6]
	v_add_nc_u32_e32 v5, -4, v3
	global_load_dword v37, v[13:14], off
	v_add_co_u32 v13, vcc_lo, s12, v27
	v_add_co_ci_u32_e64 v14, null, s13, v28, vcc_lo
	v_lshlrev_b64 v[25:26], 2, v[5:6]
	v_add_nc_u32_e32 v5, -3, v3
	v_add_co_u32 v23, vcc_lo, s14, v23
	global_load_dword v38, v[13:14], off
	v_add_co_ci_u32_e64 v24, null, s15, v24, vcc_lo
	v_lshlrev_b64 v[13:14], 2, v[5:6]
	v_add_nc_u32_e32 v5, -2, v3
	v_add_co_u32 v25, vcc_lo, s12, v25
	v_add_co_ci_u32_e64 v26, null, s13, v26, vcc_lo
	v_lshlrev_b64 v[27:28], 2, v[5:6]
	v_add_nc_u32_e32 v5, -1, v3
	v_add_co_u32 v13, vcc_lo, s12, v13
	v_add_co_ci_u32_e64 v14, null, s13, v14, vcc_lo
	v_lshlrev_b64 v[4:5], 2, v[5:6]
	global_load_dword v25, v[25:26], off
	global_load_dwordx2 v[23:24], v[23:24], off
	global_load_dword v26, v[13:14], off
	v_add_co_u32 v13, vcc_lo, s12, v27
	v_add_co_ci_u32_e64 v14, null, s13, v28, vcc_lo
	v_add_co_u32 v4, vcc_lo, s12, v4
	v_add_co_ci_u32_e64 v5, null, s13, v5, vcc_lo
	s_clause 0x2
	global_load_dword v13, v[13:14], off
	global_load_dword v4, v[4:5], off
	;; [unrolled: 1-line block ×3, first 2 shown]
	v_cmp_ge_i32_e32 vcc_lo, v7, v12
	v_add_nc_u32_e32 v3, 0x480, v3
	s_or_b32 s3, vcc_lo, s3
	s_waitcnt vmcnt(13)
	v_fmac_f32_e32 v9, v15, v19
	v_fmac_f32_e32 v11, v16, v19
	;; [unrolled: 1-line block ×6, first 2 shown]
	s_waitcnt vmcnt(12)
	v_fmac_f32_e32 v9, v33, v21
	s_waitcnt vmcnt(11)
	v_fmac_f32_e32 v11, v8, v21
	;; [unrolled: 2-line block ×7, first 2 shown]
	v_fmac_f32_e32 v11, v25, v23
	s_waitcnt vmcnt(3)
	v_fmac_f32_e32 v10, v26, v23
	s_waitcnt vmcnt(2)
	;; [unrolled: 2-line block ×4, first 2 shown]
	v_fmac_f32_e32 v10, v5, v24
	s_andn2_b32 exec_lo, exec_lo, s3
	s_cbranch_execnz .LBB24_9
; %bb.10:
	s_or_b32 exec_lo, exec_lo, s3
.LBB24_11:
	s_or_b32 exec_lo, exec_lo, s1
	s_cbranch_execz .LBB24_13
	s_branch .LBB24_18
.LBB24_12:
                                        ; implicit-def: $vgpr9
                                        ; implicit-def: $vgpr10
                                        ; implicit-def: $vgpr11
.LBB24_13:
	v_mov_b32_e32 v9, 0
	v_mov_b32_e32 v10, 0
	;; [unrolled: 1-line block ×3, first 2 shown]
	s_and_saveexec_b32 s1, s0
	s_cbranch_execz .LBB24_17
; %bb.14:
	v_mad_u64_u32 v[4:5], null, v2, 18, 17
	v_mov_b32_e32 v7, 0
	v_mov_b32_e32 v9, 0
	;; [unrolled: 1-line block ×4, first 2 shown]
	s_mov_b32 s0, 0
.LBB24_15:                              ; =>This Inner Loop Header: Depth=1
	v_ashrrev_i32_e32 v3, 31, v2
	v_add_nc_u32_e32 v13, -11, v4
	v_mov_b32_e32 v14, v7
	v_add_nc_u32_e32 v15, -5, v4
	v_mov_b32_e32 v16, v7
	v_lshlrev_b64 v[5:6], 2, v[2:3]
	v_mov_b32_e32 v17, v7
	v_lshlrev_b64 v[13:14], 2, v[13:14]
	v_add_nc_u32_e32 v2, 64, v2
	v_lshlrev_b64 v[15:16], 2, v[15:16]
	v_add_co_u32 v5, vcc_lo, s10, v5
	v_add_co_ci_u32_e64 v6, null, s11, v6, vcc_lo
	global_load_dword v3, v[5:6], off
	v_subrev_nc_u32_e32 v6, 17, v4
	v_mov_b32_e32 v5, v7
	v_lshlrev_b64 v[18:19], 2, v[6:7]
	v_add_nc_u32_e32 v6, -10, v4
	v_lshlrev_b64 v[20:21], 2, v[4:5]
	v_lshlrev_b64 v[22:23], 2, v[6:7]
	v_add_nc_u32_e32 v6, -4, v4
	v_add_co_u32 v18, vcc_lo, s12, v18
	v_add_co_ci_u32_e64 v19, null, s13, v19, vcc_lo
	v_lshlrev_b64 v[24:25], 2, v[6:7]
	v_add_nc_u32_e32 v6, -15, v4
	v_add_co_u32 v13, vcc_lo, s12, v13
	v_add_co_ci_u32_e64 v14, null, s13, v14, vcc_lo
	v_add_co_u32 v15, vcc_lo, s12, v15
	v_add_co_ci_u32_e64 v16, null, s13, v16, vcc_lo
	v_add_co_u32 v20, vcc_lo, s12, v20
	v_lshlrev_b64 v[5:6], 2, v[6:7]
	v_add_co_ci_u32_e64 v21, null, s13, v21, vcc_lo
	v_add_co_u32 v22, vcc_lo, s12, v22
	v_add_co_ci_u32_e64 v23, null, s13, v23, vcc_lo
	s_clause 0x2
	global_load_dwordx2 v[18:19], v[18:19], off
	global_load_dword v8, v[13:14], off
	global_load_dword v30, v[15:16], off
	v_add_co_u32 v13, vcc_lo, s12, v24
	v_add_co_ci_u32_e64 v14, null, s13, v25, vcc_lo
	v_add_co_u32 v5, vcc_lo, s12, v5
	v_add_co_ci_u32_e64 v6, null, s13, v6, vcc_lo
	s_clause 0x2
	global_load_dword v31, v[22:23], off
	global_load_dword v32, v[13:14], off
	;; [unrolled: 1-line block ×3, first 2 shown]
	s_waitcnt vmcnt(6)
	v_subrev_nc_u32_e32 v3, s18, v3
	v_mul_lo_u32 v16, v3, 6
	v_add_nc_u32_e32 v6, 2, v16
	v_lshlrev_b64 v[13:14], 2, v[16:17]
	v_lshlrev_b64 v[22:23], 2, v[6:7]
	v_add_nc_u32_e32 v6, -9, v4
	v_add_co_u32 v13, vcc_lo, s14, v13
	v_add_co_ci_u32_e64 v14, null, s15, v14, vcc_lo
	v_lshlrev_b64 v[24:25], 2, v[6:7]
	v_add_nc_u32_e32 v6, -3, v4
	v_add_co_u32 v22, vcc_lo, s14, v22
	v_add_co_ci_u32_e64 v23, null, s15, v23, vcc_lo
	;; [unrolled: 4-line block ×3, first 2 shown]
	v_lshlrev_b64 v[28:29], 2, v[6:7]
	v_add_nc_u32_e32 v6, -8, v4
	global_load_dwordx2 v[13:14], v[13:14], off
	global_load_dword v3, v[24:25], off
	v_add_co_u32 v24, vcc_lo, s12, v26
	v_add_co_ci_u32_e64 v25, null, s13, v27, vcc_lo
	v_lshlrev_b64 v[26:27], 2, v[6:7]
	v_add_co_u32 v28, vcc_lo, s12, v28
	v_add_co_ci_u32_e64 v29, null, s13, v29, vcc_lo
	v_add_nc_u32_e32 v6, -2, v4
	v_add_co_u32 v26, vcc_lo, s12, v26
	v_add_co_ci_u32_e64 v27, null, s13, v27, vcc_lo
	s_clause 0x1
	global_load_dword v17, v[24:25], off
	global_load_dword v34, v[28:29], off
	global_load_dwordx2 v[22:23], v[22:23], off
	global_load_dword v35, v[26:27], off
	v_lshlrev_b64 v[24:25], 2, v[6:7]
	v_add_nc_u32_e32 v6, -13, v4
	v_lshlrev_b64 v[28:29], 2, v[6:7]
	v_add_nc_u32_e32 v6, 4, v16
	v_add_co_u32 v15, vcc_lo, s12, v24
	v_add_co_ci_u32_e64 v16, null, s13, v25, vcc_lo
	v_lshlrev_b64 v[24:25], 2, v[6:7]
	v_add_nc_u32_e32 v6, -7, v4
	global_load_dword v36, v[15:16], off
	v_add_co_u32 v15, vcc_lo, s12, v28
	v_add_co_ci_u32_e64 v16, null, s13, v29, vcc_lo
	v_lshlrev_b64 v[26:27], 2, v[6:7]
	v_add_nc_u32_e32 v6, -1, v4
	v_add_co_u32 v24, vcc_lo, s14, v24
	global_load_dword v37, v[15:16], off
	v_add_co_ci_u32_e64 v25, null, s15, v25, vcc_lo
	v_lshlrev_b64 v[15:16], 2, v[6:7]
	v_add_nc_u32_e32 v6, -12, v4
	v_add_co_u32 v26, vcc_lo, s12, v26
	v_add_co_ci_u32_e64 v27, null, s13, v27, vcc_lo
	v_lshlrev_b64 v[28:29], 2, v[6:7]
	v_add_nc_u32_e32 v6, -6, v4
	v_add_co_u32 v15, vcc_lo, s12, v15
	v_add_co_ci_u32_e64 v16, null, s13, v16, vcc_lo
	v_lshlrev_b64 v[5:6], 2, v[6:7]
	global_load_dword v26, v[26:27], off
	global_load_dwordx2 v[24:25], v[24:25], off
	global_load_dword v27, v[15:16], off
	v_add_co_u32 v15, vcc_lo, s12, v28
	v_add_co_ci_u32_e64 v16, null, s13, v29, vcc_lo
	v_add_co_u32 v5, vcc_lo, s12, v5
	v_add_co_ci_u32_e64 v6, null, s13, v6, vcc_lo
	s_clause 0x2
	global_load_dword v15, v[15:16], off
	global_load_dword v5, v[5:6], off
	;; [unrolled: 1-line block ×3, first 2 shown]
	v_cmp_ge_i32_e32 vcc_lo, v2, v12
	v_add_nc_u32_e32 v4, 0x480, v4
	s_or_b32 s0, vcc_lo, s0
	s_waitcnt vmcnt(13)
	v_fmac_f32_e32 v9, v18, v13
	v_fmac_f32_e32 v11, v8, v13
	;; [unrolled: 1-line block ×6, first 2 shown]
	s_waitcnt vmcnt(9)
	v_fmac_f32_e32 v9, v33, v22
	v_fmac_f32_e32 v11, v3, v22
	v_fmac_f32_e32 v10, v17, v22
	v_fmac_f32_e32 v9, v34, v23
	s_waitcnt vmcnt(8)
	v_fmac_f32_e32 v11, v35, v23
	s_waitcnt vmcnt(7)
	v_fmac_f32_e32 v10, v36, v23
	;; [unrolled: 2-line block ×3, first 2 shown]
	v_fmac_f32_e32 v11, v26, v24
	s_waitcnt vmcnt(3)
	v_fmac_f32_e32 v10, v27, v24
	s_waitcnt vmcnt(2)
	;; [unrolled: 2-line block ×4, first 2 shown]
	v_fmac_f32_e32 v10, v6, v25
	s_andn2_b32 exec_lo, exec_lo, s0
	s_cbranch_execnz .LBB24_15
; %bb.16:
	s_or_b32 exec_lo, exec_lo, s0
.LBB24_17:
	s_or_b32 exec_lo, exec_lo, s1
.LBB24_18:
	v_mbcnt_lo_u32_b32 v2, -1, 0
	s_mov_b32 s3, -1
	v_or_b32_e32 v3, 32, v2
	v_xor_b32_e32 v6, 16, v2
	v_cmp_gt_i32_e32 vcc_lo, 32, v3
	v_cndmask_b32_e32 v3, v2, v3, vcc_lo
	v_cmp_gt_i32_e32 vcc_lo, 32, v6
	v_lshlrev_b32_e32 v3, 2, v3
	v_cndmask_b32_e32 v6, v2, v6, vcc_lo
	ds_bpermute_b32 v4, v3, v9
	ds_bpermute_b32 v5, v3, v11
	;; [unrolled: 1-line block ×3, first 2 shown]
	v_lshlrev_b32_e32 v6, 2, v6
	s_waitcnt lgkmcnt(2)
	v_add_f32_e32 v4, v9, v4
	s_waitcnt lgkmcnt(1)
	v_add_f32_e32 v5, v11, v5
	;; [unrolled: 2-line block ×3, first 2 shown]
	v_xor_b32_e32 v9, 8, v2
	ds_bpermute_b32 v7, v6, v4
	ds_bpermute_b32 v8, v6, v5
	;; [unrolled: 1-line block ×3, first 2 shown]
	v_cmp_gt_i32_e32 vcc_lo, 32, v9
	v_cndmask_b32_e32 v9, v2, v9, vcc_lo
	v_lshlrev_b32_e32 v9, 2, v9
	s_waitcnt lgkmcnt(2)
	v_add_f32_e32 v4, v4, v7
	s_waitcnt lgkmcnt(1)
	v_add_f32_e32 v5, v5, v8
	s_waitcnt lgkmcnt(0)
	v_add_f32_e32 v3, v3, v6
	ds_bpermute_b32 v6, v9, v4
	ds_bpermute_b32 v7, v9, v5
	ds_bpermute_b32 v8, v9, v3
	v_xor_b32_e32 v9, 4, v2
	v_cmp_gt_i32_e32 vcc_lo, 32, v9
	v_cndmask_b32_e32 v9, v2, v9, vcc_lo
	v_lshlrev_b32_e32 v9, 2, v9
	s_waitcnt lgkmcnt(2)
	v_add_f32_e32 v4, v4, v6
	s_waitcnt lgkmcnt(1)
	v_add_f32_e32 v5, v5, v7
	s_waitcnt lgkmcnt(0)
	v_add_f32_e32 v3, v3, v8
	ds_bpermute_b32 v6, v9, v4
	ds_bpermute_b32 v7, v9, v5
	ds_bpermute_b32 v8, v9, v3
	v_xor_b32_e32 v9, 2, v2
	;; [unrolled: 13-line block ×3, first 2 shown]
	v_cmp_gt_i32_e32 vcc_lo, 32, v9
	v_cndmask_b32_e32 v2, v2, v9, vcc_lo
	v_cmp_eq_u32_e32 vcc_lo, 63, v0
	v_lshlrev_b32_e32 v9, 2, v2
	s_waitcnt lgkmcnt(2)
	v_add_f32_e32 v2, v4, v3
	s_waitcnt lgkmcnt(1)
	v_add_f32_e32 v3, v5, v7
	;; [unrolled: 2-line block ×3, first 2 shown]
	ds_bpermute_b32 v5, v9, v2
	ds_bpermute_b32 v6, v9, v3
	;; [unrolled: 1-line block ×3, first 2 shown]
	s_and_b32 exec_lo, exec_lo, vcc_lo
	s_cbranch_execz .LBB24_23
; %bb.19:
	s_load_dwordx2 s[0:1], s[4:5], 0x38
	s_waitcnt lgkmcnt(0)
	v_add_f32_e32 v0, v2, v5
	v_add_f32_e32 v2, v3, v6
	;; [unrolled: 1-line block ×3, first 2 shown]
	v_lshl_add_u32 v3, v1, 1, v1
	v_cmp_eq_f32_e64 s4, s2, 0
	v_mul_f32_e32 v0, s16, v0
	v_mul_f32_e32 v1, s16, v2
	;; [unrolled: 1-line block ×3, first 2 shown]
	v_ashrrev_i32_e32 v4, 31, v3
	s_and_b32 vcc_lo, exec_lo, s4
	s_cbranch_vccz .LBB24_21
; %bb.20:
	v_lshlrev_b64 v[5:6], 2, v[3:4]
	s_mov_b32 s3, 0
	v_add_co_u32 v5, vcc_lo, s0, v5
	v_add_co_ci_u32_e64 v6, null, s1, v6, vcc_lo
	global_store_dwordx3 v[5:6], v[0:2], off
.LBB24_21:
	s_andn2_b32 vcc_lo, exec_lo, s3
	s_cbranch_vccnz .LBB24_23
; %bb.22:
	v_lshlrev_b64 v[3:4], 2, v[3:4]
	v_add_co_u32 v6, vcc_lo, s0, v3
	v_add_co_ci_u32_e64 v7, null, s1, v4, vcc_lo
	global_load_dwordx3 v[3:5], v[6:7], off
	s_waitcnt vmcnt(0)
	v_fmac_f32_e32 v0, s2, v3
	v_fmac_f32_e32 v1, s2, v4
	;; [unrolled: 1-line block ×3, first 2 shown]
	global_store_dwordx3 v[6:7], v[0:2], off
.LBB24_23:
	s_endpgm
	.section	.rodata,"a",@progbits
	.p2align	6, 0x0
	.amdhsa_kernel _ZN9rocsparseL19gebsrmvn_3xn_kernelILj128ELj6ELj64EfEEvi20rocsparse_direction_NS_24const_host_device_scalarIT2_EEPKiS6_PKS3_S8_S4_PS3_21rocsparse_index_base_b
		.amdhsa_group_segment_fixed_size 0
		.amdhsa_private_segment_fixed_size 0
		.amdhsa_kernarg_size 72
		.amdhsa_user_sgpr_count 6
		.amdhsa_user_sgpr_private_segment_buffer 1
		.amdhsa_user_sgpr_dispatch_ptr 0
		.amdhsa_user_sgpr_queue_ptr 0
		.amdhsa_user_sgpr_kernarg_segment_ptr 1
		.amdhsa_user_sgpr_dispatch_id 0
		.amdhsa_user_sgpr_flat_scratch_init 0
		.amdhsa_user_sgpr_private_segment_size 0
		.amdhsa_wavefront_size32 1
		.amdhsa_uses_dynamic_stack 0
		.amdhsa_system_sgpr_private_segment_wavefront_offset 0
		.amdhsa_system_sgpr_workgroup_id_x 1
		.amdhsa_system_sgpr_workgroup_id_y 0
		.amdhsa_system_sgpr_workgroup_id_z 0
		.amdhsa_system_sgpr_workgroup_info 0
		.amdhsa_system_vgpr_workitem_id 0
		.amdhsa_next_free_vgpr 39
		.amdhsa_next_free_sgpr 20
		.amdhsa_reserve_vcc 1
		.amdhsa_reserve_flat_scratch 0
		.amdhsa_float_round_mode_32 0
		.amdhsa_float_round_mode_16_64 0
		.amdhsa_float_denorm_mode_32 3
		.amdhsa_float_denorm_mode_16_64 3
		.amdhsa_dx10_clamp 1
		.amdhsa_ieee_mode 1
		.amdhsa_fp16_overflow 0
		.amdhsa_workgroup_processor_mode 1
		.amdhsa_memory_ordered 1
		.amdhsa_forward_progress 1
		.amdhsa_shared_vgpr_count 0
		.amdhsa_exception_fp_ieee_invalid_op 0
		.amdhsa_exception_fp_denorm_src 0
		.amdhsa_exception_fp_ieee_div_zero 0
		.amdhsa_exception_fp_ieee_overflow 0
		.amdhsa_exception_fp_ieee_underflow 0
		.amdhsa_exception_fp_ieee_inexact 0
		.amdhsa_exception_int_div_zero 0
	.end_amdhsa_kernel
	.section	.text._ZN9rocsparseL19gebsrmvn_3xn_kernelILj128ELj6ELj64EfEEvi20rocsparse_direction_NS_24const_host_device_scalarIT2_EEPKiS6_PKS3_S8_S4_PS3_21rocsparse_index_base_b,"axG",@progbits,_ZN9rocsparseL19gebsrmvn_3xn_kernelILj128ELj6ELj64EfEEvi20rocsparse_direction_NS_24const_host_device_scalarIT2_EEPKiS6_PKS3_S8_S4_PS3_21rocsparse_index_base_b,comdat
.Lfunc_end24:
	.size	_ZN9rocsparseL19gebsrmvn_3xn_kernelILj128ELj6ELj64EfEEvi20rocsparse_direction_NS_24const_host_device_scalarIT2_EEPKiS6_PKS3_S8_S4_PS3_21rocsparse_index_base_b, .Lfunc_end24-_ZN9rocsparseL19gebsrmvn_3xn_kernelILj128ELj6ELj64EfEEvi20rocsparse_direction_NS_24const_host_device_scalarIT2_EEPKiS6_PKS3_S8_S4_PS3_21rocsparse_index_base_b
                                        ; -- End function
	.set _ZN9rocsparseL19gebsrmvn_3xn_kernelILj128ELj6ELj64EfEEvi20rocsparse_direction_NS_24const_host_device_scalarIT2_EEPKiS6_PKS3_S8_S4_PS3_21rocsparse_index_base_b.num_vgpr, 39
	.set _ZN9rocsparseL19gebsrmvn_3xn_kernelILj128ELj6ELj64EfEEvi20rocsparse_direction_NS_24const_host_device_scalarIT2_EEPKiS6_PKS3_S8_S4_PS3_21rocsparse_index_base_b.num_agpr, 0
	.set _ZN9rocsparseL19gebsrmvn_3xn_kernelILj128ELj6ELj64EfEEvi20rocsparse_direction_NS_24const_host_device_scalarIT2_EEPKiS6_PKS3_S8_S4_PS3_21rocsparse_index_base_b.numbered_sgpr, 20
	.set _ZN9rocsparseL19gebsrmvn_3xn_kernelILj128ELj6ELj64EfEEvi20rocsparse_direction_NS_24const_host_device_scalarIT2_EEPKiS6_PKS3_S8_S4_PS3_21rocsparse_index_base_b.num_named_barrier, 0
	.set _ZN9rocsparseL19gebsrmvn_3xn_kernelILj128ELj6ELj64EfEEvi20rocsparse_direction_NS_24const_host_device_scalarIT2_EEPKiS6_PKS3_S8_S4_PS3_21rocsparse_index_base_b.private_seg_size, 0
	.set _ZN9rocsparseL19gebsrmvn_3xn_kernelILj128ELj6ELj64EfEEvi20rocsparse_direction_NS_24const_host_device_scalarIT2_EEPKiS6_PKS3_S8_S4_PS3_21rocsparse_index_base_b.uses_vcc, 1
	.set _ZN9rocsparseL19gebsrmvn_3xn_kernelILj128ELj6ELj64EfEEvi20rocsparse_direction_NS_24const_host_device_scalarIT2_EEPKiS6_PKS3_S8_S4_PS3_21rocsparse_index_base_b.uses_flat_scratch, 0
	.set _ZN9rocsparseL19gebsrmvn_3xn_kernelILj128ELj6ELj64EfEEvi20rocsparse_direction_NS_24const_host_device_scalarIT2_EEPKiS6_PKS3_S8_S4_PS3_21rocsparse_index_base_b.has_dyn_sized_stack, 0
	.set _ZN9rocsparseL19gebsrmvn_3xn_kernelILj128ELj6ELj64EfEEvi20rocsparse_direction_NS_24const_host_device_scalarIT2_EEPKiS6_PKS3_S8_S4_PS3_21rocsparse_index_base_b.has_recursion, 0
	.set _ZN9rocsparseL19gebsrmvn_3xn_kernelILj128ELj6ELj64EfEEvi20rocsparse_direction_NS_24const_host_device_scalarIT2_EEPKiS6_PKS3_S8_S4_PS3_21rocsparse_index_base_b.has_indirect_call, 0
	.section	.AMDGPU.csdata,"",@progbits
; Kernel info:
; codeLenInByte = 2780
; TotalNumSgprs: 22
; NumVgprs: 39
; ScratchSize: 0
; MemoryBound: 0
; FloatMode: 240
; IeeeMode: 1
; LDSByteSize: 0 bytes/workgroup (compile time only)
; SGPRBlocks: 0
; VGPRBlocks: 4
; NumSGPRsForWavesPerEU: 22
; NumVGPRsForWavesPerEU: 39
; Occupancy: 16
; WaveLimiterHint : 1
; COMPUTE_PGM_RSRC2:SCRATCH_EN: 0
; COMPUTE_PGM_RSRC2:USER_SGPR: 6
; COMPUTE_PGM_RSRC2:TRAP_HANDLER: 0
; COMPUTE_PGM_RSRC2:TGID_X_EN: 1
; COMPUTE_PGM_RSRC2:TGID_Y_EN: 0
; COMPUTE_PGM_RSRC2:TGID_Z_EN: 0
; COMPUTE_PGM_RSRC2:TIDIG_COMP_CNT: 0
	.section	.text._ZN9rocsparseL19gebsrmvn_3xn_kernelILj128ELj7ELj4EfEEvi20rocsparse_direction_NS_24const_host_device_scalarIT2_EEPKiS6_PKS3_S8_S4_PS3_21rocsparse_index_base_b,"axG",@progbits,_ZN9rocsparseL19gebsrmvn_3xn_kernelILj128ELj7ELj4EfEEvi20rocsparse_direction_NS_24const_host_device_scalarIT2_EEPKiS6_PKS3_S8_S4_PS3_21rocsparse_index_base_b,comdat
	.globl	_ZN9rocsparseL19gebsrmvn_3xn_kernelILj128ELj7ELj4EfEEvi20rocsparse_direction_NS_24const_host_device_scalarIT2_EEPKiS6_PKS3_S8_S4_PS3_21rocsparse_index_base_b ; -- Begin function _ZN9rocsparseL19gebsrmvn_3xn_kernelILj128ELj7ELj4EfEEvi20rocsparse_direction_NS_24const_host_device_scalarIT2_EEPKiS6_PKS3_S8_S4_PS3_21rocsparse_index_base_b
	.p2align	8
	.type	_ZN9rocsparseL19gebsrmvn_3xn_kernelILj128ELj7ELj4EfEEvi20rocsparse_direction_NS_24const_host_device_scalarIT2_EEPKiS6_PKS3_S8_S4_PS3_21rocsparse_index_base_b,@function
_ZN9rocsparseL19gebsrmvn_3xn_kernelILj128ELj7ELj4EfEEvi20rocsparse_direction_NS_24const_host_device_scalarIT2_EEPKiS6_PKS3_S8_S4_PS3_21rocsparse_index_base_b: ; @_ZN9rocsparseL19gebsrmvn_3xn_kernelILj128ELj7ELj4EfEEvi20rocsparse_direction_NS_24const_host_device_scalarIT2_EEPKiS6_PKS3_S8_S4_PS3_21rocsparse_index_base_b
; %bb.0:
	s_clause 0x2
	s_load_dwordx2 s[18:19], s[4:5], 0x40
	s_load_dwordx2 s[16:17], s[4:5], 0x8
	;; [unrolled: 1-line block ×3, first 2 shown]
	s_waitcnt lgkmcnt(0)
	s_bitcmp1_b32 s19, 0
	s_cselect_b32 s0, -1, 0
	s_and_b32 vcc_lo, exec_lo, s0
	s_xor_b32 s0, s0, -1
	s_cbranch_vccnz .LBB25_2
; %bb.1:
	s_load_dword s16, s[16:17], 0x0
.LBB25_2:
	s_andn2_b32 vcc_lo, exec_lo, s0
	s_cbranch_vccnz .LBB25_4
; %bb.3:
	s_load_dword s2, s[2:3], 0x0
.LBB25_4:
	s_waitcnt lgkmcnt(0)
	v_cmp_eq_f32_e64 s0, s16, 0
	v_cmp_eq_f32_e64 s1, s2, 1.0
	s_and_b32 s0, s0, s1
	s_and_b32 vcc_lo, exec_lo, s0
	s_cbranch_vccnz .LBB25_23
; %bb.5:
	s_load_dwordx2 s[0:1], s[4:5], 0x0
	v_lshrrev_b32_e32 v1, 2, v0
	v_lshl_or_b32 v1, s6, 5, v1
	s_waitcnt lgkmcnt(0)
	v_cmp_gt_i32_e32 vcc_lo, s0, v1
	s_and_saveexec_b32 s0, vcc_lo
	s_cbranch_execz .LBB25_23
; %bb.6:
	s_load_dwordx8 s[8:15], s[4:5], 0x10
	v_ashrrev_i32_e32 v2, 31, v1
	v_and_b32_e32 v0, 3, v0
	s_cmp_lg_u32 s1, 0
	v_lshlrev_b64 v[2:3], 2, v[1:2]
	s_waitcnt lgkmcnt(0)
	v_add_co_u32 v2, vcc_lo, s8, v2
	v_add_co_ci_u32_e64 v3, null, s9, v3, vcc_lo
	global_load_dwordx2 v[2:3], v[2:3], off
	s_waitcnt vmcnt(0)
	v_subrev_nc_u32_e32 v2, s18, v2
	v_subrev_nc_u32_e32 v12, s18, v3
	v_add_nc_u32_e32 v2, v2, v0
	v_cmp_lt_i32_e64 s0, v2, v12
	s_cbranch_scc0 .LBB25_12
; %bb.7:
	v_mov_b32_e32 v9, 0
	v_mov_b32_e32 v10, 0
	;; [unrolled: 1-line block ×3, first 2 shown]
	s_and_saveexec_b32 s1, s0
	s_cbranch_execz .LBB25_11
; %bb.8:
	v_mad_u64_u32 v[3:4], null, v2, 21, 20
	v_mov_b32_e32 v6, 0
	v_mov_b32_e32 v7, v2
	;; [unrolled: 1-line block ×5, first 2 shown]
	s_mov_b32 s3, 0
.LBB25_9:                               ; =>This Inner Loop Header: Depth=1
	v_ashrrev_i32_e32 v8, 31, v7
	v_mov_b32_e32 v14, v6
	v_lshlrev_b64 v[4:5], 2, v[7:8]
	v_add_nc_u32_e32 v7, 4, v7
	v_add_co_u32 v4, vcc_lo, s10, v4
	v_add_co_ci_u32_e64 v5, null, s11, v5, vcc_lo
	global_load_dword v8, v[4:5], off
	v_subrev_nc_u32_e32 v5, 20, v3
	v_mov_b32_e32 v4, v6
	v_lshlrev_b64 v[15:16], 2, v[5:6]
	v_subrev_nc_u32_e32 v5, 19, v3
	v_lshlrev_b64 v[17:18], 2, v[3:4]
	v_lshlrev_b64 v[19:20], 2, v[5:6]
	v_subrev_nc_u32_e32 v5, 18, v3
	v_add_co_u32 v15, vcc_lo, s12, v15
	v_add_co_ci_u32_e64 v16, null, s13, v16, vcc_lo
	v_add_co_u32 v17, vcc_lo, s12, v17
	v_lshlrev_b64 v[21:22], 2, v[5:6]
	v_subrev_nc_u32_e32 v5, 17, v3
	v_add_co_ci_u32_e64 v18, null, s13, v18, vcc_lo
	v_add_co_u32 v19, vcc_lo, s12, v19
	v_add_co_ci_u32_e64 v20, null, s13, v20, vcc_lo
	v_lshlrev_b64 v[4:5], 2, v[5:6]
	s_clause 0x1
	global_load_dword v23, v[15:16], off
	global_load_dword v24, v[19:20], off
	v_add_co_u32 v15, vcc_lo, s12, v21
	v_add_co_ci_u32_e64 v16, null, s13, v22, vcc_lo
	v_add_co_u32 v4, vcc_lo, s12, v4
	v_add_co_ci_u32_e64 v5, null, s13, v5, vcc_lo
	s_clause 0x1
	global_load_dword v25, v[15:16], off
	global_load_dword v26, v[4:5], off
	s_waitcnt vmcnt(4)
	v_subrev_nc_u32_e32 v4, s18, v8
	v_mul_lo_u32 v13, v4, 7
	v_add_nc_u32_e32 v5, 1, v13
	v_lshlrev_b64 v[14:15], 2, v[13:14]
	v_lshlrev_b64 v[19:20], 2, v[5:6]
	v_add_nc_u32_e32 v5, -16, v3
	v_add_co_u32 v14, vcc_lo, s14, v14
	v_add_co_ci_u32_e64 v15, null, s15, v15, vcc_lo
	v_add_co_u32 v19, vcc_lo, s14, v19
	v_lshlrev_b64 v[21:22], 2, v[5:6]
	v_add_nc_u32_e32 v5, -15, v3
	v_add_co_ci_u32_e64 v20, null, s15, v20, vcc_lo
	s_clause 0x1
	global_load_dword v8, v[14:15], off
	global_load_dword v27, v[19:20], off
	v_lshlrev_b64 v[14:15], 2, v[5:6]
	v_add_nc_u32_e32 v5, -14, v3
	v_add_co_u32 v19, vcc_lo, s12, v21
	v_add_co_ci_u32_e64 v20, null, s13, v22, vcc_lo
	v_add_co_u32 v14, vcc_lo, s12, v14
	v_lshlrev_b64 v[21:22], 2, v[5:6]
	v_add_nc_u32_e32 v5, 2, v13
	v_add_co_ci_u32_e64 v15, null, s13, v15, vcc_lo
	s_clause 0x1
	global_load_dword v28, v[19:20], off
	global_load_dword v29, v[14:15], off
	v_lshlrev_b64 v[19:20], 2, v[5:6]
	v_add_nc_u32_e32 v5, -13, v3
	v_add_co_u32 v14, vcc_lo, s12, v21
	v_add_co_ci_u32_e64 v15, null, s13, v22, vcc_lo
	v_lshlrev_b64 v[21:22], 2, v[5:6]
	v_add_nc_u32_e32 v5, -12, v3
	v_add_co_u32 v19, vcc_lo, s14, v19
	v_add_co_ci_u32_e64 v20, null, s15, v20, vcc_lo
	global_load_dword v30, v[14:15], off
	v_lshlrev_b64 v[14:15], 2, v[5:6]
	v_add_nc_u32_e32 v5, -11, v3
	global_load_dword v31, v[19:20], off
	v_add_co_u32 v19, vcc_lo, s12, v21
	v_add_co_ci_u32_e64 v20, null, s13, v22, vcc_lo
	v_add_co_u32 v14, vcc_lo, s12, v14
	v_lshlrev_b64 v[21:22], 2, v[5:6]
	v_add_nc_u32_e32 v5, 3, v13
	v_add_co_ci_u32_e64 v15, null, s13, v15, vcc_lo
	s_clause 0x1
	global_load_dword v32, v[19:20], off
	global_load_dword v33, v[14:15], off
	v_lshlrev_b64 v[19:20], 2, v[5:6]
	v_add_nc_u32_e32 v5, -10, v3
	v_add_co_u32 v14, vcc_lo, s12, v21
	v_add_co_ci_u32_e64 v15, null, s13, v22, vcc_lo
	v_lshlrev_b64 v[21:22], 2, v[5:6]
	v_add_nc_u32_e32 v5, -9, v3
	v_add_co_u32 v19, vcc_lo, s14, v19
	v_add_co_ci_u32_e64 v20, null, s15, v20, vcc_lo
	global_load_dword v34, v[14:15], off
	v_lshlrev_b64 v[14:15], 2, v[5:6]
	v_add_nc_u32_e32 v5, -8, v3
	global_load_dword v35, v[19:20], off
	;; [unrolled: 21-line block ×4, first 2 shown]
	v_add_co_u32 v19, vcc_lo, s12, v21
	v_add_co_ci_u32_e64 v20, null, s13, v22, vcc_lo
	v_lshlrev_b64 v[21:22], 2, v[5:6]
	v_add_nc_u32_e32 v5, 6, v13
	v_add_co_u32 v13, vcc_lo, s12, v14
	v_add_co_ci_u32_e64 v14, null, s13, v15, vcc_lo
	v_lshlrev_b64 v[15:16], 2, v[5:6]
	v_add_nc_u32_e32 v5, -1, v3
	s_clause 0x1
	global_load_dword v19, v[19:20], off
	global_load_dword v20, v[13:14], off
	v_add_co_u32 v13, vcc_lo, s12, v21
	v_lshlrev_b64 v[4:5], 2, v[5:6]
	v_add_co_ci_u32_e64 v14, null, s13, v22, vcc_lo
	v_add_co_u32 v15, vcc_lo, s14, v15
	v_add_co_ci_u32_e64 v16, null, s15, v16, vcc_lo
	v_add_co_u32 v4, vcc_lo, s12, v4
	v_add_co_ci_u32_e64 v5, null, s13, v5, vcc_lo
	global_load_dword v13, v[13:14], off
	global_load_dword v14, v[15:16], off
	s_clause 0x1
	global_load_dword v4, v[4:5], off
	global_load_dword v5, v[17:18], off
	v_cmp_ge_i32_e32 vcc_lo, v7, v12
	v_add_nc_u32_e32 v3, 0x54, v3
	s_or_b32 s3, vcc_lo, s3
	s_waitcnt vmcnt(23)
	v_fmac_f32_e32 v9, v23, v8
	v_fmac_f32_e32 v11, v24, v8
	v_fmac_f32_e32 v10, v25, v8
	s_waitcnt vmcnt(22)
	v_fmac_f32_e32 v9, v26, v27
	s_waitcnt vmcnt(21)
	v_fmac_f32_e32 v11, v28, v27
	;; [unrolled: 2-line block ×18, first 2 shown]
	s_andn2_b32 exec_lo, exec_lo, s3
	s_cbranch_execnz .LBB25_9
; %bb.10:
	s_or_b32 exec_lo, exec_lo, s3
.LBB25_11:
	s_or_b32 exec_lo, exec_lo, s1
	s_cbranch_execz .LBB25_13
	s_branch .LBB25_18
.LBB25_12:
                                        ; implicit-def: $vgpr9
                                        ; implicit-def: $vgpr10
                                        ; implicit-def: $vgpr11
.LBB25_13:
	v_mov_b32_e32 v9, 0
	v_mov_b32_e32 v10, 0
	;; [unrolled: 1-line block ×3, first 2 shown]
	s_and_saveexec_b32 s1, s0
	s_cbranch_execz .LBB25_17
; %bb.14:
	v_mad_u64_u32 v[4:5], null, v2, 21, 20
	v_mov_b32_e32 v7, 0
	v_mov_b32_e32 v9, 0
	;; [unrolled: 1-line block ×4, first 2 shown]
	s_mov_b32 s0, 0
.LBB25_15:                              ; =>This Inner Loop Header: Depth=1
	v_ashrrev_i32_e32 v3, 31, v2
	v_add_nc_u32_e32 v13, -13, v4
	v_mov_b32_e32 v14, v7
	v_add_nc_u32_e32 v15, -6, v4
	v_mov_b32_e32 v16, v7
	v_lshlrev_b64 v[5:6], 2, v[2:3]
	v_mov_b32_e32 v17, v7
	v_lshlrev_b64 v[13:14], 2, v[13:14]
	v_add_nc_u32_e32 v2, 4, v2
	v_lshlrev_b64 v[15:16], 2, v[15:16]
	v_add_co_u32 v5, vcc_lo, s10, v5
	v_add_co_ci_u32_e64 v6, null, s11, v6, vcc_lo
	global_load_dword v3, v[5:6], off
	v_subrev_nc_u32_e32 v6, 20, v4
	v_mov_b32_e32 v5, v7
	v_lshlrev_b64 v[18:19], 2, v[6:7]
	v_subrev_nc_u32_e32 v6, 19, v4
	v_lshlrev_b64 v[20:21], 2, v[4:5]
	v_lshlrev_b64 v[5:6], 2, v[6:7]
	v_add_co_u32 v18, vcc_lo, s12, v18
	v_add_co_ci_u32_e64 v19, null, s13, v19, vcc_lo
	v_add_co_u32 v13, vcc_lo, s12, v13
	v_add_co_ci_u32_e64 v14, null, s13, v14, vcc_lo
	;; [unrolled: 2-line block ×5, first 2 shown]
	s_clause 0x3
	global_load_dword v8, v[18:19], off
	global_load_dword v19, v[13:14], off
	;; [unrolled: 1-line block ×4, first 2 shown]
	s_waitcnt vmcnt(4)
	v_subrev_nc_u32_e32 v3, s18, v3
	v_mul_lo_u32 v16, v3, 7
	v_add_nc_u32_e32 v6, 1, v16
	v_lshlrev_b64 v[13:14], 2, v[16:17]
	v_lshlrev_b64 v[17:18], 2, v[6:7]
	v_add_nc_u32_e32 v6, -12, v4
	v_add_co_u32 v13, vcc_lo, s14, v13
	v_add_co_ci_u32_e64 v14, null, s15, v14, vcc_lo
	v_add_co_u32 v17, vcc_lo, s14, v17
	v_lshlrev_b64 v[22:23], 2, v[6:7]
	v_add_nc_u32_e32 v6, -5, v4
	v_add_co_ci_u32_e64 v18, null, s15, v18, vcc_lo
	s_clause 0x1
	global_load_dword v3, v[13:14], off
	global_load_dword v26, v[17:18], off
	v_lshlrev_b64 v[13:14], 2, v[6:7]
	v_subrev_nc_u32_e32 v6, 18, v4
	v_add_co_u32 v17, vcc_lo, s12, v22
	v_add_co_ci_u32_e64 v18, null, s13, v23, vcc_lo
	v_add_co_u32 v13, vcc_lo, s12, v13
	v_lshlrev_b64 v[22:23], 2, v[6:7]
	v_add_nc_u32_e32 v6, 2, v16
	v_add_co_ci_u32_e64 v14, null, s13, v14, vcc_lo
	s_clause 0x1
	global_load_dword v27, v[17:18], off
	global_load_dword v28, v[13:14], off
	v_lshlrev_b64 v[17:18], 2, v[6:7]
	v_add_nc_u32_e32 v6, -11, v4
	v_add_co_u32 v13, vcc_lo, s12, v22
	v_add_co_ci_u32_e64 v14, null, s13, v23, vcc_lo
	v_lshlrev_b64 v[22:23], 2, v[6:7]
	v_add_nc_u32_e32 v6, -4, v4
	v_add_co_u32 v17, vcc_lo, s14, v17
	v_add_co_ci_u32_e64 v18, null, s15, v18, vcc_lo
	global_load_dword v29, v[13:14], off
	v_lshlrev_b64 v[13:14], 2, v[6:7]
	v_subrev_nc_u32_e32 v6, 17, v4
	global_load_dword v30, v[17:18], off
	v_add_co_u32 v17, vcc_lo, s12, v22
	v_add_co_ci_u32_e64 v18, null, s13, v23, vcc_lo
	v_add_co_u32 v13, vcc_lo, s12, v13
	v_lshlrev_b64 v[22:23], 2, v[6:7]
	v_add_nc_u32_e32 v6, 3, v16
	v_add_co_ci_u32_e64 v14, null, s13, v14, vcc_lo
	s_clause 0x1
	global_load_dword v31, v[17:18], off
	global_load_dword v32, v[13:14], off
	v_lshlrev_b64 v[17:18], 2, v[6:7]
	v_add_nc_u32_e32 v6, -10, v4
	v_add_co_u32 v13, vcc_lo, s12, v22
	v_add_co_ci_u32_e64 v14, null, s13, v23, vcc_lo
	v_lshlrev_b64 v[22:23], 2, v[6:7]
	v_add_nc_u32_e32 v6, -3, v4
	v_add_co_u32 v17, vcc_lo, s14, v17
	v_add_co_ci_u32_e64 v18, null, s15, v18, vcc_lo
	global_load_dword v33, v[13:14], off
	v_lshlrev_b64 v[13:14], 2, v[6:7]
	v_add_nc_u32_e32 v6, -16, v4
	global_load_dword v34, v[17:18], off
	v_add_co_u32 v17, vcc_lo, s12, v22
	v_add_co_ci_u32_e64 v18, null, s13, v23, vcc_lo
	v_add_co_u32 v13, vcc_lo, s12, v13
	v_lshlrev_b64 v[22:23], 2, v[6:7]
	v_add_nc_u32_e32 v6, 4, v16
	v_add_co_ci_u32_e64 v14, null, s13, v14, vcc_lo
	s_clause 0x1
	global_load_dword v35, v[17:18], off
	global_load_dword v36, v[13:14], off
	v_lshlrev_b64 v[17:18], 2, v[6:7]
	v_add_nc_u32_e32 v6, -9, v4
	v_add_co_u32 v13, vcc_lo, s12, v22
	v_add_co_ci_u32_e64 v14, null, s13, v23, vcc_lo
	v_lshlrev_b64 v[22:23], 2, v[6:7]
	v_add_nc_u32_e32 v6, -2, v4
	v_add_co_u32 v17, vcc_lo, s14, v17
	v_add_co_ci_u32_e64 v18, null, s15, v18, vcc_lo
	global_load_dword v37, v[13:14], off
	v_lshlrev_b64 v[13:14], 2, v[6:7]
	v_add_nc_u32_e32 v6, -15, v4
	;; [unrolled: 21-line block ×3, first 2 shown]
	global_load_dword v42, v[17:18], off
	v_add_co_u32 v17, vcc_lo, s12, v22
	v_add_co_ci_u32_e64 v18, null, s13, v23, vcc_lo
	v_lshlrev_b64 v[22:23], 2, v[6:7]
	v_add_nc_u32_e32 v6, 6, v16
	v_add_co_u32 v13, vcc_lo, s12, v13
	v_add_co_ci_u32_e64 v14, null, s13, v14, vcc_lo
	v_lshlrev_b64 v[15:16], 2, v[6:7]
	v_add_nc_u32_e32 v6, -7, v4
	s_clause 0x1
	global_load_dword v17, v[17:18], off
	global_load_dword v18, v[13:14], off
	v_add_co_u32 v13, vcc_lo, s12, v22
	v_lshlrev_b64 v[5:6], 2, v[6:7]
	v_add_co_ci_u32_e64 v14, null, s13, v23, vcc_lo
	v_add_co_u32 v15, vcc_lo, s14, v15
	v_add_co_ci_u32_e64 v16, null, s15, v16, vcc_lo
	v_add_co_u32 v5, vcc_lo, s12, v5
	v_add_co_ci_u32_e64 v6, null, s13, v6, vcc_lo
	global_load_dword v13, v[13:14], off
	global_load_dword v14, v[15:16], off
	s_clause 0x1
	global_load_dword v5, v[5:6], off
	global_load_dword v6, v[20:21], off
	v_cmp_ge_i32_e32 vcc_lo, v2, v12
	v_add_nc_u32_e32 v4, 0x54, v4
	s_or_b32 s0, vcc_lo, s0
	s_waitcnt vmcnt(23)
	v_fmac_f32_e32 v9, v8, v3
	v_fmac_f32_e32 v11, v19, v3
	;; [unrolled: 1-line block ×3, first 2 shown]
	s_waitcnt vmcnt(22)
	v_fmac_f32_e32 v9, v25, v26
	s_waitcnt vmcnt(21)
	v_fmac_f32_e32 v11, v27, v26
	;; [unrolled: 2-line block ×18, first 2 shown]
	s_andn2_b32 exec_lo, exec_lo, s0
	s_cbranch_execnz .LBB25_15
; %bb.16:
	s_or_b32 exec_lo, exec_lo, s0
.LBB25_17:
	s_or_b32 exec_lo, exec_lo, s1
.LBB25_18:
	v_mbcnt_lo_u32_b32 v2, -1, 0
	s_mov_b32 s3, -1
	v_xor_b32_e32 v3, 2, v2
	v_cmp_gt_i32_e32 vcc_lo, 32, v3
	v_cndmask_b32_e32 v3, v2, v3, vcc_lo
	v_lshlrev_b32_e32 v3, 2, v3
	ds_bpermute_b32 v4, v3, v9
	ds_bpermute_b32 v5, v3, v11
	;; [unrolled: 1-line block ×3, first 2 shown]
	v_xor_b32_e32 v3, 1, v2
	v_cmp_gt_i32_e32 vcc_lo, 32, v3
	v_cndmask_b32_e32 v2, v2, v3, vcc_lo
	v_cmp_eq_u32_e32 vcc_lo, 3, v0
	v_lshlrev_b32_e32 v7, 2, v2
	s_waitcnt lgkmcnt(2)
	v_add_f32_e32 v2, v9, v4
	s_waitcnt lgkmcnt(1)
	v_add_f32_e32 v3, v11, v5
	;; [unrolled: 2-line block ×3, first 2 shown]
	ds_bpermute_b32 v5, v7, v2
	ds_bpermute_b32 v6, v7, v3
	;; [unrolled: 1-line block ×3, first 2 shown]
	s_and_b32 exec_lo, exec_lo, vcc_lo
	s_cbranch_execz .LBB25_23
; %bb.19:
	s_load_dwordx2 s[0:1], s[4:5], 0x38
	s_waitcnt lgkmcnt(0)
	v_add_f32_e32 v0, v2, v5
	v_add_f32_e32 v2, v3, v6
	;; [unrolled: 1-line block ×3, first 2 shown]
	v_lshl_add_u32 v3, v1, 1, v1
	v_cmp_eq_f32_e64 s4, s2, 0
	v_mul_f32_e32 v0, s16, v0
	v_mul_f32_e32 v1, s16, v2
	v_mul_f32_e32 v2, s16, v4
	v_ashrrev_i32_e32 v4, 31, v3
	s_and_b32 vcc_lo, exec_lo, s4
	s_cbranch_vccz .LBB25_21
; %bb.20:
	v_lshlrev_b64 v[5:6], 2, v[3:4]
	s_mov_b32 s3, 0
	v_add_co_u32 v5, vcc_lo, s0, v5
	v_add_co_ci_u32_e64 v6, null, s1, v6, vcc_lo
	global_store_dwordx3 v[5:6], v[0:2], off
.LBB25_21:
	s_andn2_b32 vcc_lo, exec_lo, s3
	s_cbranch_vccnz .LBB25_23
; %bb.22:
	v_lshlrev_b64 v[3:4], 2, v[3:4]
	v_add_co_u32 v6, vcc_lo, s0, v3
	v_add_co_ci_u32_e64 v7, null, s1, v4, vcc_lo
	global_load_dwordx3 v[3:5], v[6:7], off
	s_waitcnt vmcnt(0)
	v_fmac_f32_e32 v0, s2, v3
	v_fmac_f32_e32 v1, s2, v4
	;; [unrolled: 1-line block ×3, first 2 shown]
	global_store_dwordx3 v[6:7], v[0:2], off
.LBB25_23:
	s_endpgm
	.section	.rodata,"a",@progbits
	.p2align	6, 0x0
	.amdhsa_kernel _ZN9rocsparseL19gebsrmvn_3xn_kernelILj128ELj7ELj4EfEEvi20rocsparse_direction_NS_24const_host_device_scalarIT2_EEPKiS6_PKS3_S8_S4_PS3_21rocsparse_index_base_b
		.amdhsa_group_segment_fixed_size 0
		.amdhsa_private_segment_fixed_size 0
		.amdhsa_kernarg_size 72
		.amdhsa_user_sgpr_count 6
		.amdhsa_user_sgpr_private_segment_buffer 1
		.amdhsa_user_sgpr_dispatch_ptr 0
		.amdhsa_user_sgpr_queue_ptr 0
		.amdhsa_user_sgpr_kernarg_segment_ptr 1
		.amdhsa_user_sgpr_dispatch_id 0
		.amdhsa_user_sgpr_flat_scratch_init 0
		.amdhsa_user_sgpr_private_segment_size 0
		.amdhsa_wavefront_size32 1
		.amdhsa_uses_dynamic_stack 0
		.amdhsa_system_sgpr_private_segment_wavefront_offset 0
		.amdhsa_system_sgpr_workgroup_id_x 1
		.amdhsa_system_sgpr_workgroup_id_y 0
		.amdhsa_system_sgpr_workgroup_id_z 0
		.amdhsa_system_sgpr_workgroup_info 0
		.amdhsa_system_vgpr_workitem_id 0
		.amdhsa_next_free_vgpr 44
		.amdhsa_next_free_sgpr 20
		.amdhsa_reserve_vcc 1
		.amdhsa_reserve_flat_scratch 0
		.amdhsa_float_round_mode_32 0
		.amdhsa_float_round_mode_16_64 0
		.amdhsa_float_denorm_mode_32 3
		.amdhsa_float_denorm_mode_16_64 3
		.amdhsa_dx10_clamp 1
		.amdhsa_ieee_mode 1
		.amdhsa_fp16_overflow 0
		.amdhsa_workgroup_processor_mode 1
		.amdhsa_memory_ordered 1
		.amdhsa_forward_progress 1
		.amdhsa_shared_vgpr_count 0
		.amdhsa_exception_fp_ieee_invalid_op 0
		.amdhsa_exception_fp_denorm_src 0
		.amdhsa_exception_fp_ieee_div_zero 0
		.amdhsa_exception_fp_ieee_overflow 0
		.amdhsa_exception_fp_ieee_underflow 0
		.amdhsa_exception_fp_ieee_inexact 0
		.amdhsa_exception_int_div_zero 0
	.end_amdhsa_kernel
	.section	.text._ZN9rocsparseL19gebsrmvn_3xn_kernelILj128ELj7ELj4EfEEvi20rocsparse_direction_NS_24const_host_device_scalarIT2_EEPKiS6_PKS3_S8_S4_PS3_21rocsparse_index_base_b,"axG",@progbits,_ZN9rocsparseL19gebsrmvn_3xn_kernelILj128ELj7ELj4EfEEvi20rocsparse_direction_NS_24const_host_device_scalarIT2_EEPKiS6_PKS3_S8_S4_PS3_21rocsparse_index_base_b,comdat
.Lfunc_end25:
	.size	_ZN9rocsparseL19gebsrmvn_3xn_kernelILj128ELj7ELj4EfEEvi20rocsparse_direction_NS_24const_host_device_scalarIT2_EEPKiS6_PKS3_S8_S4_PS3_21rocsparse_index_base_b, .Lfunc_end25-_ZN9rocsparseL19gebsrmvn_3xn_kernelILj128ELj7ELj4EfEEvi20rocsparse_direction_NS_24const_host_device_scalarIT2_EEPKiS6_PKS3_S8_S4_PS3_21rocsparse_index_base_b
                                        ; -- End function
	.set _ZN9rocsparseL19gebsrmvn_3xn_kernelILj128ELj7ELj4EfEEvi20rocsparse_direction_NS_24const_host_device_scalarIT2_EEPKiS6_PKS3_S8_S4_PS3_21rocsparse_index_base_b.num_vgpr, 44
	.set _ZN9rocsparseL19gebsrmvn_3xn_kernelILj128ELj7ELj4EfEEvi20rocsparse_direction_NS_24const_host_device_scalarIT2_EEPKiS6_PKS3_S8_S4_PS3_21rocsparse_index_base_b.num_agpr, 0
	.set _ZN9rocsparseL19gebsrmvn_3xn_kernelILj128ELj7ELj4EfEEvi20rocsparse_direction_NS_24const_host_device_scalarIT2_EEPKiS6_PKS3_S8_S4_PS3_21rocsparse_index_base_b.numbered_sgpr, 20
	.set _ZN9rocsparseL19gebsrmvn_3xn_kernelILj128ELj7ELj4EfEEvi20rocsparse_direction_NS_24const_host_device_scalarIT2_EEPKiS6_PKS3_S8_S4_PS3_21rocsparse_index_base_b.num_named_barrier, 0
	.set _ZN9rocsparseL19gebsrmvn_3xn_kernelILj128ELj7ELj4EfEEvi20rocsparse_direction_NS_24const_host_device_scalarIT2_EEPKiS6_PKS3_S8_S4_PS3_21rocsparse_index_base_b.private_seg_size, 0
	.set _ZN9rocsparseL19gebsrmvn_3xn_kernelILj128ELj7ELj4EfEEvi20rocsparse_direction_NS_24const_host_device_scalarIT2_EEPKiS6_PKS3_S8_S4_PS3_21rocsparse_index_base_b.uses_vcc, 1
	.set _ZN9rocsparseL19gebsrmvn_3xn_kernelILj128ELj7ELj4EfEEvi20rocsparse_direction_NS_24const_host_device_scalarIT2_EEPKiS6_PKS3_S8_S4_PS3_21rocsparse_index_base_b.uses_flat_scratch, 0
	.set _ZN9rocsparseL19gebsrmvn_3xn_kernelILj128ELj7ELj4EfEEvi20rocsparse_direction_NS_24const_host_device_scalarIT2_EEPKiS6_PKS3_S8_S4_PS3_21rocsparse_index_base_b.has_dyn_sized_stack, 0
	.set _ZN9rocsparseL19gebsrmvn_3xn_kernelILj128ELj7ELj4EfEEvi20rocsparse_direction_NS_24const_host_device_scalarIT2_EEPKiS6_PKS3_S8_S4_PS3_21rocsparse_index_base_b.has_recursion, 0
	.set _ZN9rocsparseL19gebsrmvn_3xn_kernelILj128ELj7ELj4EfEEvi20rocsparse_direction_NS_24const_host_device_scalarIT2_EEPKiS6_PKS3_S8_S4_PS3_21rocsparse_index_base_b.has_indirect_call, 0
	.section	.AMDGPU.csdata,"",@progbits
; Kernel info:
; codeLenInByte = 3220
; TotalNumSgprs: 22
; NumVgprs: 44
; ScratchSize: 0
; MemoryBound: 0
; FloatMode: 240
; IeeeMode: 1
; LDSByteSize: 0 bytes/workgroup (compile time only)
; SGPRBlocks: 0
; VGPRBlocks: 5
; NumSGPRsForWavesPerEU: 22
; NumVGPRsForWavesPerEU: 44
; Occupancy: 16
; WaveLimiterHint : 1
; COMPUTE_PGM_RSRC2:SCRATCH_EN: 0
; COMPUTE_PGM_RSRC2:USER_SGPR: 6
; COMPUTE_PGM_RSRC2:TRAP_HANDLER: 0
; COMPUTE_PGM_RSRC2:TGID_X_EN: 1
; COMPUTE_PGM_RSRC2:TGID_Y_EN: 0
; COMPUTE_PGM_RSRC2:TGID_Z_EN: 0
; COMPUTE_PGM_RSRC2:TIDIG_COMP_CNT: 0
	.section	.text._ZN9rocsparseL19gebsrmvn_3xn_kernelILj128ELj7ELj8EfEEvi20rocsparse_direction_NS_24const_host_device_scalarIT2_EEPKiS6_PKS3_S8_S4_PS3_21rocsparse_index_base_b,"axG",@progbits,_ZN9rocsparseL19gebsrmvn_3xn_kernelILj128ELj7ELj8EfEEvi20rocsparse_direction_NS_24const_host_device_scalarIT2_EEPKiS6_PKS3_S8_S4_PS3_21rocsparse_index_base_b,comdat
	.globl	_ZN9rocsparseL19gebsrmvn_3xn_kernelILj128ELj7ELj8EfEEvi20rocsparse_direction_NS_24const_host_device_scalarIT2_EEPKiS6_PKS3_S8_S4_PS3_21rocsparse_index_base_b ; -- Begin function _ZN9rocsparseL19gebsrmvn_3xn_kernelILj128ELj7ELj8EfEEvi20rocsparse_direction_NS_24const_host_device_scalarIT2_EEPKiS6_PKS3_S8_S4_PS3_21rocsparse_index_base_b
	.p2align	8
	.type	_ZN9rocsparseL19gebsrmvn_3xn_kernelILj128ELj7ELj8EfEEvi20rocsparse_direction_NS_24const_host_device_scalarIT2_EEPKiS6_PKS3_S8_S4_PS3_21rocsparse_index_base_b,@function
_ZN9rocsparseL19gebsrmvn_3xn_kernelILj128ELj7ELj8EfEEvi20rocsparse_direction_NS_24const_host_device_scalarIT2_EEPKiS6_PKS3_S8_S4_PS3_21rocsparse_index_base_b: ; @_ZN9rocsparseL19gebsrmvn_3xn_kernelILj128ELj7ELj8EfEEvi20rocsparse_direction_NS_24const_host_device_scalarIT2_EEPKiS6_PKS3_S8_S4_PS3_21rocsparse_index_base_b
; %bb.0:
	s_clause 0x2
	s_load_dwordx2 s[18:19], s[4:5], 0x40
	s_load_dwordx2 s[16:17], s[4:5], 0x8
	;; [unrolled: 1-line block ×3, first 2 shown]
	s_waitcnt lgkmcnt(0)
	s_bitcmp1_b32 s19, 0
	s_cselect_b32 s0, -1, 0
	s_and_b32 vcc_lo, exec_lo, s0
	s_xor_b32 s0, s0, -1
	s_cbranch_vccnz .LBB26_2
; %bb.1:
	s_load_dword s16, s[16:17], 0x0
.LBB26_2:
	s_andn2_b32 vcc_lo, exec_lo, s0
	s_cbranch_vccnz .LBB26_4
; %bb.3:
	s_load_dword s2, s[2:3], 0x0
.LBB26_4:
	s_waitcnt lgkmcnt(0)
	v_cmp_eq_f32_e64 s0, s16, 0
	v_cmp_eq_f32_e64 s1, s2, 1.0
	s_and_b32 s0, s0, s1
	s_and_b32 vcc_lo, exec_lo, s0
	s_cbranch_vccnz .LBB26_23
; %bb.5:
	s_load_dwordx2 s[0:1], s[4:5], 0x0
	v_lshrrev_b32_e32 v1, 3, v0
	v_lshl_or_b32 v1, s6, 4, v1
	s_waitcnt lgkmcnt(0)
	v_cmp_gt_i32_e32 vcc_lo, s0, v1
	s_and_saveexec_b32 s0, vcc_lo
	s_cbranch_execz .LBB26_23
; %bb.6:
	s_load_dwordx8 s[8:15], s[4:5], 0x10
	v_ashrrev_i32_e32 v2, 31, v1
	v_and_b32_e32 v0, 7, v0
	s_cmp_lg_u32 s1, 0
	v_lshlrev_b64 v[2:3], 2, v[1:2]
	s_waitcnt lgkmcnt(0)
	v_add_co_u32 v2, vcc_lo, s8, v2
	v_add_co_ci_u32_e64 v3, null, s9, v3, vcc_lo
	global_load_dwordx2 v[2:3], v[2:3], off
	s_waitcnt vmcnt(0)
	v_subrev_nc_u32_e32 v2, s18, v2
	v_subrev_nc_u32_e32 v12, s18, v3
	v_add_nc_u32_e32 v2, v2, v0
	v_cmp_lt_i32_e64 s0, v2, v12
	s_cbranch_scc0 .LBB26_12
; %bb.7:
	v_mov_b32_e32 v9, 0
	v_mov_b32_e32 v10, 0
	;; [unrolled: 1-line block ×3, first 2 shown]
	s_and_saveexec_b32 s1, s0
	s_cbranch_execz .LBB26_11
; %bb.8:
	v_mad_u64_u32 v[3:4], null, v2, 21, 20
	v_mov_b32_e32 v6, 0
	v_mov_b32_e32 v7, v2
	;; [unrolled: 1-line block ×5, first 2 shown]
	s_mov_b32 s3, 0
.LBB26_9:                               ; =>This Inner Loop Header: Depth=1
	v_ashrrev_i32_e32 v8, 31, v7
	v_mov_b32_e32 v14, v6
	v_lshlrev_b64 v[4:5], 2, v[7:8]
	v_add_nc_u32_e32 v7, 8, v7
	v_add_co_u32 v4, vcc_lo, s10, v4
	v_add_co_ci_u32_e64 v5, null, s11, v5, vcc_lo
	global_load_dword v8, v[4:5], off
	v_subrev_nc_u32_e32 v5, 20, v3
	v_mov_b32_e32 v4, v6
	v_lshlrev_b64 v[15:16], 2, v[5:6]
	v_subrev_nc_u32_e32 v5, 19, v3
	v_lshlrev_b64 v[17:18], 2, v[3:4]
	v_lshlrev_b64 v[19:20], 2, v[5:6]
	v_subrev_nc_u32_e32 v5, 18, v3
	v_add_co_u32 v15, vcc_lo, s12, v15
	v_add_co_ci_u32_e64 v16, null, s13, v16, vcc_lo
	v_add_co_u32 v17, vcc_lo, s12, v17
	v_lshlrev_b64 v[21:22], 2, v[5:6]
	v_subrev_nc_u32_e32 v5, 17, v3
	v_add_co_ci_u32_e64 v18, null, s13, v18, vcc_lo
	v_add_co_u32 v19, vcc_lo, s12, v19
	v_add_co_ci_u32_e64 v20, null, s13, v20, vcc_lo
	v_lshlrev_b64 v[4:5], 2, v[5:6]
	s_clause 0x1
	global_load_dword v23, v[15:16], off
	global_load_dword v24, v[19:20], off
	v_add_co_u32 v15, vcc_lo, s12, v21
	v_add_co_ci_u32_e64 v16, null, s13, v22, vcc_lo
	v_add_co_u32 v4, vcc_lo, s12, v4
	v_add_co_ci_u32_e64 v5, null, s13, v5, vcc_lo
	s_clause 0x1
	global_load_dword v25, v[15:16], off
	global_load_dword v26, v[4:5], off
	s_waitcnt vmcnt(4)
	v_subrev_nc_u32_e32 v4, s18, v8
	v_mul_lo_u32 v13, v4, 7
	v_add_nc_u32_e32 v5, 1, v13
	v_lshlrev_b64 v[14:15], 2, v[13:14]
	v_lshlrev_b64 v[19:20], 2, v[5:6]
	v_add_nc_u32_e32 v5, -16, v3
	v_add_co_u32 v14, vcc_lo, s14, v14
	v_add_co_ci_u32_e64 v15, null, s15, v15, vcc_lo
	v_add_co_u32 v19, vcc_lo, s14, v19
	v_lshlrev_b64 v[21:22], 2, v[5:6]
	v_add_nc_u32_e32 v5, -15, v3
	v_add_co_ci_u32_e64 v20, null, s15, v20, vcc_lo
	s_clause 0x1
	global_load_dword v8, v[14:15], off
	global_load_dword v27, v[19:20], off
	v_lshlrev_b64 v[14:15], 2, v[5:6]
	v_add_nc_u32_e32 v5, -14, v3
	v_add_co_u32 v19, vcc_lo, s12, v21
	v_add_co_ci_u32_e64 v20, null, s13, v22, vcc_lo
	v_add_co_u32 v14, vcc_lo, s12, v14
	v_lshlrev_b64 v[21:22], 2, v[5:6]
	v_add_nc_u32_e32 v5, 2, v13
	v_add_co_ci_u32_e64 v15, null, s13, v15, vcc_lo
	s_clause 0x1
	global_load_dword v28, v[19:20], off
	global_load_dword v29, v[14:15], off
	v_lshlrev_b64 v[19:20], 2, v[5:6]
	v_add_nc_u32_e32 v5, -13, v3
	v_add_co_u32 v14, vcc_lo, s12, v21
	v_add_co_ci_u32_e64 v15, null, s13, v22, vcc_lo
	v_lshlrev_b64 v[21:22], 2, v[5:6]
	v_add_nc_u32_e32 v5, -12, v3
	v_add_co_u32 v19, vcc_lo, s14, v19
	v_add_co_ci_u32_e64 v20, null, s15, v20, vcc_lo
	global_load_dword v30, v[14:15], off
	v_lshlrev_b64 v[14:15], 2, v[5:6]
	v_add_nc_u32_e32 v5, -11, v3
	global_load_dword v31, v[19:20], off
	v_add_co_u32 v19, vcc_lo, s12, v21
	v_add_co_ci_u32_e64 v20, null, s13, v22, vcc_lo
	v_add_co_u32 v14, vcc_lo, s12, v14
	v_lshlrev_b64 v[21:22], 2, v[5:6]
	v_add_nc_u32_e32 v5, 3, v13
	v_add_co_ci_u32_e64 v15, null, s13, v15, vcc_lo
	s_clause 0x1
	global_load_dword v32, v[19:20], off
	global_load_dword v33, v[14:15], off
	v_lshlrev_b64 v[19:20], 2, v[5:6]
	v_add_nc_u32_e32 v5, -10, v3
	v_add_co_u32 v14, vcc_lo, s12, v21
	v_add_co_ci_u32_e64 v15, null, s13, v22, vcc_lo
	v_lshlrev_b64 v[21:22], 2, v[5:6]
	v_add_nc_u32_e32 v5, -9, v3
	v_add_co_u32 v19, vcc_lo, s14, v19
	v_add_co_ci_u32_e64 v20, null, s15, v20, vcc_lo
	global_load_dword v34, v[14:15], off
	v_lshlrev_b64 v[14:15], 2, v[5:6]
	v_add_nc_u32_e32 v5, -8, v3
	global_load_dword v35, v[19:20], off
	v_add_co_u32 v19, vcc_lo, s12, v21
	v_add_co_ci_u32_e64 v20, null, s13, v22, vcc_lo
	v_add_co_u32 v14, vcc_lo, s12, v14
	v_lshlrev_b64 v[21:22], 2, v[5:6]
	v_add_nc_u32_e32 v5, 4, v13
	v_add_co_ci_u32_e64 v15, null, s13, v15, vcc_lo
	s_clause 0x1
	global_load_dword v36, v[19:20], off
	global_load_dword v37, v[14:15], off
	v_lshlrev_b64 v[19:20], 2, v[5:6]
	v_add_nc_u32_e32 v5, -7, v3
	v_add_co_u32 v14, vcc_lo, s12, v21
	v_add_co_ci_u32_e64 v15, null, s13, v22, vcc_lo
	v_lshlrev_b64 v[21:22], 2, v[5:6]
	v_add_nc_u32_e32 v5, -6, v3
	v_add_co_u32 v19, vcc_lo, s14, v19
	v_add_co_ci_u32_e64 v20, null, s15, v20, vcc_lo
	global_load_dword v38, v[14:15], off
	v_lshlrev_b64 v[14:15], 2, v[5:6]
	v_add_nc_u32_e32 v5, -5, v3
	global_load_dword v39, v[19:20], off
	v_add_co_u32 v19, vcc_lo, s12, v21
	v_add_co_ci_u32_e64 v20, null, s13, v22, vcc_lo
	v_add_co_u32 v14, vcc_lo, s12, v14
	v_lshlrev_b64 v[21:22], 2, v[5:6]
	v_add_nc_u32_e32 v5, 5, v13
	v_add_co_ci_u32_e64 v15, null, s13, v15, vcc_lo
	s_clause 0x1
	global_load_dword v40, v[19:20], off
	global_load_dword v41, v[14:15], off
	v_lshlrev_b64 v[19:20], 2, v[5:6]
	v_add_nc_u32_e32 v5, -4, v3
	v_add_co_u32 v14, vcc_lo, s12, v21
	v_add_co_ci_u32_e64 v15, null, s13, v22, vcc_lo
	v_lshlrev_b64 v[21:22], 2, v[5:6]
	v_add_nc_u32_e32 v5, -3, v3
	v_add_co_u32 v19, vcc_lo, s14, v19
	v_add_co_ci_u32_e64 v20, null, s15, v20, vcc_lo
	global_load_dword v42, v[14:15], off
	v_lshlrev_b64 v[14:15], 2, v[5:6]
	v_add_nc_u32_e32 v5, -2, v3
	global_load_dword v43, v[19:20], off
	v_add_co_u32 v19, vcc_lo, s12, v21
	v_add_co_ci_u32_e64 v20, null, s13, v22, vcc_lo
	v_lshlrev_b64 v[21:22], 2, v[5:6]
	v_add_nc_u32_e32 v5, 6, v13
	v_add_co_u32 v13, vcc_lo, s12, v14
	v_add_co_ci_u32_e64 v14, null, s13, v15, vcc_lo
	v_lshlrev_b64 v[15:16], 2, v[5:6]
	v_add_nc_u32_e32 v5, -1, v3
	s_clause 0x1
	global_load_dword v19, v[19:20], off
	global_load_dword v20, v[13:14], off
	v_add_co_u32 v13, vcc_lo, s12, v21
	v_lshlrev_b64 v[4:5], 2, v[5:6]
	v_add_co_ci_u32_e64 v14, null, s13, v22, vcc_lo
	v_add_co_u32 v15, vcc_lo, s14, v15
	v_add_co_ci_u32_e64 v16, null, s15, v16, vcc_lo
	v_add_co_u32 v4, vcc_lo, s12, v4
	v_add_co_ci_u32_e64 v5, null, s13, v5, vcc_lo
	global_load_dword v13, v[13:14], off
	global_load_dword v14, v[15:16], off
	s_clause 0x1
	global_load_dword v4, v[4:5], off
	global_load_dword v5, v[17:18], off
	v_cmp_ge_i32_e32 vcc_lo, v7, v12
	v_add_nc_u32_e32 v3, 0xa8, v3
	s_or_b32 s3, vcc_lo, s3
	s_waitcnt vmcnt(23)
	v_fmac_f32_e32 v9, v23, v8
	v_fmac_f32_e32 v11, v24, v8
	;; [unrolled: 1-line block ×3, first 2 shown]
	s_waitcnt vmcnt(22)
	v_fmac_f32_e32 v9, v26, v27
	s_waitcnt vmcnt(21)
	v_fmac_f32_e32 v11, v28, v27
	s_waitcnt vmcnt(20)
	v_fmac_f32_e32 v10, v29, v27
	s_waitcnt vmcnt(18)
	v_fmac_f32_e32 v9, v30, v31
	s_waitcnt vmcnt(17)
	v_fmac_f32_e32 v11, v32, v31
	s_waitcnt vmcnt(16)
	v_fmac_f32_e32 v10, v33, v31
	s_waitcnt vmcnt(14)
	v_fmac_f32_e32 v9, v34, v35
	s_waitcnt vmcnt(13)
	v_fmac_f32_e32 v11, v36, v35
	s_waitcnt vmcnt(12)
	v_fmac_f32_e32 v10, v37, v35
	s_waitcnt vmcnt(10)
	v_fmac_f32_e32 v9, v38, v39
	s_waitcnt vmcnt(9)
	v_fmac_f32_e32 v11, v40, v39
	s_waitcnt vmcnt(8)
	v_fmac_f32_e32 v10, v41, v39
	s_waitcnt vmcnt(6)
	v_fmac_f32_e32 v9, v42, v43
	s_waitcnt vmcnt(5)
	v_fmac_f32_e32 v11, v19, v43
	s_waitcnt vmcnt(4)
	v_fmac_f32_e32 v10, v20, v43
	s_waitcnt vmcnt(2)
	v_fmac_f32_e32 v9, v13, v14
	s_waitcnt vmcnt(1)
	v_fmac_f32_e32 v11, v4, v14
	s_waitcnt vmcnt(0)
	v_fmac_f32_e32 v10, v5, v14
	s_andn2_b32 exec_lo, exec_lo, s3
	s_cbranch_execnz .LBB26_9
; %bb.10:
	s_or_b32 exec_lo, exec_lo, s3
.LBB26_11:
	s_or_b32 exec_lo, exec_lo, s1
	s_cbranch_execz .LBB26_13
	s_branch .LBB26_18
.LBB26_12:
                                        ; implicit-def: $vgpr9
                                        ; implicit-def: $vgpr10
                                        ; implicit-def: $vgpr11
.LBB26_13:
	v_mov_b32_e32 v9, 0
	v_mov_b32_e32 v10, 0
	;; [unrolled: 1-line block ×3, first 2 shown]
	s_and_saveexec_b32 s1, s0
	s_cbranch_execz .LBB26_17
; %bb.14:
	v_mad_u64_u32 v[4:5], null, v2, 21, 20
	v_mov_b32_e32 v7, 0
	v_mov_b32_e32 v9, 0
	;; [unrolled: 1-line block ×4, first 2 shown]
	s_mov_b32 s0, 0
.LBB26_15:                              ; =>This Inner Loop Header: Depth=1
	v_ashrrev_i32_e32 v3, 31, v2
	v_add_nc_u32_e32 v13, -13, v4
	v_mov_b32_e32 v14, v7
	v_add_nc_u32_e32 v15, -6, v4
	v_mov_b32_e32 v16, v7
	v_lshlrev_b64 v[5:6], 2, v[2:3]
	v_mov_b32_e32 v17, v7
	v_lshlrev_b64 v[13:14], 2, v[13:14]
	v_add_nc_u32_e32 v2, 8, v2
	v_lshlrev_b64 v[15:16], 2, v[15:16]
	v_add_co_u32 v5, vcc_lo, s10, v5
	v_add_co_ci_u32_e64 v6, null, s11, v6, vcc_lo
	global_load_dword v3, v[5:6], off
	v_subrev_nc_u32_e32 v6, 20, v4
	v_mov_b32_e32 v5, v7
	v_lshlrev_b64 v[18:19], 2, v[6:7]
	v_subrev_nc_u32_e32 v6, 19, v4
	v_lshlrev_b64 v[20:21], 2, v[4:5]
	v_lshlrev_b64 v[5:6], 2, v[6:7]
	v_add_co_u32 v18, vcc_lo, s12, v18
	v_add_co_ci_u32_e64 v19, null, s13, v19, vcc_lo
	v_add_co_u32 v13, vcc_lo, s12, v13
	v_add_co_ci_u32_e64 v14, null, s13, v14, vcc_lo
	;; [unrolled: 2-line block ×5, first 2 shown]
	s_clause 0x3
	global_load_dword v8, v[18:19], off
	global_load_dword v19, v[13:14], off
	;; [unrolled: 1-line block ×4, first 2 shown]
	s_waitcnt vmcnt(4)
	v_subrev_nc_u32_e32 v3, s18, v3
	v_mul_lo_u32 v16, v3, 7
	v_add_nc_u32_e32 v6, 1, v16
	v_lshlrev_b64 v[13:14], 2, v[16:17]
	v_lshlrev_b64 v[17:18], 2, v[6:7]
	v_add_nc_u32_e32 v6, -12, v4
	v_add_co_u32 v13, vcc_lo, s14, v13
	v_add_co_ci_u32_e64 v14, null, s15, v14, vcc_lo
	v_add_co_u32 v17, vcc_lo, s14, v17
	v_lshlrev_b64 v[22:23], 2, v[6:7]
	v_add_nc_u32_e32 v6, -5, v4
	v_add_co_ci_u32_e64 v18, null, s15, v18, vcc_lo
	s_clause 0x1
	global_load_dword v3, v[13:14], off
	global_load_dword v26, v[17:18], off
	v_lshlrev_b64 v[13:14], 2, v[6:7]
	v_subrev_nc_u32_e32 v6, 18, v4
	v_add_co_u32 v17, vcc_lo, s12, v22
	v_add_co_ci_u32_e64 v18, null, s13, v23, vcc_lo
	v_add_co_u32 v13, vcc_lo, s12, v13
	v_lshlrev_b64 v[22:23], 2, v[6:7]
	v_add_nc_u32_e32 v6, 2, v16
	v_add_co_ci_u32_e64 v14, null, s13, v14, vcc_lo
	s_clause 0x1
	global_load_dword v27, v[17:18], off
	global_load_dword v28, v[13:14], off
	v_lshlrev_b64 v[17:18], 2, v[6:7]
	v_add_nc_u32_e32 v6, -11, v4
	v_add_co_u32 v13, vcc_lo, s12, v22
	v_add_co_ci_u32_e64 v14, null, s13, v23, vcc_lo
	v_lshlrev_b64 v[22:23], 2, v[6:7]
	v_add_nc_u32_e32 v6, -4, v4
	v_add_co_u32 v17, vcc_lo, s14, v17
	v_add_co_ci_u32_e64 v18, null, s15, v18, vcc_lo
	global_load_dword v29, v[13:14], off
	v_lshlrev_b64 v[13:14], 2, v[6:7]
	v_subrev_nc_u32_e32 v6, 17, v4
	global_load_dword v30, v[17:18], off
	v_add_co_u32 v17, vcc_lo, s12, v22
	v_add_co_ci_u32_e64 v18, null, s13, v23, vcc_lo
	v_add_co_u32 v13, vcc_lo, s12, v13
	v_lshlrev_b64 v[22:23], 2, v[6:7]
	v_add_nc_u32_e32 v6, 3, v16
	v_add_co_ci_u32_e64 v14, null, s13, v14, vcc_lo
	s_clause 0x1
	global_load_dword v31, v[17:18], off
	global_load_dword v32, v[13:14], off
	v_lshlrev_b64 v[17:18], 2, v[6:7]
	v_add_nc_u32_e32 v6, -10, v4
	v_add_co_u32 v13, vcc_lo, s12, v22
	v_add_co_ci_u32_e64 v14, null, s13, v23, vcc_lo
	v_lshlrev_b64 v[22:23], 2, v[6:7]
	v_add_nc_u32_e32 v6, -3, v4
	v_add_co_u32 v17, vcc_lo, s14, v17
	v_add_co_ci_u32_e64 v18, null, s15, v18, vcc_lo
	global_load_dword v33, v[13:14], off
	v_lshlrev_b64 v[13:14], 2, v[6:7]
	v_add_nc_u32_e32 v6, -16, v4
	global_load_dword v34, v[17:18], off
	v_add_co_u32 v17, vcc_lo, s12, v22
	v_add_co_ci_u32_e64 v18, null, s13, v23, vcc_lo
	v_add_co_u32 v13, vcc_lo, s12, v13
	v_lshlrev_b64 v[22:23], 2, v[6:7]
	v_add_nc_u32_e32 v6, 4, v16
	v_add_co_ci_u32_e64 v14, null, s13, v14, vcc_lo
	s_clause 0x1
	global_load_dword v35, v[17:18], off
	global_load_dword v36, v[13:14], off
	v_lshlrev_b64 v[17:18], 2, v[6:7]
	v_add_nc_u32_e32 v6, -9, v4
	v_add_co_u32 v13, vcc_lo, s12, v22
	v_add_co_ci_u32_e64 v14, null, s13, v23, vcc_lo
	v_lshlrev_b64 v[22:23], 2, v[6:7]
	v_add_nc_u32_e32 v6, -2, v4
	v_add_co_u32 v17, vcc_lo, s14, v17
	v_add_co_ci_u32_e64 v18, null, s15, v18, vcc_lo
	global_load_dword v37, v[13:14], off
	v_lshlrev_b64 v[13:14], 2, v[6:7]
	v_add_nc_u32_e32 v6, -15, v4
	;; [unrolled: 21-line block ×3, first 2 shown]
	global_load_dword v42, v[17:18], off
	v_add_co_u32 v17, vcc_lo, s12, v22
	v_add_co_ci_u32_e64 v18, null, s13, v23, vcc_lo
	v_lshlrev_b64 v[22:23], 2, v[6:7]
	v_add_nc_u32_e32 v6, 6, v16
	v_add_co_u32 v13, vcc_lo, s12, v13
	v_add_co_ci_u32_e64 v14, null, s13, v14, vcc_lo
	v_lshlrev_b64 v[15:16], 2, v[6:7]
	v_add_nc_u32_e32 v6, -7, v4
	s_clause 0x1
	global_load_dword v17, v[17:18], off
	global_load_dword v18, v[13:14], off
	v_add_co_u32 v13, vcc_lo, s12, v22
	v_lshlrev_b64 v[5:6], 2, v[6:7]
	v_add_co_ci_u32_e64 v14, null, s13, v23, vcc_lo
	v_add_co_u32 v15, vcc_lo, s14, v15
	v_add_co_ci_u32_e64 v16, null, s15, v16, vcc_lo
	v_add_co_u32 v5, vcc_lo, s12, v5
	v_add_co_ci_u32_e64 v6, null, s13, v6, vcc_lo
	global_load_dword v13, v[13:14], off
	global_load_dword v14, v[15:16], off
	s_clause 0x1
	global_load_dword v5, v[5:6], off
	global_load_dword v6, v[20:21], off
	v_cmp_ge_i32_e32 vcc_lo, v2, v12
	v_add_nc_u32_e32 v4, 0xa8, v4
	s_or_b32 s0, vcc_lo, s0
	s_waitcnt vmcnt(23)
	v_fmac_f32_e32 v9, v8, v3
	v_fmac_f32_e32 v11, v19, v3
	;; [unrolled: 1-line block ×3, first 2 shown]
	s_waitcnt vmcnt(22)
	v_fmac_f32_e32 v9, v25, v26
	s_waitcnt vmcnt(21)
	v_fmac_f32_e32 v11, v27, v26
	;; [unrolled: 2-line block ×18, first 2 shown]
	s_andn2_b32 exec_lo, exec_lo, s0
	s_cbranch_execnz .LBB26_15
; %bb.16:
	s_or_b32 exec_lo, exec_lo, s0
.LBB26_17:
	s_or_b32 exec_lo, exec_lo, s1
.LBB26_18:
	v_mbcnt_lo_u32_b32 v2, -1, 0
	s_mov_b32 s3, -1
	v_xor_b32_e32 v3, 4, v2
	v_xor_b32_e32 v6, 2, v2
	v_cmp_gt_i32_e32 vcc_lo, 32, v3
	v_cndmask_b32_e32 v3, v2, v3, vcc_lo
	v_cmp_gt_i32_e32 vcc_lo, 32, v6
	v_lshlrev_b32_e32 v3, 2, v3
	v_cndmask_b32_e32 v6, v2, v6, vcc_lo
	ds_bpermute_b32 v4, v3, v9
	ds_bpermute_b32 v5, v3, v11
	;; [unrolled: 1-line block ×3, first 2 shown]
	v_lshlrev_b32_e32 v6, 2, v6
	s_waitcnt lgkmcnt(2)
	v_add_f32_e32 v4, v9, v4
	s_waitcnt lgkmcnt(1)
	v_add_f32_e32 v5, v11, v5
	s_waitcnt lgkmcnt(0)
	v_add_f32_e32 v7, v10, v3
	v_xor_b32_e32 v9, 1, v2
	ds_bpermute_b32 v3, v6, v4
	ds_bpermute_b32 v8, v6, v5
	;; [unrolled: 1-line block ×3, first 2 shown]
	v_cmp_gt_i32_e32 vcc_lo, 32, v9
	v_cndmask_b32_e32 v2, v2, v9, vcc_lo
	v_cmp_eq_u32_e32 vcc_lo, 7, v0
	v_lshlrev_b32_e32 v9, 2, v2
	s_waitcnt lgkmcnt(2)
	v_add_f32_e32 v2, v4, v3
	s_waitcnt lgkmcnt(1)
	v_add_f32_e32 v3, v5, v8
	;; [unrolled: 2-line block ×3, first 2 shown]
	ds_bpermute_b32 v5, v9, v2
	ds_bpermute_b32 v6, v9, v3
	;; [unrolled: 1-line block ×3, first 2 shown]
	s_and_b32 exec_lo, exec_lo, vcc_lo
	s_cbranch_execz .LBB26_23
; %bb.19:
	s_load_dwordx2 s[0:1], s[4:5], 0x38
	s_waitcnt lgkmcnt(0)
	v_add_f32_e32 v0, v2, v5
	v_add_f32_e32 v2, v3, v6
	;; [unrolled: 1-line block ×3, first 2 shown]
	v_lshl_add_u32 v3, v1, 1, v1
	v_cmp_eq_f32_e64 s4, s2, 0
	v_mul_f32_e32 v0, s16, v0
	v_mul_f32_e32 v1, s16, v2
	;; [unrolled: 1-line block ×3, first 2 shown]
	v_ashrrev_i32_e32 v4, 31, v3
	s_and_b32 vcc_lo, exec_lo, s4
	s_cbranch_vccz .LBB26_21
; %bb.20:
	v_lshlrev_b64 v[5:6], 2, v[3:4]
	s_mov_b32 s3, 0
	v_add_co_u32 v5, vcc_lo, s0, v5
	v_add_co_ci_u32_e64 v6, null, s1, v6, vcc_lo
	global_store_dwordx3 v[5:6], v[0:2], off
.LBB26_21:
	s_andn2_b32 vcc_lo, exec_lo, s3
	s_cbranch_vccnz .LBB26_23
; %bb.22:
	v_lshlrev_b64 v[3:4], 2, v[3:4]
	v_add_co_u32 v6, vcc_lo, s0, v3
	v_add_co_ci_u32_e64 v7, null, s1, v4, vcc_lo
	global_load_dwordx3 v[3:5], v[6:7], off
	s_waitcnt vmcnt(0)
	v_fmac_f32_e32 v0, s2, v3
	v_fmac_f32_e32 v1, s2, v4
	;; [unrolled: 1-line block ×3, first 2 shown]
	global_store_dwordx3 v[6:7], v[0:2], off
.LBB26_23:
	s_endpgm
	.section	.rodata,"a",@progbits
	.p2align	6, 0x0
	.amdhsa_kernel _ZN9rocsparseL19gebsrmvn_3xn_kernelILj128ELj7ELj8EfEEvi20rocsparse_direction_NS_24const_host_device_scalarIT2_EEPKiS6_PKS3_S8_S4_PS3_21rocsparse_index_base_b
		.amdhsa_group_segment_fixed_size 0
		.amdhsa_private_segment_fixed_size 0
		.amdhsa_kernarg_size 72
		.amdhsa_user_sgpr_count 6
		.amdhsa_user_sgpr_private_segment_buffer 1
		.amdhsa_user_sgpr_dispatch_ptr 0
		.amdhsa_user_sgpr_queue_ptr 0
		.amdhsa_user_sgpr_kernarg_segment_ptr 1
		.amdhsa_user_sgpr_dispatch_id 0
		.amdhsa_user_sgpr_flat_scratch_init 0
		.amdhsa_user_sgpr_private_segment_size 0
		.amdhsa_wavefront_size32 1
		.amdhsa_uses_dynamic_stack 0
		.amdhsa_system_sgpr_private_segment_wavefront_offset 0
		.amdhsa_system_sgpr_workgroup_id_x 1
		.amdhsa_system_sgpr_workgroup_id_y 0
		.amdhsa_system_sgpr_workgroup_id_z 0
		.amdhsa_system_sgpr_workgroup_info 0
		.amdhsa_system_vgpr_workitem_id 0
		.amdhsa_next_free_vgpr 44
		.amdhsa_next_free_sgpr 20
		.amdhsa_reserve_vcc 1
		.amdhsa_reserve_flat_scratch 0
		.amdhsa_float_round_mode_32 0
		.amdhsa_float_round_mode_16_64 0
		.amdhsa_float_denorm_mode_32 3
		.amdhsa_float_denorm_mode_16_64 3
		.amdhsa_dx10_clamp 1
		.amdhsa_ieee_mode 1
		.amdhsa_fp16_overflow 0
		.amdhsa_workgroup_processor_mode 1
		.amdhsa_memory_ordered 1
		.amdhsa_forward_progress 1
		.amdhsa_shared_vgpr_count 0
		.amdhsa_exception_fp_ieee_invalid_op 0
		.amdhsa_exception_fp_denorm_src 0
		.amdhsa_exception_fp_ieee_div_zero 0
		.amdhsa_exception_fp_ieee_overflow 0
		.amdhsa_exception_fp_ieee_underflow 0
		.amdhsa_exception_fp_ieee_inexact 0
		.amdhsa_exception_int_div_zero 0
	.end_amdhsa_kernel
	.section	.text._ZN9rocsparseL19gebsrmvn_3xn_kernelILj128ELj7ELj8EfEEvi20rocsparse_direction_NS_24const_host_device_scalarIT2_EEPKiS6_PKS3_S8_S4_PS3_21rocsparse_index_base_b,"axG",@progbits,_ZN9rocsparseL19gebsrmvn_3xn_kernelILj128ELj7ELj8EfEEvi20rocsparse_direction_NS_24const_host_device_scalarIT2_EEPKiS6_PKS3_S8_S4_PS3_21rocsparse_index_base_b,comdat
.Lfunc_end26:
	.size	_ZN9rocsparseL19gebsrmvn_3xn_kernelILj128ELj7ELj8EfEEvi20rocsparse_direction_NS_24const_host_device_scalarIT2_EEPKiS6_PKS3_S8_S4_PS3_21rocsparse_index_base_b, .Lfunc_end26-_ZN9rocsparseL19gebsrmvn_3xn_kernelILj128ELj7ELj8EfEEvi20rocsparse_direction_NS_24const_host_device_scalarIT2_EEPKiS6_PKS3_S8_S4_PS3_21rocsparse_index_base_b
                                        ; -- End function
	.set _ZN9rocsparseL19gebsrmvn_3xn_kernelILj128ELj7ELj8EfEEvi20rocsparse_direction_NS_24const_host_device_scalarIT2_EEPKiS6_PKS3_S8_S4_PS3_21rocsparse_index_base_b.num_vgpr, 44
	.set _ZN9rocsparseL19gebsrmvn_3xn_kernelILj128ELj7ELj8EfEEvi20rocsparse_direction_NS_24const_host_device_scalarIT2_EEPKiS6_PKS3_S8_S4_PS3_21rocsparse_index_base_b.num_agpr, 0
	.set _ZN9rocsparseL19gebsrmvn_3xn_kernelILj128ELj7ELj8EfEEvi20rocsparse_direction_NS_24const_host_device_scalarIT2_EEPKiS6_PKS3_S8_S4_PS3_21rocsparse_index_base_b.numbered_sgpr, 20
	.set _ZN9rocsparseL19gebsrmvn_3xn_kernelILj128ELj7ELj8EfEEvi20rocsparse_direction_NS_24const_host_device_scalarIT2_EEPKiS6_PKS3_S8_S4_PS3_21rocsparse_index_base_b.num_named_barrier, 0
	.set _ZN9rocsparseL19gebsrmvn_3xn_kernelILj128ELj7ELj8EfEEvi20rocsparse_direction_NS_24const_host_device_scalarIT2_EEPKiS6_PKS3_S8_S4_PS3_21rocsparse_index_base_b.private_seg_size, 0
	.set _ZN9rocsparseL19gebsrmvn_3xn_kernelILj128ELj7ELj8EfEEvi20rocsparse_direction_NS_24const_host_device_scalarIT2_EEPKiS6_PKS3_S8_S4_PS3_21rocsparse_index_base_b.uses_vcc, 1
	.set _ZN9rocsparseL19gebsrmvn_3xn_kernelILj128ELj7ELj8EfEEvi20rocsparse_direction_NS_24const_host_device_scalarIT2_EEPKiS6_PKS3_S8_S4_PS3_21rocsparse_index_base_b.uses_flat_scratch, 0
	.set _ZN9rocsparseL19gebsrmvn_3xn_kernelILj128ELj7ELj8EfEEvi20rocsparse_direction_NS_24const_host_device_scalarIT2_EEPKiS6_PKS3_S8_S4_PS3_21rocsparse_index_base_b.has_dyn_sized_stack, 0
	.set _ZN9rocsparseL19gebsrmvn_3xn_kernelILj128ELj7ELj8EfEEvi20rocsparse_direction_NS_24const_host_device_scalarIT2_EEPKiS6_PKS3_S8_S4_PS3_21rocsparse_index_base_b.has_recursion, 0
	.set _ZN9rocsparseL19gebsrmvn_3xn_kernelILj128ELj7ELj8EfEEvi20rocsparse_direction_NS_24const_host_device_scalarIT2_EEPKiS6_PKS3_S8_S4_PS3_21rocsparse_index_base_b.has_indirect_call, 0
	.section	.AMDGPU.csdata,"",@progbits
; Kernel info:
; codeLenInByte = 3284
; TotalNumSgprs: 22
; NumVgprs: 44
; ScratchSize: 0
; MemoryBound: 0
; FloatMode: 240
; IeeeMode: 1
; LDSByteSize: 0 bytes/workgroup (compile time only)
; SGPRBlocks: 0
; VGPRBlocks: 5
; NumSGPRsForWavesPerEU: 22
; NumVGPRsForWavesPerEU: 44
; Occupancy: 16
; WaveLimiterHint : 1
; COMPUTE_PGM_RSRC2:SCRATCH_EN: 0
; COMPUTE_PGM_RSRC2:USER_SGPR: 6
; COMPUTE_PGM_RSRC2:TRAP_HANDLER: 0
; COMPUTE_PGM_RSRC2:TGID_X_EN: 1
; COMPUTE_PGM_RSRC2:TGID_Y_EN: 0
; COMPUTE_PGM_RSRC2:TGID_Z_EN: 0
; COMPUTE_PGM_RSRC2:TIDIG_COMP_CNT: 0
	.section	.text._ZN9rocsparseL19gebsrmvn_3xn_kernelILj128ELj7ELj16EfEEvi20rocsparse_direction_NS_24const_host_device_scalarIT2_EEPKiS6_PKS3_S8_S4_PS3_21rocsparse_index_base_b,"axG",@progbits,_ZN9rocsparseL19gebsrmvn_3xn_kernelILj128ELj7ELj16EfEEvi20rocsparse_direction_NS_24const_host_device_scalarIT2_EEPKiS6_PKS3_S8_S4_PS3_21rocsparse_index_base_b,comdat
	.globl	_ZN9rocsparseL19gebsrmvn_3xn_kernelILj128ELj7ELj16EfEEvi20rocsparse_direction_NS_24const_host_device_scalarIT2_EEPKiS6_PKS3_S8_S4_PS3_21rocsparse_index_base_b ; -- Begin function _ZN9rocsparseL19gebsrmvn_3xn_kernelILj128ELj7ELj16EfEEvi20rocsparse_direction_NS_24const_host_device_scalarIT2_EEPKiS6_PKS3_S8_S4_PS3_21rocsparse_index_base_b
	.p2align	8
	.type	_ZN9rocsparseL19gebsrmvn_3xn_kernelILj128ELj7ELj16EfEEvi20rocsparse_direction_NS_24const_host_device_scalarIT2_EEPKiS6_PKS3_S8_S4_PS3_21rocsparse_index_base_b,@function
_ZN9rocsparseL19gebsrmvn_3xn_kernelILj128ELj7ELj16EfEEvi20rocsparse_direction_NS_24const_host_device_scalarIT2_EEPKiS6_PKS3_S8_S4_PS3_21rocsparse_index_base_b: ; @_ZN9rocsparseL19gebsrmvn_3xn_kernelILj128ELj7ELj16EfEEvi20rocsparse_direction_NS_24const_host_device_scalarIT2_EEPKiS6_PKS3_S8_S4_PS3_21rocsparse_index_base_b
; %bb.0:
	s_clause 0x2
	s_load_dwordx2 s[18:19], s[4:5], 0x40
	s_load_dwordx2 s[16:17], s[4:5], 0x8
	;; [unrolled: 1-line block ×3, first 2 shown]
	s_waitcnt lgkmcnt(0)
	s_bitcmp1_b32 s19, 0
	s_cselect_b32 s0, -1, 0
	s_and_b32 vcc_lo, exec_lo, s0
	s_xor_b32 s0, s0, -1
	s_cbranch_vccnz .LBB27_2
; %bb.1:
	s_load_dword s16, s[16:17], 0x0
.LBB27_2:
	s_andn2_b32 vcc_lo, exec_lo, s0
	s_cbranch_vccnz .LBB27_4
; %bb.3:
	s_load_dword s2, s[2:3], 0x0
.LBB27_4:
	s_waitcnt lgkmcnt(0)
	v_cmp_eq_f32_e64 s0, s16, 0
	v_cmp_eq_f32_e64 s1, s2, 1.0
	s_and_b32 s0, s0, s1
	s_and_b32 vcc_lo, exec_lo, s0
	s_cbranch_vccnz .LBB27_23
; %bb.5:
	s_load_dwordx2 s[0:1], s[4:5], 0x0
	v_lshrrev_b32_e32 v1, 4, v0
	v_lshl_or_b32 v1, s6, 3, v1
	s_waitcnt lgkmcnt(0)
	v_cmp_gt_i32_e32 vcc_lo, s0, v1
	s_and_saveexec_b32 s0, vcc_lo
	s_cbranch_execz .LBB27_23
; %bb.6:
	s_load_dwordx8 s[8:15], s[4:5], 0x10
	v_ashrrev_i32_e32 v2, 31, v1
	v_and_b32_e32 v0, 15, v0
	s_cmp_lg_u32 s1, 0
	v_lshlrev_b64 v[2:3], 2, v[1:2]
	s_waitcnt lgkmcnt(0)
	v_add_co_u32 v2, vcc_lo, s8, v2
	v_add_co_ci_u32_e64 v3, null, s9, v3, vcc_lo
	global_load_dwordx2 v[2:3], v[2:3], off
	s_waitcnt vmcnt(0)
	v_subrev_nc_u32_e32 v2, s18, v2
	v_subrev_nc_u32_e32 v12, s18, v3
	v_add_nc_u32_e32 v2, v2, v0
	v_cmp_lt_i32_e64 s0, v2, v12
	s_cbranch_scc0 .LBB27_12
; %bb.7:
	v_mov_b32_e32 v9, 0
	v_mov_b32_e32 v10, 0
	;; [unrolled: 1-line block ×3, first 2 shown]
	s_and_saveexec_b32 s1, s0
	s_cbranch_execz .LBB27_11
; %bb.8:
	v_mad_u64_u32 v[3:4], null, v2, 21, 20
	v_mov_b32_e32 v6, 0
	v_mov_b32_e32 v7, v2
	;; [unrolled: 1-line block ×5, first 2 shown]
	s_mov_b32 s3, 0
.LBB27_9:                               ; =>This Inner Loop Header: Depth=1
	v_ashrrev_i32_e32 v8, 31, v7
	v_mov_b32_e32 v14, v6
	v_lshlrev_b64 v[4:5], 2, v[7:8]
	v_add_nc_u32_e32 v7, 16, v7
	v_add_co_u32 v4, vcc_lo, s10, v4
	v_add_co_ci_u32_e64 v5, null, s11, v5, vcc_lo
	global_load_dword v8, v[4:5], off
	v_subrev_nc_u32_e32 v5, 20, v3
	v_mov_b32_e32 v4, v6
	v_lshlrev_b64 v[15:16], 2, v[5:6]
	v_subrev_nc_u32_e32 v5, 19, v3
	v_lshlrev_b64 v[17:18], 2, v[3:4]
	v_lshlrev_b64 v[19:20], 2, v[5:6]
	v_subrev_nc_u32_e32 v5, 18, v3
	v_add_co_u32 v15, vcc_lo, s12, v15
	v_add_co_ci_u32_e64 v16, null, s13, v16, vcc_lo
	v_add_co_u32 v17, vcc_lo, s12, v17
	v_lshlrev_b64 v[21:22], 2, v[5:6]
	v_subrev_nc_u32_e32 v5, 17, v3
	v_add_co_ci_u32_e64 v18, null, s13, v18, vcc_lo
	v_add_co_u32 v19, vcc_lo, s12, v19
	v_add_co_ci_u32_e64 v20, null, s13, v20, vcc_lo
	v_lshlrev_b64 v[4:5], 2, v[5:6]
	s_clause 0x1
	global_load_dword v23, v[15:16], off
	global_load_dword v24, v[19:20], off
	v_add_co_u32 v15, vcc_lo, s12, v21
	v_add_co_ci_u32_e64 v16, null, s13, v22, vcc_lo
	v_add_co_u32 v4, vcc_lo, s12, v4
	v_add_co_ci_u32_e64 v5, null, s13, v5, vcc_lo
	s_clause 0x1
	global_load_dword v25, v[15:16], off
	global_load_dword v26, v[4:5], off
	s_waitcnt vmcnt(4)
	v_subrev_nc_u32_e32 v4, s18, v8
	v_mul_lo_u32 v13, v4, 7
	v_add_nc_u32_e32 v5, 1, v13
	v_lshlrev_b64 v[14:15], 2, v[13:14]
	v_lshlrev_b64 v[19:20], 2, v[5:6]
	v_add_nc_u32_e32 v5, -16, v3
	v_add_co_u32 v14, vcc_lo, s14, v14
	v_add_co_ci_u32_e64 v15, null, s15, v15, vcc_lo
	v_add_co_u32 v19, vcc_lo, s14, v19
	v_lshlrev_b64 v[21:22], 2, v[5:6]
	v_add_nc_u32_e32 v5, -15, v3
	v_add_co_ci_u32_e64 v20, null, s15, v20, vcc_lo
	s_clause 0x1
	global_load_dword v8, v[14:15], off
	global_load_dword v27, v[19:20], off
	v_lshlrev_b64 v[14:15], 2, v[5:6]
	v_add_nc_u32_e32 v5, -14, v3
	v_add_co_u32 v19, vcc_lo, s12, v21
	v_add_co_ci_u32_e64 v20, null, s13, v22, vcc_lo
	v_add_co_u32 v14, vcc_lo, s12, v14
	v_lshlrev_b64 v[21:22], 2, v[5:6]
	v_add_nc_u32_e32 v5, 2, v13
	v_add_co_ci_u32_e64 v15, null, s13, v15, vcc_lo
	s_clause 0x1
	global_load_dword v28, v[19:20], off
	global_load_dword v29, v[14:15], off
	v_lshlrev_b64 v[19:20], 2, v[5:6]
	v_add_nc_u32_e32 v5, -13, v3
	v_add_co_u32 v14, vcc_lo, s12, v21
	v_add_co_ci_u32_e64 v15, null, s13, v22, vcc_lo
	v_lshlrev_b64 v[21:22], 2, v[5:6]
	v_add_nc_u32_e32 v5, -12, v3
	v_add_co_u32 v19, vcc_lo, s14, v19
	v_add_co_ci_u32_e64 v20, null, s15, v20, vcc_lo
	global_load_dword v30, v[14:15], off
	v_lshlrev_b64 v[14:15], 2, v[5:6]
	v_add_nc_u32_e32 v5, -11, v3
	global_load_dword v31, v[19:20], off
	v_add_co_u32 v19, vcc_lo, s12, v21
	v_add_co_ci_u32_e64 v20, null, s13, v22, vcc_lo
	v_add_co_u32 v14, vcc_lo, s12, v14
	v_lshlrev_b64 v[21:22], 2, v[5:6]
	v_add_nc_u32_e32 v5, 3, v13
	v_add_co_ci_u32_e64 v15, null, s13, v15, vcc_lo
	s_clause 0x1
	global_load_dword v32, v[19:20], off
	global_load_dword v33, v[14:15], off
	v_lshlrev_b64 v[19:20], 2, v[5:6]
	v_add_nc_u32_e32 v5, -10, v3
	v_add_co_u32 v14, vcc_lo, s12, v21
	v_add_co_ci_u32_e64 v15, null, s13, v22, vcc_lo
	v_lshlrev_b64 v[21:22], 2, v[5:6]
	v_add_nc_u32_e32 v5, -9, v3
	v_add_co_u32 v19, vcc_lo, s14, v19
	v_add_co_ci_u32_e64 v20, null, s15, v20, vcc_lo
	global_load_dword v34, v[14:15], off
	v_lshlrev_b64 v[14:15], 2, v[5:6]
	v_add_nc_u32_e32 v5, -8, v3
	global_load_dword v35, v[19:20], off
	;; [unrolled: 21-line block ×4, first 2 shown]
	v_add_co_u32 v19, vcc_lo, s12, v21
	v_add_co_ci_u32_e64 v20, null, s13, v22, vcc_lo
	v_lshlrev_b64 v[21:22], 2, v[5:6]
	v_add_nc_u32_e32 v5, 6, v13
	v_add_co_u32 v13, vcc_lo, s12, v14
	v_add_co_ci_u32_e64 v14, null, s13, v15, vcc_lo
	v_lshlrev_b64 v[15:16], 2, v[5:6]
	v_add_nc_u32_e32 v5, -1, v3
	s_clause 0x1
	global_load_dword v19, v[19:20], off
	global_load_dword v20, v[13:14], off
	v_add_co_u32 v13, vcc_lo, s12, v21
	v_lshlrev_b64 v[4:5], 2, v[5:6]
	v_add_co_ci_u32_e64 v14, null, s13, v22, vcc_lo
	v_add_co_u32 v15, vcc_lo, s14, v15
	v_add_co_ci_u32_e64 v16, null, s15, v16, vcc_lo
	v_add_co_u32 v4, vcc_lo, s12, v4
	v_add_co_ci_u32_e64 v5, null, s13, v5, vcc_lo
	global_load_dword v13, v[13:14], off
	global_load_dword v14, v[15:16], off
	s_clause 0x1
	global_load_dword v4, v[4:5], off
	global_load_dword v5, v[17:18], off
	v_cmp_ge_i32_e32 vcc_lo, v7, v12
	v_add_nc_u32_e32 v3, 0x150, v3
	s_or_b32 s3, vcc_lo, s3
	s_waitcnt vmcnt(23)
	v_fmac_f32_e32 v9, v23, v8
	v_fmac_f32_e32 v11, v24, v8
	;; [unrolled: 1-line block ×3, first 2 shown]
	s_waitcnt vmcnt(22)
	v_fmac_f32_e32 v9, v26, v27
	s_waitcnt vmcnt(21)
	v_fmac_f32_e32 v11, v28, v27
	;; [unrolled: 2-line block ×18, first 2 shown]
	s_andn2_b32 exec_lo, exec_lo, s3
	s_cbranch_execnz .LBB27_9
; %bb.10:
	s_or_b32 exec_lo, exec_lo, s3
.LBB27_11:
	s_or_b32 exec_lo, exec_lo, s1
	s_cbranch_execz .LBB27_13
	s_branch .LBB27_18
.LBB27_12:
                                        ; implicit-def: $vgpr9
                                        ; implicit-def: $vgpr10
                                        ; implicit-def: $vgpr11
.LBB27_13:
	v_mov_b32_e32 v9, 0
	v_mov_b32_e32 v10, 0
	v_mov_b32_e32 v11, 0
	s_and_saveexec_b32 s1, s0
	s_cbranch_execz .LBB27_17
; %bb.14:
	v_mad_u64_u32 v[4:5], null, v2, 21, 20
	v_mov_b32_e32 v7, 0
	v_mov_b32_e32 v9, 0
	;; [unrolled: 1-line block ×4, first 2 shown]
	s_mov_b32 s0, 0
.LBB27_15:                              ; =>This Inner Loop Header: Depth=1
	v_ashrrev_i32_e32 v3, 31, v2
	v_add_nc_u32_e32 v13, -13, v4
	v_mov_b32_e32 v14, v7
	v_add_nc_u32_e32 v15, -6, v4
	v_mov_b32_e32 v16, v7
	v_lshlrev_b64 v[5:6], 2, v[2:3]
	v_mov_b32_e32 v17, v7
	v_lshlrev_b64 v[13:14], 2, v[13:14]
	v_add_nc_u32_e32 v2, 16, v2
	v_lshlrev_b64 v[15:16], 2, v[15:16]
	v_add_co_u32 v5, vcc_lo, s10, v5
	v_add_co_ci_u32_e64 v6, null, s11, v6, vcc_lo
	global_load_dword v3, v[5:6], off
	v_subrev_nc_u32_e32 v6, 20, v4
	v_mov_b32_e32 v5, v7
	v_lshlrev_b64 v[18:19], 2, v[6:7]
	v_subrev_nc_u32_e32 v6, 19, v4
	v_lshlrev_b64 v[20:21], 2, v[4:5]
	v_lshlrev_b64 v[5:6], 2, v[6:7]
	v_add_co_u32 v18, vcc_lo, s12, v18
	v_add_co_ci_u32_e64 v19, null, s13, v19, vcc_lo
	v_add_co_u32 v13, vcc_lo, s12, v13
	v_add_co_ci_u32_e64 v14, null, s13, v14, vcc_lo
	v_add_co_u32 v15, vcc_lo, s12, v15
	v_add_co_ci_u32_e64 v16, null, s13, v16, vcc_lo
	v_add_co_u32 v20, vcc_lo, s12, v20
	v_add_co_ci_u32_e64 v21, null, s13, v21, vcc_lo
	v_add_co_u32 v5, vcc_lo, s12, v5
	v_add_co_ci_u32_e64 v6, null, s13, v6, vcc_lo
	s_clause 0x3
	global_load_dword v8, v[18:19], off
	global_load_dword v19, v[13:14], off
	;; [unrolled: 1-line block ×4, first 2 shown]
	s_waitcnt vmcnt(4)
	v_subrev_nc_u32_e32 v3, s18, v3
	v_mul_lo_u32 v16, v3, 7
	v_add_nc_u32_e32 v6, 1, v16
	v_lshlrev_b64 v[13:14], 2, v[16:17]
	v_lshlrev_b64 v[17:18], 2, v[6:7]
	v_add_nc_u32_e32 v6, -12, v4
	v_add_co_u32 v13, vcc_lo, s14, v13
	v_add_co_ci_u32_e64 v14, null, s15, v14, vcc_lo
	v_add_co_u32 v17, vcc_lo, s14, v17
	v_lshlrev_b64 v[22:23], 2, v[6:7]
	v_add_nc_u32_e32 v6, -5, v4
	v_add_co_ci_u32_e64 v18, null, s15, v18, vcc_lo
	s_clause 0x1
	global_load_dword v3, v[13:14], off
	global_load_dword v26, v[17:18], off
	v_lshlrev_b64 v[13:14], 2, v[6:7]
	v_subrev_nc_u32_e32 v6, 18, v4
	v_add_co_u32 v17, vcc_lo, s12, v22
	v_add_co_ci_u32_e64 v18, null, s13, v23, vcc_lo
	v_add_co_u32 v13, vcc_lo, s12, v13
	v_lshlrev_b64 v[22:23], 2, v[6:7]
	v_add_nc_u32_e32 v6, 2, v16
	v_add_co_ci_u32_e64 v14, null, s13, v14, vcc_lo
	s_clause 0x1
	global_load_dword v27, v[17:18], off
	global_load_dword v28, v[13:14], off
	v_lshlrev_b64 v[17:18], 2, v[6:7]
	v_add_nc_u32_e32 v6, -11, v4
	v_add_co_u32 v13, vcc_lo, s12, v22
	v_add_co_ci_u32_e64 v14, null, s13, v23, vcc_lo
	v_lshlrev_b64 v[22:23], 2, v[6:7]
	v_add_nc_u32_e32 v6, -4, v4
	v_add_co_u32 v17, vcc_lo, s14, v17
	v_add_co_ci_u32_e64 v18, null, s15, v18, vcc_lo
	global_load_dword v29, v[13:14], off
	v_lshlrev_b64 v[13:14], 2, v[6:7]
	v_subrev_nc_u32_e32 v6, 17, v4
	global_load_dword v30, v[17:18], off
	v_add_co_u32 v17, vcc_lo, s12, v22
	v_add_co_ci_u32_e64 v18, null, s13, v23, vcc_lo
	v_add_co_u32 v13, vcc_lo, s12, v13
	v_lshlrev_b64 v[22:23], 2, v[6:7]
	v_add_nc_u32_e32 v6, 3, v16
	v_add_co_ci_u32_e64 v14, null, s13, v14, vcc_lo
	s_clause 0x1
	global_load_dword v31, v[17:18], off
	global_load_dword v32, v[13:14], off
	v_lshlrev_b64 v[17:18], 2, v[6:7]
	v_add_nc_u32_e32 v6, -10, v4
	v_add_co_u32 v13, vcc_lo, s12, v22
	v_add_co_ci_u32_e64 v14, null, s13, v23, vcc_lo
	v_lshlrev_b64 v[22:23], 2, v[6:7]
	v_add_nc_u32_e32 v6, -3, v4
	v_add_co_u32 v17, vcc_lo, s14, v17
	v_add_co_ci_u32_e64 v18, null, s15, v18, vcc_lo
	global_load_dword v33, v[13:14], off
	v_lshlrev_b64 v[13:14], 2, v[6:7]
	v_add_nc_u32_e32 v6, -16, v4
	global_load_dword v34, v[17:18], off
	v_add_co_u32 v17, vcc_lo, s12, v22
	v_add_co_ci_u32_e64 v18, null, s13, v23, vcc_lo
	v_add_co_u32 v13, vcc_lo, s12, v13
	v_lshlrev_b64 v[22:23], 2, v[6:7]
	v_add_nc_u32_e32 v6, 4, v16
	v_add_co_ci_u32_e64 v14, null, s13, v14, vcc_lo
	s_clause 0x1
	global_load_dword v35, v[17:18], off
	global_load_dword v36, v[13:14], off
	v_lshlrev_b64 v[17:18], 2, v[6:7]
	v_add_nc_u32_e32 v6, -9, v4
	v_add_co_u32 v13, vcc_lo, s12, v22
	v_add_co_ci_u32_e64 v14, null, s13, v23, vcc_lo
	v_lshlrev_b64 v[22:23], 2, v[6:7]
	v_add_nc_u32_e32 v6, -2, v4
	v_add_co_u32 v17, vcc_lo, s14, v17
	v_add_co_ci_u32_e64 v18, null, s15, v18, vcc_lo
	global_load_dword v37, v[13:14], off
	v_lshlrev_b64 v[13:14], 2, v[6:7]
	v_add_nc_u32_e32 v6, -15, v4
	;; [unrolled: 21-line block ×3, first 2 shown]
	global_load_dword v42, v[17:18], off
	v_add_co_u32 v17, vcc_lo, s12, v22
	v_add_co_ci_u32_e64 v18, null, s13, v23, vcc_lo
	v_lshlrev_b64 v[22:23], 2, v[6:7]
	v_add_nc_u32_e32 v6, 6, v16
	v_add_co_u32 v13, vcc_lo, s12, v13
	v_add_co_ci_u32_e64 v14, null, s13, v14, vcc_lo
	v_lshlrev_b64 v[15:16], 2, v[6:7]
	v_add_nc_u32_e32 v6, -7, v4
	s_clause 0x1
	global_load_dword v17, v[17:18], off
	global_load_dword v18, v[13:14], off
	v_add_co_u32 v13, vcc_lo, s12, v22
	v_lshlrev_b64 v[5:6], 2, v[6:7]
	v_add_co_ci_u32_e64 v14, null, s13, v23, vcc_lo
	v_add_co_u32 v15, vcc_lo, s14, v15
	v_add_co_ci_u32_e64 v16, null, s15, v16, vcc_lo
	v_add_co_u32 v5, vcc_lo, s12, v5
	v_add_co_ci_u32_e64 v6, null, s13, v6, vcc_lo
	global_load_dword v13, v[13:14], off
	global_load_dword v14, v[15:16], off
	s_clause 0x1
	global_load_dword v5, v[5:6], off
	global_load_dword v6, v[20:21], off
	v_cmp_ge_i32_e32 vcc_lo, v2, v12
	v_add_nc_u32_e32 v4, 0x150, v4
	s_or_b32 s0, vcc_lo, s0
	s_waitcnt vmcnt(23)
	v_fmac_f32_e32 v9, v8, v3
	v_fmac_f32_e32 v11, v19, v3
	;; [unrolled: 1-line block ×3, first 2 shown]
	s_waitcnt vmcnt(22)
	v_fmac_f32_e32 v9, v25, v26
	s_waitcnt vmcnt(21)
	v_fmac_f32_e32 v11, v27, v26
	;; [unrolled: 2-line block ×18, first 2 shown]
	s_andn2_b32 exec_lo, exec_lo, s0
	s_cbranch_execnz .LBB27_15
; %bb.16:
	s_or_b32 exec_lo, exec_lo, s0
.LBB27_17:
	s_or_b32 exec_lo, exec_lo, s1
.LBB27_18:
	v_mbcnt_lo_u32_b32 v2, -1, 0
	s_mov_b32 s3, -1
	v_xor_b32_e32 v3, 8, v2
	v_xor_b32_e32 v6, 4, v2
	v_cmp_gt_i32_e32 vcc_lo, 32, v3
	v_cndmask_b32_e32 v3, v2, v3, vcc_lo
	v_cmp_gt_i32_e32 vcc_lo, 32, v6
	v_lshlrev_b32_e32 v3, 2, v3
	v_cndmask_b32_e32 v6, v2, v6, vcc_lo
	ds_bpermute_b32 v4, v3, v9
	ds_bpermute_b32 v5, v3, v11
	;; [unrolled: 1-line block ×3, first 2 shown]
	v_lshlrev_b32_e32 v6, 2, v6
	s_waitcnt lgkmcnt(2)
	v_add_f32_e32 v4, v9, v4
	s_waitcnt lgkmcnt(1)
	v_add_f32_e32 v5, v11, v5
	;; [unrolled: 2-line block ×3, first 2 shown]
	v_xor_b32_e32 v9, 2, v2
	ds_bpermute_b32 v7, v6, v4
	ds_bpermute_b32 v8, v6, v5
	;; [unrolled: 1-line block ×3, first 2 shown]
	v_cmp_gt_i32_e32 vcc_lo, 32, v9
	v_cndmask_b32_e32 v9, v2, v9, vcc_lo
	v_lshlrev_b32_e32 v9, 2, v9
	s_waitcnt lgkmcnt(2)
	v_add_f32_e32 v4, v4, v7
	s_waitcnt lgkmcnt(1)
	v_add_f32_e32 v5, v5, v8
	;; [unrolled: 2-line block ×3, first 2 shown]
	ds_bpermute_b32 v3, v9, v4
	ds_bpermute_b32 v7, v9, v5
	;; [unrolled: 1-line block ×3, first 2 shown]
	v_xor_b32_e32 v9, 1, v2
	v_cmp_gt_i32_e32 vcc_lo, 32, v9
	v_cndmask_b32_e32 v2, v2, v9, vcc_lo
	v_cmp_eq_u32_e32 vcc_lo, 15, v0
	v_lshlrev_b32_e32 v9, 2, v2
	s_waitcnt lgkmcnt(2)
	v_add_f32_e32 v2, v4, v3
	s_waitcnt lgkmcnt(1)
	v_add_f32_e32 v3, v5, v7
	;; [unrolled: 2-line block ×3, first 2 shown]
	ds_bpermute_b32 v5, v9, v2
	ds_bpermute_b32 v6, v9, v3
	;; [unrolled: 1-line block ×3, first 2 shown]
	s_and_b32 exec_lo, exec_lo, vcc_lo
	s_cbranch_execz .LBB27_23
; %bb.19:
	s_load_dwordx2 s[0:1], s[4:5], 0x38
	s_waitcnt lgkmcnt(0)
	v_add_f32_e32 v0, v2, v5
	v_add_f32_e32 v2, v3, v6
	;; [unrolled: 1-line block ×3, first 2 shown]
	v_lshl_add_u32 v3, v1, 1, v1
	v_cmp_eq_f32_e64 s4, s2, 0
	v_mul_f32_e32 v0, s16, v0
	v_mul_f32_e32 v1, s16, v2
	;; [unrolled: 1-line block ×3, first 2 shown]
	v_ashrrev_i32_e32 v4, 31, v3
	s_and_b32 vcc_lo, exec_lo, s4
	s_cbranch_vccz .LBB27_21
; %bb.20:
	v_lshlrev_b64 v[5:6], 2, v[3:4]
	s_mov_b32 s3, 0
	v_add_co_u32 v5, vcc_lo, s0, v5
	v_add_co_ci_u32_e64 v6, null, s1, v6, vcc_lo
	global_store_dwordx3 v[5:6], v[0:2], off
.LBB27_21:
	s_andn2_b32 vcc_lo, exec_lo, s3
	s_cbranch_vccnz .LBB27_23
; %bb.22:
	v_lshlrev_b64 v[3:4], 2, v[3:4]
	v_add_co_u32 v6, vcc_lo, s0, v3
	v_add_co_ci_u32_e64 v7, null, s1, v4, vcc_lo
	global_load_dwordx3 v[3:5], v[6:7], off
	s_waitcnt vmcnt(0)
	v_fmac_f32_e32 v0, s2, v3
	v_fmac_f32_e32 v1, s2, v4
	;; [unrolled: 1-line block ×3, first 2 shown]
	global_store_dwordx3 v[6:7], v[0:2], off
.LBB27_23:
	s_endpgm
	.section	.rodata,"a",@progbits
	.p2align	6, 0x0
	.amdhsa_kernel _ZN9rocsparseL19gebsrmvn_3xn_kernelILj128ELj7ELj16EfEEvi20rocsparse_direction_NS_24const_host_device_scalarIT2_EEPKiS6_PKS3_S8_S4_PS3_21rocsparse_index_base_b
		.amdhsa_group_segment_fixed_size 0
		.amdhsa_private_segment_fixed_size 0
		.amdhsa_kernarg_size 72
		.amdhsa_user_sgpr_count 6
		.amdhsa_user_sgpr_private_segment_buffer 1
		.amdhsa_user_sgpr_dispatch_ptr 0
		.amdhsa_user_sgpr_queue_ptr 0
		.amdhsa_user_sgpr_kernarg_segment_ptr 1
		.amdhsa_user_sgpr_dispatch_id 0
		.amdhsa_user_sgpr_flat_scratch_init 0
		.amdhsa_user_sgpr_private_segment_size 0
		.amdhsa_wavefront_size32 1
		.amdhsa_uses_dynamic_stack 0
		.amdhsa_system_sgpr_private_segment_wavefront_offset 0
		.amdhsa_system_sgpr_workgroup_id_x 1
		.amdhsa_system_sgpr_workgroup_id_y 0
		.amdhsa_system_sgpr_workgroup_id_z 0
		.amdhsa_system_sgpr_workgroup_info 0
		.amdhsa_system_vgpr_workitem_id 0
		.amdhsa_next_free_vgpr 44
		.amdhsa_next_free_sgpr 20
		.amdhsa_reserve_vcc 1
		.amdhsa_reserve_flat_scratch 0
		.amdhsa_float_round_mode_32 0
		.amdhsa_float_round_mode_16_64 0
		.amdhsa_float_denorm_mode_32 3
		.amdhsa_float_denorm_mode_16_64 3
		.amdhsa_dx10_clamp 1
		.amdhsa_ieee_mode 1
		.amdhsa_fp16_overflow 0
		.amdhsa_workgroup_processor_mode 1
		.amdhsa_memory_ordered 1
		.amdhsa_forward_progress 1
		.amdhsa_shared_vgpr_count 0
		.amdhsa_exception_fp_ieee_invalid_op 0
		.amdhsa_exception_fp_denorm_src 0
		.amdhsa_exception_fp_ieee_div_zero 0
		.amdhsa_exception_fp_ieee_overflow 0
		.amdhsa_exception_fp_ieee_underflow 0
		.amdhsa_exception_fp_ieee_inexact 0
		.amdhsa_exception_int_div_zero 0
	.end_amdhsa_kernel
	.section	.text._ZN9rocsparseL19gebsrmvn_3xn_kernelILj128ELj7ELj16EfEEvi20rocsparse_direction_NS_24const_host_device_scalarIT2_EEPKiS6_PKS3_S8_S4_PS3_21rocsparse_index_base_b,"axG",@progbits,_ZN9rocsparseL19gebsrmvn_3xn_kernelILj128ELj7ELj16EfEEvi20rocsparse_direction_NS_24const_host_device_scalarIT2_EEPKiS6_PKS3_S8_S4_PS3_21rocsparse_index_base_b,comdat
.Lfunc_end27:
	.size	_ZN9rocsparseL19gebsrmvn_3xn_kernelILj128ELj7ELj16EfEEvi20rocsparse_direction_NS_24const_host_device_scalarIT2_EEPKiS6_PKS3_S8_S4_PS3_21rocsparse_index_base_b, .Lfunc_end27-_ZN9rocsparseL19gebsrmvn_3xn_kernelILj128ELj7ELj16EfEEvi20rocsparse_direction_NS_24const_host_device_scalarIT2_EEPKiS6_PKS3_S8_S4_PS3_21rocsparse_index_base_b
                                        ; -- End function
	.set _ZN9rocsparseL19gebsrmvn_3xn_kernelILj128ELj7ELj16EfEEvi20rocsparse_direction_NS_24const_host_device_scalarIT2_EEPKiS6_PKS3_S8_S4_PS3_21rocsparse_index_base_b.num_vgpr, 44
	.set _ZN9rocsparseL19gebsrmvn_3xn_kernelILj128ELj7ELj16EfEEvi20rocsparse_direction_NS_24const_host_device_scalarIT2_EEPKiS6_PKS3_S8_S4_PS3_21rocsparse_index_base_b.num_agpr, 0
	.set _ZN9rocsparseL19gebsrmvn_3xn_kernelILj128ELj7ELj16EfEEvi20rocsparse_direction_NS_24const_host_device_scalarIT2_EEPKiS6_PKS3_S8_S4_PS3_21rocsparse_index_base_b.numbered_sgpr, 20
	.set _ZN9rocsparseL19gebsrmvn_3xn_kernelILj128ELj7ELj16EfEEvi20rocsparse_direction_NS_24const_host_device_scalarIT2_EEPKiS6_PKS3_S8_S4_PS3_21rocsparse_index_base_b.num_named_barrier, 0
	.set _ZN9rocsparseL19gebsrmvn_3xn_kernelILj128ELj7ELj16EfEEvi20rocsparse_direction_NS_24const_host_device_scalarIT2_EEPKiS6_PKS3_S8_S4_PS3_21rocsparse_index_base_b.private_seg_size, 0
	.set _ZN9rocsparseL19gebsrmvn_3xn_kernelILj128ELj7ELj16EfEEvi20rocsparse_direction_NS_24const_host_device_scalarIT2_EEPKiS6_PKS3_S8_S4_PS3_21rocsparse_index_base_b.uses_vcc, 1
	.set _ZN9rocsparseL19gebsrmvn_3xn_kernelILj128ELj7ELj16EfEEvi20rocsparse_direction_NS_24const_host_device_scalarIT2_EEPKiS6_PKS3_S8_S4_PS3_21rocsparse_index_base_b.uses_flat_scratch, 0
	.set _ZN9rocsparseL19gebsrmvn_3xn_kernelILj128ELj7ELj16EfEEvi20rocsparse_direction_NS_24const_host_device_scalarIT2_EEPKiS6_PKS3_S8_S4_PS3_21rocsparse_index_base_b.has_dyn_sized_stack, 0
	.set _ZN9rocsparseL19gebsrmvn_3xn_kernelILj128ELj7ELj16EfEEvi20rocsparse_direction_NS_24const_host_device_scalarIT2_EEPKiS6_PKS3_S8_S4_PS3_21rocsparse_index_base_b.has_recursion, 0
	.set _ZN9rocsparseL19gebsrmvn_3xn_kernelILj128ELj7ELj16EfEEvi20rocsparse_direction_NS_24const_host_device_scalarIT2_EEPKiS6_PKS3_S8_S4_PS3_21rocsparse_index_base_b.has_indirect_call, 0
	.section	.AMDGPU.csdata,"",@progbits
; Kernel info:
; codeLenInByte = 3348
; TotalNumSgprs: 22
; NumVgprs: 44
; ScratchSize: 0
; MemoryBound: 0
; FloatMode: 240
; IeeeMode: 1
; LDSByteSize: 0 bytes/workgroup (compile time only)
; SGPRBlocks: 0
; VGPRBlocks: 5
; NumSGPRsForWavesPerEU: 22
; NumVGPRsForWavesPerEU: 44
; Occupancy: 16
; WaveLimiterHint : 1
; COMPUTE_PGM_RSRC2:SCRATCH_EN: 0
; COMPUTE_PGM_RSRC2:USER_SGPR: 6
; COMPUTE_PGM_RSRC2:TRAP_HANDLER: 0
; COMPUTE_PGM_RSRC2:TGID_X_EN: 1
; COMPUTE_PGM_RSRC2:TGID_Y_EN: 0
; COMPUTE_PGM_RSRC2:TGID_Z_EN: 0
; COMPUTE_PGM_RSRC2:TIDIG_COMP_CNT: 0
	.section	.text._ZN9rocsparseL19gebsrmvn_3xn_kernelILj128ELj7ELj32EfEEvi20rocsparse_direction_NS_24const_host_device_scalarIT2_EEPKiS6_PKS3_S8_S4_PS3_21rocsparse_index_base_b,"axG",@progbits,_ZN9rocsparseL19gebsrmvn_3xn_kernelILj128ELj7ELj32EfEEvi20rocsparse_direction_NS_24const_host_device_scalarIT2_EEPKiS6_PKS3_S8_S4_PS3_21rocsparse_index_base_b,comdat
	.globl	_ZN9rocsparseL19gebsrmvn_3xn_kernelILj128ELj7ELj32EfEEvi20rocsparse_direction_NS_24const_host_device_scalarIT2_EEPKiS6_PKS3_S8_S4_PS3_21rocsparse_index_base_b ; -- Begin function _ZN9rocsparseL19gebsrmvn_3xn_kernelILj128ELj7ELj32EfEEvi20rocsparse_direction_NS_24const_host_device_scalarIT2_EEPKiS6_PKS3_S8_S4_PS3_21rocsparse_index_base_b
	.p2align	8
	.type	_ZN9rocsparseL19gebsrmvn_3xn_kernelILj128ELj7ELj32EfEEvi20rocsparse_direction_NS_24const_host_device_scalarIT2_EEPKiS6_PKS3_S8_S4_PS3_21rocsparse_index_base_b,@function
_ZN9rocsparseL19gebsrmvn_3xn_kernelILj128ELj7ELj32EfEEvi20rocsparse_direction_NS_24const_host_device_scalarIT2_EEPKiS6_PKS3_S8_S4_PS3_21rocsparse_index_base_b: ; @_ZN9rocsparseL19gebsrmvn_3xn_kernelILj128ELj7ELj32EfEEvi20rocsparse_direction_NS_24const_host_device_scalarIT2_EEPKiS6_PKS3_S8_S4_PS3_21rocsparse_index_base_b
; %bb.0:
	s_clause 0x2
	s_load_dwordx2 s[18:19], s[4:5], 0x40
	s_load_dwordx2 s[16:17], s[4:5], 0x8
	;; [unrolled: 1-line block ×3, first 2 shown]
	s_waitcnt lgkmcnt(0)
	s_bitcmp1_b32 s19, 0
	s_cselect_b32 s0, -1, 0
	s_and_b32 vcc_lo, exec_lo, s0
	s_xor_b32 s0, s0, -1
	s_cbranch_vccnz .LBB28_2
; %bb.1:
	s_load_dword s16, s[16:17], 0x0
.LBB28_2:
	s_andn2_b32 vcc_lo, exec_lo, s0
	s_cbranch_vccnz .LBB28_4
; %bb.3:
	s_load_dword s2, s[2:3], 0x0
.LBB28_4:
	s_waitcnt lgkmcnt(0)
	v_cmp_eq_f32_e64 s0, s16, 0
	v_cmp_eq_f32_e64 s1, s2, 1.0
	s_and_b32 s0, s0, s1
	s_and_b32 vcc_lo, exec_lo, s0
	s_cbranch_vccnz .LBB28_23
; %bb.5:
	s_load_dwordx2 s[0:1], s[4:5], 0x0
	v_lshrrev_b32_e32 v1, 5, v0
	v_lshl_or_b32 v1, s6, 2, v1
	s_waitcnt lgkmcnt(0)
	v_cmp_gt_i32_e32 vcc_lo, s0, v1
	s_and_saveexec_b32 s0, vcc_lo
	s_cbranch_execz .LBB28_23
; %bb.6:
	s_load_dwordx8 s[8:15], s[4:5], 0x10
	v_ashrrev_i32_e32 v2, 31, v1
	v_and_b32_e32 v0, 31, v0
	s_cmp_lg_u32 s1, 0
	v_lshlrev_b64 v[2:3], 2, v[1:2]
	s_waitcnt lgkmcnt(0)
	v_add_co_u32 v2, vcc_lo, s8, v2
	v_add_co_ci_u32_e64 v3, null, s9, v3, vcc_lo
	global_load_dwordx2 v[2:3], v[2:3], off
	s_waitcnt vmcnt(0)
	v_subrev_nc_u32_e32 v2, s18, v2
	v_subrev_nc_u32_e32 v12, s18, v3
	v_add_nc_u32_e32 v2, v2, v0
	v_cmp_lt_i32_e64 s0, v2, v12
	s_cbranch_scc0 .LBB28_12
; %bb.7:
	v_mov_b32_e32 v9, 0
	v_mov_b32_e32 v10, 0
	;; [unrolled: 1-line block ×3, first 2 shown]
	s_and_saveexec_b32 s1, s0
	s_cbranch_execz .LBB28_11
; %bb.8:
	v_mad_u64_u32 v[3:4], null, v2, 21, 20
	v_mov_b32_e32 v6, 0
	v_mov_b32_e32 v7, v2
	;; [unrolled: 1-line block ×5, first 2 shown]
	s_mov_b32 s3, 0
.LBB28_9:                               ; =>This Inner Loop Header: Depth=1
	v_ashrrev_i32_e32 v8, 31, v7
	v_mov_b32_e32 v14, v6
	v_lshlrev_b64 v[4:5], 2, v[7:8]
	v_add_nc_u32_e32 v7, 32, v7
	v_add_co_u32 v4, vcc_lo, s10, v4
	v_add_co_ci_u32_e64 v5, null, s11, v5, vcc_lo
	global_load_dword v8, v[4:5], off
	v_subrev_nc_u32_e32 v5, 20, v3
	v_mov_b32_e32 v4, v6
	v_lshlrev_b64 v[15:16], 2, v[5:6]
	v_subrev_nc_u32_e32 v5, 19, v3
	v_lshlrev_b64 v[17:18], 2, v[3:4]
	v_lshlrev_b64 v[19:20], 2, v[5:6]
	v_subrev_nc_u32_e32 v5, 18, v3
	v_add_co_u32 v15, vcc_lo, s12, v15
	v_add_co_ci_u32_e64 v16, null, s13, v16, vcc_lo
	v_add_co_u32 v17, vcc_lo, s12, v17
	v_lshlrev_b64 v[21:22], 2, v[5:6]
	v_subrev_nc_u32_e32 v5, 17, v3
	v_add_co_ci_u32_e64 v18, null, s13, v18, vcc_lo
	v_add_co_u32 v19, vcc_lo, s12, v19
	v_add_co_ci_u32_e64 v20, null, s13, v20, vcc_lo
	v_lshlrev_b64 v[4:5], 2, v[5:6]
	s_clause 0x1
	global_load_dword v23, v[15:16], off
	global_load_dword v24, v[19:20], off
	v_add_co_u32 v15, vcc_lo, s12, v21
	v_add_co_ci_u32_e64 v16, null, s13, v22, vcc_lo
	v_add_co_u32 v4, vcc_lo, s12, v4
	v_add_co_ci_u32_e64 v5, null, s13, v5, vcc_lo
	s_clause 0x1
	global_load_dword v25, v[15:16], off
	global_load_dword v26, v[4:5], off
	s_waitcnt vmcnt(4)
	v_subrev_nc_u32_e32 v4, s18, v8
	v_mul_lo_u32 v13, v4, 7
	v_add_nc_u32_e32 v5, 1, v13
	v_lshlrev_b64 v[14:15], 2, v[13:14]
	v_lshlrev_b64 v[19:20], 2, v[5:6]
	v_add_nc_u32_e32 v5, -16, v3
	v_add_co_u32 v14, vcc_lo, s14, v14
	v_add_co_ci_u32_e64 v15, null, s15, v15, vcc_lo
	v_add_co_u32 v19, vcc_lo, s14, v19
	v_lshlrev_b64 v[21:22], 2, v[5:6]
	v_add_nc_u32_e32 v5, -15, v3
	v_add_co_ci_u32_e64 v20, null, s15, v20, vcc_lo
	s_clause 0x1
	global_load_dword v8, v[14:15], off
	global_load_dword v27, v[19:20], off
	v_lshlrev_b64 v[14:15], 2, v[5:6]
	v_add_nc_u32_e32 v5, -14, v3
	v_add_co_u32 v19, vcc_lo, s12, v21
	v_add_co_ci_u32_e64 v20, null, s13, v22, vcc_lo
	v_add_co_u32 v14, vcc_lo, s12, v14
	v_lshlrev_b64 v[21:22], 2, v[5:6]
	v_add_nc_u32_e32 v5, 2, v13
	v_add_co_ci_u32_e64 v15, null, s13, v15, vcc_lo
	s_clause 0x1
	global_load_dword v28, v[19:20], off
	global_load_dword v29, v[14:15], off
	v_lshlrev_b64 v[19:20], 2, v[5:6]
	v_add_nc_u32_e32 v5, -13, v3
	v_add_co_u32 v14, vcc_lo, s12, v21
	v_add_co_ci_u32_e64 v15, null, s13, v22, vcc_lo
	v_lshlrev_b64 v[21:22], 2, v[5:6]
	v_add_nc_u32_e32 v5, -12, v3
	v_add_co_u32 v19, vcc_lo, s14, v19
	v_add_co_ci_u32_e64 v20, null, s15, v20, vcc_lo
	global_load_dword v30, v[14:15], off
	v_lshlrev_b64 v[14:15], 2, v[5:6]
	v_add_nc_u32_e32 v5, -11, v3
	global_load_dword v31, v[19:20], off
	v_add_co_u32 v19, vcc_lo, s12, v21
	v_add_co_ci_u32_e64 v20, null, s13, v22, vcc_lo
	v_add_co_u32 v14, vcc_lo, s12, v14
	v_lshlrev_b64 v[21:22], 2, v[5:6]
	v_add_nc_u32_e32 v5, 3, v13
	v_add_co_ci_u32_e64 v15, null, s13, v15, vcc_lo
	s_clause 0x1
	global_load_dword v32, v[19:20], off
	global_load_dword v33, v[14:15], off
	v_lshlrev_b64 v[19:20], 2, v[5:6]
	v_add_nc_u32_e32 v5, -10, v3
	v_add_co_u32 v14, vcc_lo, s12, v21
	v_add_co_ci_u32_e64 v15, null, s13, v22, vcc_lo
	v_lshlrev_b64 v[21:22], 2, v[5:6]
	v_add_nc_u32_e32 v5, -9, v3
	v_add_co_u32 v19, vcc_lo, s14, v19
	v_add_co_ci_u32_e64 v20, null, s15, v20, vcc_lo
	global_load_dword v34, v[14:15], off
	v_lshlrev_b64 v[14:15], 2, v[5:6]
	v_add_nc_u32_e32 v5, -8, v3
	global_load_dword v35, v[19:20], off
	;; [unrolled: 21-line block ×4, first 2 shown]
	v_add_co_u32 v19, vcc_lo, s12, v21
	v_add_co_ci_u32_e64 v20, null, s13, v22, vcc_lo
	v_lshlrev_b64 v[21:22], 2, v[5:6]
	v_add_nc_u32_e32 v5, 6, v13
	v_add_co_u32 v13, vcc_lo, s12, v14
	v_add_co_ci_u32_e64 v14, null, s13, v15, vcc_lo
	v_lshlrev_b64 v[15:16], 2, v[5:6]
	v_add_nc_u32_e32 v5, -1, v3
	s_clause 0x1
	global_load_dword v19, v[19:20], off
	global_load_dword v20, v[13:14], off
	v_add_co_u32 v13, vcc_lo, s12, v21
	v_lshlrev_b64 v[4:5], 2, v[5:6]
	v_add_co_ci_u32_e64 v14, null, s13, v22, vcc_lo
	v_add_co_u32 v15, vcc_lo, s14, v15
	v_add_co_ci_u32_e64 v16, null, s15, v16, vcc_lo
	v_add_co_u32 v4, vcc_lo, s12, v4
	v_add_co_ci_u32_e64 v5, null, s13, v5, vcc_lo
	global_load_dword v13, v[13:14], off
	global_load_dword v14, v[15:16], off
	s_clause 0x1
	global_load_dword v4, v[4:5], off
	global_load_dword v5, v[17:18], off
	v_cmp_ge_i32_e32 vcc_lo, v7, v12
	v_add_nc_u32_e32 v3, 0x2a0, v3
	s_or_b32 s3, vcc_lo, s3
	s_waitcnt vmcnt(23)
	v_fmac_f32_e32 v9, v23, v8
	v_fmac_f32_e32 v11, v24, v8
	;; [unrolled: 1-line block ×3, first 2 shown]
	s_waitcnt vmcnt(22)
	v_fmac_f32_e32 v9, v26, v27
	s_waitcnt vmcnt(21)
	v_fmac_f32_e32 v11, v28, v27
	;; [unrolled: 2-line block ×18, first 2 shown]
	s_andn2_b32 exec_lo, exec_lo, s3
	s_cbranch_execnz .LBB28_9
; %bb.10:
	s_or_b32 exec_lo, exec_lo, s3
.LBB28_11:
	s_or_b32 exec_lo, exec_lo, s1
	s_cbranch_execz .LBB28_13
	s_branch .LBB28_18
.LBB28_12:
                                        ; implicit-def: $vgpr9
                                        ; implicit-def: $vgpr10
                                        ; implicit-def: $vgpr11
.LBB28_13:
	v_mov_b32_e32 v9, 0
	v_mov_b32_e32 v10, 0
	;; [unrolled: 1-line block ×3, first 2 shown]
	s_and_saveexec_b32 s1, s0
	s_cbranch_execz .LBB28_17
; %bb.14:
	v_mad_u64_u32 v[4:5], null, v2, 21, 20
	v_mov_b32_e32 v7, 0
	v_mov_b32_e32 v9, 0
	;; [unrolled: 1-line block ×4, first 2 shown]
	s_mov_b32 s0, 0
.LBB28_15:                              ; =>This Inner Loop Header: Depth=1
	v_ashrrev_i32_e32 v3, 31, v2
	v_add_nc_u32_e32 v13, -13, v4
	v_mov_b32_e32 v14, v7
	v_add_nc_u32_e32 v15, -6, v4
	v_mov_b32_e32 v16, v7
	v_lshlrev_b64 v[5:6], 2, v[2:3]
	v_mov_b32_e32 v17, v7
	v_lshlrev_b64 v[13:14], 2, v[13:14]
	v_add_nc_u32_e32 v2, 32, v2
	v_lshlrev_b64 v[15:16], 2, v[15:16]
	v_add_co_u32 v5, vcc_lo, s10, v5
	v_add_co_ci_u32_e64 v6, null, s11, v6, vcc_lo
	global_load_dword v3, v[5:6], off
	v_subrev_nc_u32_e32 v6, 20, v4
	v_mov_b32_e32 v5, v7
	v_lshlrev_b64 v[18:19], 2, v[6:7]
	v_subrev_nc_u32_e32 v6, 19, v4
	v_lshlrev_b64 v[20:21], 2, v[4:5]
	v_lshlrev_b64 v[5:6], 2, v[6:7]
	v_add_co_u32 v18, vcc_lo, s12, v18
	v_add_co_ci_u32_e64 v19, null, s13, v19, vcc_lo
	v_add_co_u32 v13, vcc_lo, s12, v13
	v_add_co_ci_u32_e64 v14, null, s13, v14, vcc_lo
	;; [unrolled: 2-line block ×5, first 2 shown]
	s_clause 0x3
	global_load_dword v8, v[18:19], off
	global_load_dword v19, v[13:14], off
	;; [unrolled: 1-line block ×4, first 2 shown]
	s_waitcnt vmcnt(4)
	v_subrev_nc_u32_e32 v3, s18, v3
	v_mul_lo_u32 v16, v3, 7
	v_add_nc_u32_e32 v6, 1, v16
	v_lshlrev_b64 v[13:14], 2, v[16:17]
	v_lshlrev_b64 v[17:18], 2, v[6:7]
	v_add_nc_u32_e32 v6, -12, v4
	v_add_co_u32 v13, vcc_lo, s14, v13
	v_add_co_ci_u32_e64 v14, null, s15, v14, vcc_lo
	v_add_co_u32 v17, vcc_lo, s14, v17
	v_lshlrev_b64 v[22:23], 2, v[6:7]
	v_add_nc_u32_e32 v6, -5, v4
	v_add_co_ci_u32_e64 v18, null, s15, v18, vcc_lo
	s_clause 0x1
	global_load_dword v3, v[13:14], off
	global_load_dword v26, v[17:18], off
	v_lshlrev_b64 v[13:14], 2, v[6:7]
	v_subrev_nc_u32_e32 v6, 18, v4
	v_add_co_u32 v17, vcc_lo, s12, v22
	v_add_co_ci_u32_e64 v18, null, s13, v23, vcc_lo
	v_add_co_u32 v13, vcc_lo, s12, v13
	v_lshlrev_b64 v[22:23], 2, v[6:7]
	v_add_nc_u32_e32 v6, 2, v16
	v_add_co_ci_u32_e64 v14, null, s13, v14, vcc_lo
	s_clause 0x1
	global_load_dword v27, v[17:18], off
	global_load_dword v28, v[13:14], off
	v_lshlrev_b64 v[17:18], 2, v[6:7]
	v_add_nc_u32_e32 v6, -11, v4
	v_add_co_u32 v13, vcc_lo, s12, v22
	v_add_co_ci_u32_e64 v14, null, s13, v23, vcc_lo
	v_lshlrev_b64 v[22:23], 2, v[6:7]
	v_add_nc_u32_e32 v6, -4, v4
	v_add_co_u32 v17, vcc_lo, s14, v17
	v_add_co_ci_u32_e64 v18, null, s15, v18, vcc_lo
	global_load_dword v29, v[13:14], off
	v_lshlrev_b64 v[13:14], 2, v[6:7]
	v_subrev_nc_u32_e32 v6, 17, v4
	global_load_dword v30, v[17:18], off
	v_add_co_u32 v17, vcc_lo, s12, v22
	v_add_co_ci_u32_e64 v18, null, s13, v23, vcc_lo
	v_add_co_u32 v13, vcc_lo, s12, v13
	v_lshlrev_b64 v[22:23], 2, v[6:7]
	v_add_nc_u32_e32 v6, 3, v16
	v_add_co_ci_u32_e64 v14, null, s13, v14, vcc_lo
	s_clause 0x1
	global_load_dword v31, v[17:18], off
	global_load_dword v32, v[13:14], off
	v_lshlrev_b64 v[17:18], 2, v[6:7]
	v_add_nc_u32_e32 v6, -10, v4
	v_add_co_u32 v13, vcc_lo, s12, v22
	v_add_co_ci_u32_e64 v14, null, s13, v23, vcc_lo
	v_lshlrev_b64 v[22:23], 2, v[6:7]
	v_add_nc_u32_e32 v6, -3, v4
	v_add_co_u32 v17, vcc_lo, s14, v17
	v_add_co_ci_u32_e64 v18, null, s15, v18, vcc_lo
	global_load_dword v33, v[13:14], off
	v_lshlrev_b64 v[13:14], 2, v[6:7]
	v_add_nc_u32_e32 v6, -16, v4
	global_load_dword v34, v[17:18], off
	v_add_co_u32 v17, vcc_lo, s12, v22
	v_add_co_ci_u32_e64 v18, null, s13, v23, vcc_lo
	v_add_co_u32 v13, vcc_lo, s12, v13
	v_lshlrev_b64 v[22:23], 2, v[6:7]
	v_add_nc_u32_e32 v6, 4, v16
	v_add_co_ci_u32_e64 v14, null, s13, v14, vcc_lo
	s_clause 0x1
	global_load_dword v35, v[17:18], off
	global_load_dword v36, v[13:14], off
	v_lshlrev_b64 v[17:18], 2, v[6:7]
	v_add_nc_u32_e32 v6, -9, v4
	v_add_co_u32 v13, vcc_lo, s12, v22
	v_add_co_ci_u32_e64 v14, null, s13, v23, vcc_lo
	v_lshlrev_b64 v[22:23], 2, v[6:7]
	v_add_nc_u32_e32 v6, -2, v4
	v_add_co_u32 v17, vcc_lo, s14, v17
	v_add_co_ci_u32_e64 v18, null, s15, v18, vcc_lo
	global_load_dword v37, v[13:14], off
	v_lshlrev_b64 v[13:14], 2, v[6:7]
	v_add_nc_u32_e32 v6, -15, v4
	;; [unrolled: 21-line block ×3, first 2 shown]
	global_load_dword v42, v[17:18], off
	v_add_co_u32 v17, vcc_lo, s12, v22
	v_add_co_ci_u32_e64 v18, null, s13, v23, vcc_lo
	v_lshlrev_b64 v[22:23], 2, v[6:7]
	v_add_nc_u32_e32 v6, 6, v16
	v_add_co_u32 v13, vcc_lo, s12, v13
	v_add_co_ci_u32_e64 v14, null, s13, v14, vcc_lo
	v_lshlrev_b64 v[15:16], 2, v[6:7]
	v_add_nc_u32_e32 v6, -7, v4
	s_clause 0x1
	global_load_dword v17, v[17:18], off
	global_load_dword v18, v[13:14], off
	v_add_co_u32 v13, vcc_lo, s12, v22
	v_lshlrev_b64 v[5:6], 2, v[6:7]
	v_add_co_ci_u32_e64 v14, null, s13, v23, vcc_lo
	v_add_co_u32 v15, vcc_lo, s14, v15
	v_add_co_ci_u32_e64 v16, null, s15, v16, vcc_lo
	v_add_co_u32 v5, vcc_lo, s12, v5
	v_add_co_ci_u32_e64 v6, null, s13, v6, vcc_lo
	global_load_dword v13, v[13:14], off
	global_load_dword v14, v[15:16], off
	s_clause 0x1
	global_load_dword v5, v[5:6], off
	global_load_dword v6, v[20:21], off
	v_cmp_ge_i32_e32 vcc_lo, v2, v12
	v_add_nc_u32_e32 v4, 0x2a0, v4
	s_or_b32 s0, vcc_lo, s0
	s_waitcnt vmcnt(23)
	v_fmac_f32_e32 v9, v8, v3
	v_fmac_f32_e32 v11, v19, v3
	;; [unrolled: 1-line block ×3, first 2 shown]
	s_waitcnt vmcnt(22)
	v_fmac_f32_e32 v9, v25, v26
	s_waitcnt vmcnt(21)
	v_fmac_f32_e32 v11, v27, v26
	;; [unrolled: 2-line block ×18, first 2 shown]
	s_andn2_b32 exec_lo, exec_lo, s0
	s_cbranch_execnz .LBB28_15
; %bb.16:
	s_or_b32 exec_lo, exec_lo, s0
.LBB28_17:
	s_or_b32 exec_lo, exec_lo, s1
.LBB28_18:
	v_mbcnt_lo_u32_b32 v2, -1, 0
	s_mov_b32 s3, -1
	v_xor_b32_e32 v3, 16, v2
	v_xor_b32_e32 v6, 8, v2
	v_cmp_gt_i32_e32 vcc_lo, 32, v3
	v_cndmask_b32_e32 v3, v2, v3, vcc_lo
	v_cmp_gt_i32_e32 vcc_lo, 32, v6
	v_lshlrev_b32_e32 v3, 2, v3
	v_cndmask_b32_e32 v6, v2, v6, vcc_lo
	ds_bpermute_b32 v4, v3, v9
	ds_bpermute_b32 v5, v3, v11
	ds_bpermute_b32 v3, v3, v10
	v_lshlrev_b32_e32 v6, 2, v6
	s_waitcnt lgkmcnt(2)
	v_add_f32_e32 v4, v9, v4
	s_waitcnt lgkmcnt(1)
	v_add_f32_e32 v5, v11, v5
	;; [unrolled: 2-line block ×3, first 2 shown]
	v_xor_b32_e32 v9, 4, v2
	ds_bpermute_b32 v7, v6, v4
	ds_bpermute_b32 v8, v6, v5
	;; [unrolled: 1-line block ×3, first 2 shown]
	v_cmp_gt_i32_e32 vcc_lo, 32, v9
	v_cndmask_b32_e32 v9, v2, v9, vcc_lo
	v_lshlrev_b32_e32 v9, 2, v9
	s_waitcnt lgkmcnt(2)
	v_add_f32_e32 v4, v4, v7
	s_waitcnt lgkmcnt(1)
	v_add_f32_e32 v5, v5, v8
	;; [unrolled: 2-line block ×3, first 2 shown]
	ds_bpermute_b32 v6, v9, v4
	ds_bpermute_b32 v7, v9, v5
	;; [unrolled: 1-line block ×3, first 2 shown]
	v_xor_b32_e32 v9, 2, v2
	v_cmp_gt_i32_e32 vcc_lo, 32, v9
	v_cndmask_b32_e32 v9, v2, v9, vcc_lo
	v_lshlrev_b32_e32 v9, 2, v9
	s_waitcnt lgkmcnt(2)
	v_add_f32_e32 v4, v4, v6
	s_waitcnt lgkmcnt(1)
	v_add_f32_e32 v5, v5, v7
	;; [unrolled: 2-line block ×3, first 2 shown]
	ds_bpermute_b32 v3, v9, v4
	ds_bpermute_b32 v7, v9, v5
	;; [unrolled: 1-line block ×3, first 2 shown]
	v_xor_b32_e32 v9, 1, v2
	v_cmp_gt_i32_e32 vcc_lo, 32, v9
	v_cndmask_b32_e32 v2, v2, v9, vcc_lo
	v_cmp_eq_u32_e32 vcc_lo, 31, v0
	v_lshlrev_b32_e32 v9, 2, v2
	s_waitcnt lgkmcnt(2)
	v_add_f32_e32 v2, v4, v3
	s_waitcnt lgkmcnt(1)
	v_add_f32_e32 v3, v5, v7
	;; [unrolled: 2-line block ×3, first 2 shown]
	ds_bpermute_b32 v5, v9, v2
	ds_bpermute_b32 v6, v9, v3
	;; [unrolled: 1-line block ×3, first 2 shown]
	s_and_b32 exec_lo, exec_lo, vcc_lo
	s_cbranch_execz .LBB28_23
; %bb.19:
	s_load_dwordx2 s[0:1], s[4:5], 0x38
	s_waitcnt lgkmcnt(0)
	v_add_f32_e32 v0, v2, v5
	v_add_f32_e32 v2, v3, v6
	v_add_f32_e32 v4, v4, v7
	v_lshl_add_u32 v3, v1, 1, v1
	v_cmp_eq_f32_e64 s4, s2, 0
	v_mul_f32_e32 v0, s16, v0
	v_mul_f32_e32 v1, s16, v2
	;; [unrolled: 1-line block ×3, first 2 shown]
	v_ashrrev_i32_e32 v4, 31, v3
	s_and_b32 vcc_lo, exec_lo, s4
	s_cbranch_vccz .LBB28_21
; %bb.20:
	v_lshlrev_b64 v[5:6], 2, v[3:4]
	s_mov_b32 s3, 0
	v_add_co_u32 v5, vcc_lo, s0, v5
	v_add_co_ci_u32_e64 v6, null, s1, v6, vcc_lo
	global_store_dwordx3 v[5:6], v[0:2], off
.LBB28_21:
	s_andn2_b32 vcc_lo, exec_lo, s3
	s_cbranch_vccnz .LBB28_23
; %bb.22:
	v_lshlrev_b64 v[3:4], 2, v[3:4]
	v_add_co_u32 v6, vcc_lo, s0, v3
	v_add_co_ci_u32_e64 v7, null, s1, v4, vcc_lo
	global_load_dwordx3 v[3:5], v[6:7], off
	s_waitcnt vmcnt(0)
	v_fmac_f32_e32 v0, s2, v3
	v_fmac_f32_e32 v1, s2, v4
	;; [unrolled: 1-line block ×3, first 2 shown]
	global_store_dwordx3 v[6:7], v[0:2], off
.LBB28_23:
	s_endpgm
	.section	.rodata,"a",@progbits
	.p2align	6, 0x0
	.amdhsa_kernel _ZN9rocsparseL19gebsrmvn_3xn_kernelILj128ELj7ELj32EfEEvi20rocsparse_direction_NS_24const_host_device_scalarIT2_EEPKiS6_PKS3_S8_S4_PS3_21rocsparse_index_base_b
		.amdhsa_group_segment_fixed_size 0
		.amdhsa_private_segment_fixed_size 0
		.amdhsa_kernarg_size 72
		.amdhsa_user_sgpr_count 6
		.amdhsa_user_sgpr_private_segment_buffer 1
		.amdhsa_user_sgpr_dispatch_ptr 0
		.amdhsa_user_sgpr_queue_ptr 0
		.amdhsa_user_sgpr_kernarg_segment_ptr 1
		.amdhsa_user_sgpr_dispatch_id 0
		.amdhsa_user_sgpr_flat_scratch_init 0
		.amdhsa_user_sgpr_private_segment_size 0
		.amdhsa_wavefront_size32 1
		.amdhsa_uses_dynamic_stack 0
		.amdhsa_system_sgpr_private_segment_wavefront_offset 0
		.amdhsa_system_sgpr_workgroup_id_x 1
		.amdhsa_system_sgpr_workgroup_id_y 0
		.amdhsa_system_sgpr_workgroup_id_z 0
		.amdhsa_system_sgpr_workgroup_info 0
		.amdhsa_system_vgpr_workitem_id 0
		.amdhsa_next_free_vgpr 44
		.amdhsa_next_free_sgpr 20
		.amdhsa_reserve_vcc 1
		.amdhsa_reserve_flat_scratch 0
		.amdhsa_float_round_mode_32 0
		.amdhsa_float_round_mode_16_64 0
		.amdhsa_float_denorm_mode_32 3
		.amdhsa_float_denorm_mode_16_64 3
		.amdhsa_dx10_clamp 1
		.amdhsa_ieee_mode 1
		.amdhsa_fp16_overflow 0
		.amdhsa_workgroup_processor_mode 1
		.amdhsa_memory_ordered 1
		.amdhsa_forward_progress 1
		.amdhsa_shared_vgpr_count 0
		.amdhsa_exception_fp_ieee_invalid_op 0
		.amdhsa_exception_fp_denorm_src 0
		.amdhsa_exception_fp_ieee_div_zero 0
		.amdhsa_exception_fp_ieee_overflow 0
		.amdhsa_exception_fp_ieee_underflow 0
		.amdhsa_exception_fp_ieee_inexact 0
		.amdhsa_exception_int_div_zero 0
	.end_amdhsa_kernel
	.section	.text._ZN9rocsparseL19gebsrmvn_3xn_kernelILj128ELj7ELj32EfEEvi20rocsparse_direction_NS_24const_host_device_scalarIT2_EEPKiS6_PKS3_S8_S4_PS3_21rocsparse_index_base_b,"axG",@progbits,_ZN9rocsparseL19gebsrmvn_3xn_kernelILj128ELj7ELj32EfEEvi20rocsparse_direction_NS_24const_host_device_scalarIT2_EEPKiS6_PKS3_S8_S4_PS3_21rocsparse_index_base_b,comdat
.Lfunc_end28:
	.size	_ZN9rocsparseL19gebsrmvn_3xn_kernelILj128ELj7ELj32EfEEvi20rocsparse_direction_NS_24const_host_device_scalarIT2_EEPKiS6_PKS3_S8_S4_PS3_21rocsparse_index_base_b, .Lfunc_end28-_ZN9rocsparseL19gebsrmvn_3xn_kernelILj128ELj7ELj32EfEEvi20rocsparse_direction_NS_24const_host_device_scalarIT2_EEPKiS6_PKS3_S8_S4_PS3_21rocsparse_index_base_b
                                        ; -- End function
	.set _ZN9rocsparseL19gebsrmvn_3xn_kernelILj128ELj7ELj32EfEEvi20rocsparse_direction_NS_24const_host_device_scalarIT2_EEPKiS6_PKS3_S8_S4_PS3_21rocsparse_index_base_b.num_vgpr, 44
	.set _ZN9rocsparseL19gebsrmvn_3xn_kernelILj128ELj7ELj32EfEEvi20rocsparse_direction_NS_24const_host_device_scalarIT2_EEPKiS6_PKS3_S8_S4_PS3_21rocsparse_index_base_b.num_agpr, 0
	.set _ZN9rocsparseL19gebsrmvn_3xn_kernelILj128ELj7ELj32EfEEvi20rocsparse_direction_NS_24const_host_device_scalarIT2_EEPKiS6_PKS3_S8_S4_PS3_21rocsparse_index_base_b.numbered_sgpr, 20
	.set _ZN9rocsparseL19gebsrmvn_3xn_kernelILj128ELj7ELj32EfEEvi20rocsparse_direction_NS_24const_host_device_scalarIT2_EEPKiS6_PKS3_S8_S4_PS3_21rocsparse_index_base_b.num_named_barrier, 0
	.set _ZN9rocsparseL19gebsrmvn_3xn_kernelILj128ELj7ELj32EfEEvi20rocsparse_direction_NS_24const_host_device_scalarIT2_EEPKiS6_PKS3_S8_S4_PS3_21rocsparse_index_base_b.private_seg_size, 0
	.set _ZN9rocsparseL19gebsrmvn_3xn_kernelILj128ELj7ELj32EfEEvi20rocsparse_direction_NS_24const_host_device_scalarIT2_EEPKiS6_PKS3_S8_S4_PS3_21rocsparse_index_base_b.uses_vcc, 1
	.set _ZN9rocsparseL19gebsrmvn_3xn_kernelILj128ELj7ELj32EfEEvi20rocsparse_direction_NS_24const_host_device_scalarIT2_EEPKiS6_PKS3_S8_S4_PS3_21rocsparse_index_base_b.uses_flat_scratch, 0
	.set _ZN9rocsparseL19gebsrmvn_3xn_kernelILj128ELj7ELj32EfEEvi20rocsparse_direction_NS_24const_host_device_scalarIT2_EEPKiS6_PKS3_S8_S4_PS3_21rocsparse_index_base_b.has_dyn_sized_stack, 0
	.set _ZN9rocsparseL19gebsrmvn_3xn_kernelILj128ELj7ELj32EfEEvi20rocsparse_direction_NS_24const_host_device_scalarIT2_EEPKiS6_PKS3_S8_S4_PS3_21rocsparse_index_base_b.has_recursion, 0
	.set _ZN9rocsparseL19gebsrmvn_3xn_kernelILj128ELj7ELj32EfEEvi20rocsparse_direction_NS_24const_host_device_scalarIT2_EEPKiS6_PKS3_S8_S4_PS3_21rocsparse_index_base_b.has_indirect_call, 0
	.section	.AMDGPU.csdata,"",@progbits
; Kernel info:
; codeLenInByte = 3412
; TotalNumSgprs: 22
; NumVgprs: 44
; ScratchSize: 0
; MemoryBound: 0
; FloatMode: 240
; IeeeMode: 1
; LDSByteSize: 0 bytes/workgroup (compile time only)
; SGPRBlocks: 0
; VGPRBlocks: 5
; NumSGPRsForWavesPerEU: 22
; NumVGPRsForWavesPerEU: 44
; Occupancy: 16
; WaveLimiterHint : 1
; COMPUTE_PGM_RSRC2:SCRATCH_EN: 0
; COMPUTE_PGM_RSRC2:USER_SGPR: 6
; COMPUTE_PGM_RSRC2:TRAP_HANDLER: 0
; COMPUTE_PGM_RSRC2:TGID_X_EN: 1
; COMPUTE_PGM_RSRC2:TGID_Y_EN: 0
; COMPUTE_PGM_RSRC2:TGID_Z_EN: 0
; COMPUTE_PGM_RSRC2:TIDIG_COMP_CNT: 0
	.section	.text._ZN9rocsparseL19gebsrmvn_3xn_kernelILj128ELj7ELj64EfEEvi20rocsparse_direction_NS_24const_host_device_scalarIT2_EEPKiS6_PKS3_S8_S4_PS3_21rocsparse_index_base_b,"axG",@progbits,_ZN9rocsparseL19gebsrmvn_3xn_kernelILj128ELj7ELj64EfEEvi20rocsparse_direction_NS_24const_host_device_scalarIT2_EEPKiS6_PKS3_S8_S4_PS3_21rocsparse_index_base_b,comdat
	.globl	_ZN9rocsparseL19gebsrmvn_3xn_kernelILj128ELj7ELj64EfEEvi20rocsparse_direction_NS_24const_host_device_scalarIT2_EEPKiS6_PKS3_S8_S4_PS3_21rocsparse_index_base_b ; -- Begin function _ZN9rocsparseL19gebsrmvn_3xn_kernelILj128ELj7ELj64EfEEvi20rocsparse_direction_NS_24const_host_device_scalarIT2_EEPKiS6_PKS3_S8_S4_PS3_21rocsparse_index_base_b
	.p2align	8
	.type	_ZN9rocsparseL19gebsrmvn_3xn_kernelILj128ELj7ELj64EfEEvi20rocsparse_direction_NS_24const_host_device_scalarIT2_EEPKiS6_PKS3_S8_S4_PS3_21rocsparse_index_base_b,@function
_ZN9rocsparseL19gebsrmvn_3xn_kernelILj128ELj7ELj64EfEEvi20rocsparse_direction_NS_24const_host_device_scalarIT2_EEPKiS6_PKS3_S8_S4_PS3_21rocsparse_index_base_b: ; @_ZN9rocsparseL19gebsrmvn_3xn_kernelILj128ELj7ELj64EfEEvi20rocsparse_direction_NS_24const_host_device_scalarIT2_EEPKiS6_PKS3_S8_S4_PS3_21rocsparse_index_base_b
; %bb.0:
	s_clause 0x2
	s_load_dwordx2 s[18:19], s[4:5], 0x40
	s_load_dwordx2 s[16:17], s[4:5], 0x8
	;; [unrolled: 1-line block ×3, first 2 shown]
	s_waitcnt lgkmcnt(0)
	s_bitcmp1_b32 s19, 0
	s_cselect_b32 s0, -1, 0
	s_and_b32 vcc_lo, exec_lo, s0
	s_xor_b32 s0, s0, -1
	s_cbranch_vccnz .LBB29_2
; %bb.1:
	s_load_dword s16, s[16:17], 0x0
.LBB29_2:
	s_andn2_b32 vcc_lo, exec_lo, s0
	s_cbranch_vccnz .LBB29_4
; %bb.3:
	s_load_dword s2, s[2:3], 0x0
.LBB29_4:
	s_waitcnt lgkmcnt(0)
	v_cmp_eq_f32_e64 s0, s16, 0
	v_cmp_eq_f32_e64 s1, s2, 1.0
	s_and_b32 s0, s0, s1
	s_and_b32 vcc_lo, exec_lo, s0
	s_cbranch_vccnz .LBB29_23
; %bb.5:
	s_load_dwordx2 s[0:1], s[4:5], 0x0
	v_lshrrev_b32_e32 v1, 6, v0
	v_lshl_or_b32 v1, s6, 1, v1
	s_waitcnt lgkmcnt(0)
	v_cmp_gt_i32_e32 vcc_lo, s0, v1
	s_and_saveexec_b32 s0, vcc_lo
	s_cbranch_execz .LBB29_23
; %bb.6:
	s_load_dwordx8 s[8:15], s[4:5], 0x10
	v_ashrrev_i32_e32 v2, 31, v1
	v_and_b32_e32 v0, 63, v0
	s_cmp_lg_u32 s1, 0
	v_lshlrev_b64 v[2:3], 2, v[1:2]
	s_waitcnt lgkmcnt(0)
	v_add_co_u32 v2, vcc_lo, s8, v2
	v_add_co_ci_u32_e64 v3, null, s9, v3, vcc_lo
	global_load_dwordx2 v[2:3], v[2:3], off
	s_waitcnt vmcnt(0)
	v_subrev_nc_u32_e32 v2, s18, v2
	v_subrev_nc_u32_e32 v12, s18, v3
	v_add_nc_u32_e32 v2, v2, v0
	v_cmp_lt_i32_e64 s0, v2, v12
	s_cbranch_scc0 .LBB29_12
; %bb.7:
	v_mov_b32_e32 v9, 0
	v_mov_b32_e32 v10, 0
	;; [unrolled: 1-line block ×3, first 2 shown]
	s_and_saveexec_b32 s1, s0
	s_cbranch_execz .LBB29_11
; %bb.8:
	v_mad_u64_u32 v[3:4], null, v2, 21, 20
	v_mov_b32_e32 v6, 0
	v_mov_b32_e32 v7, v2
	;; [unrolled: 1-line block ×5, first 2 shown]
	s_mov_b32 s3, 0
.LBB29_9:                               ; =>This Inner Loop Header: Depth=1
	v_ashrrev_i32_e32 v8, 31, v7
	v_mov_b32_e32 v14, v6
	v_lshlrev_b64 v[4:5], 2, v[7:8]
	v_add_nc_u32_e32 v7, 64, v7
	v_add_co_u32 v4, vcc_lo, s10, v4
	v_add_co_ci_u32_e64 v5, null, s11, v5, vcc_lo
	global_load_dword v8, v[4:5], off
	v_subrev_nc_u32_e32 v5, 20, v3
	v_mov_b32_e32 v4, v6
	v_lshlrev_b64 v[15:16], 2, v[5:6]
	v_subrev_nc_u32_e32 v5, 19, v3
	v_lshlrev_b64 v[17:18], 2, v[3:4]
	v_lshlrev_b64 v[19:20], 2, v[5:6]
	v_subrev_nc_u32_e32 v5, 18, v3
	v_add_co_u32 v15, vcc_lo, s12, v15
	v_add_co_ci_u32_e64 v16, null, s13, v16, vcc_lo
	v_add_co_u32 v17, vcc_lo, s12, v17
	v_lshlrev_b64 v[21:22], 2, v[5:6]
	v_subrev_nc_u32_e32 v5, 17, v3
	v_add_co_ci_u32_e64 v18, null, s13, v18, vcc_lo
	v_add_co_u32 v19, vcc_lo, s12, v19
	v_add_co_ci_u32_e64 v20, null, s13, v20, vcc_lo
	v_lshlrev_b64 v[4:5], 2, v[5:6]
	s_clause 0x1
	global_load_dword v23, v[15:16], off
	global_load_dword v24, v[19:20], off
	v_add_co_u32 v15, vcc_lo, s12, v21
	v_add_co_ci_u32_e64 v16, null, s13, v22, vcc_lo
	v_add_co_u32 v4, vcc_lo, s12, v4
	v_add_co_ci_u32_e64 v5, null, s13, v5, vcc_lo
	s_clause 0x1
	global_load_dword v25, v[15:16], off
	global_load_dword v26, v[4:5], off
	s_waitcnt vmcnt(4)
	v_subrev_nc_u32_e32 v4, s18, v8
	v_mul_lo_u32 v13, v4, 7
	v_add_nc_u32_e32 v5, 1, v13
	v_lshlrev_b64 v[14:15], 2, v[13:14]
	v_lshlrev_b64 v[19:20], 2, v[5:6]
	v_add_nc_u32_e32 v5, -16, v3
	v_add_co_u32 v14, vcc_lo, s14, v14
	v_add_co_ci_u32_e64 v15, null, s15, v15, vcc_lo
	v_add_co_u32 v19, vcc_lo, s14, v19
	v_lshlrev_b64 v[21:22], 2, v[5:6]
	v_add_nc_u32_e32 v5, -15, v3
	v_add_co_ci_u32_e64 v20, null, s15, v20, vcc_lo
	s_clause 0x1
	global_load_dword v8, v[14:15], off
	global_load_dword v27, v[19:20], off
	v_lshlrev_b64 v[14:15], 2, v[5:6]
	v_add_nc_u32_e32 v5, -14, v3
	v_add_co_u32 v19, vcc_lo, s12, v21
	v_add_co_ci_u32_e64 v20, null, s13, v22, vcc_lo
	v_add_co_u32 v14, vcc_lo, s12, v14
	v_lshlrev_b64 v[21:22], 2, v[5:6]
	v_add_nc_u32_e32 v5, 2, v13
	v_add_co_ci_u32_e64 v15, null, s13, v15, vcc_lo
	s_clause 0x1
	global_load_dword v28, v[19:20], off
	global_load_dword v29, v[14:15], off
	v_lshlrev_b64 v[19:20], 2, v[5:6]
	v_add_nc_u32_e32 v5, -13, v3
	v_add_co_u32 v14, vcc_lo, s12, v21
	v_add_co_ci_u32_e64 v15, null, s13, v22, vcc_lo
	v_lshlrev_b64 v[21:22], 2, v[5:6]
	v_add_nc_u32_e32 v5, -12, v3
	v_add_co_u32 v19, vcc_lo, s14, v19
	v_add_co_ci_u32_e64 v20, null, s15, v20, vcc_lo
	global_load_dword v30, v[14:15], off
	v_lshlrev_b64 v[14:15], 2, v[5:6]
	v_add_nc_u32_e32 v5, -11, v3
	global_load_dword v31, v[19:20], off
	v_add_co_u32 v19, vcc_lo, s12, v21
	v_add_co_ci_u32_e64 v20, null, s13, v22, vcc_lo
	v_add_co_u32 v14, vcc_lo, s12, v14
	v_lshlrev_b64 v[21:22], 2, v[5:6]
	v_add_nc_u32_e32 v5, 3, v13
	v_add_co_ci_u32_e64 v15, null, s13, v15, vcc_lo
	s_clause 0x1
	global_load_dword v32, v[19:20], off
	global_load_dword v33, v[14:15], off
	v_lshlrev_b64 v[19:20], 2, v[5:6]
	v_add_nc_u32_e32 v5, -10, v3
	v_add_co_u32 v14, vcc_lo, s12, v21
	v_add_co_ci_u32_e64 v15, null, s13, v22, vcc_lo
	v_lshlrev_b64 v[21:22], 2, v[5:6]
	v_add_nc_u32_e32 v5, -9, v3
	v_add_co_u32 v19, vcc_lo, s14, v19
	v_add_co_ci_u32_e64 v20, null, s15, v20, vcc_lo
	global_load_dword v34, v[14:15], off
	v_lshlrev_b64 v[14:15], 2, v[5:6]
	v_add_nc_u32_e32 v5, -8, v3
	global_load_dword v35, v[19:20], off
	;; [unrolled: 21-line block ×4, first 2 shown]
	v_add_co_u32 v19, vcc_lo, s12, v21
	v_add_co_ci_u32_e64 v20, null, s13, v22, vcc_lo
	v_lshlrev_b64 v[21:22], 2, v[5:6]
	v_add_nc_u32_e32 v5, 6, v13
	v_add_co_u32 v13, vcc_lo, s12, v14
	v_add_co_ci_u32_e64 v14, null, s13, v15, vcc_lo
	v_lshlrev_b64 v[15:16], 2, v[5:6]
	v_add_nc_u32_e32 v5, -1, v3
	s_clause 0x1
	global_load_dword v19, v[19:20], off
	global_load_dword v20, v[13:14], off
	v_add_co_u32 v13, vcc_lo, s12, v21
	v_lshlrev_b64 v[4:5], 2, v[5:6]
	v_add_co_ci_u32_e64 v14, null, s13, v22, vcc_lo
	v_add_co_u32 v15, vcc_lo, s14, v15
	v_add_co_ci_u32_e64 v16, null, s15, v16, vcc_lo
	v_add_co_u32 v4, vcc_lo, s12, v4
	v_add_co_ci_u32_e64 v5, null, s13, v5, vcc_lo
	global_load_dword v13, v[13:14], off
	global_load_dword v14, v[15:16], off
	s_clause 0x1
	global_load_dword v4, v[4:5], off
	global_load_dword v5, v[17:18], off
	v_cmp_ge_i32_e32 vcc_lo, v7, v12
	v_add_nc_u32_e32 v3, 0x540, v3
	s_or_b32 s3, vcc_lo, s3
	s_waitcnt vmcnt(23)
	v_fmac_f32_e32 v9, v23, v8
	v_fmac_f32_e32 v11, v24, v8
	;; [unrolled: 1-line block ×3, first 2 shown]
	s_waitcnt vmcnt(22)
	v_fmac_f32_e32 v9, v26, v27
	s_waitcnt vmcnt(21)
	v_fmac_f32_e32 v11, v28, v27
	;; [unrolled: 2-line block ×18, first 2 shown]
	s_andn2_b32 exec_lo, exec_lo, s3
	s_cbranch_execnz .LBB29_9
; %bb.10:
	s_or_b32 exec_lo, exec_lo, s3
.LBB29_11:
	s_or_b32 exec_lo, exec_lo, s1
	s_cbranch_execz .LBB29_13
	s_branch .LBB29_18
.LBB29_12:
                                        ; implicit-def: $vgpr9
                                        ; implicit-def: $vgpr10
                                        ; implicit-def: $vgpr11
.LBB29_13:
	v_mov_b32_e32 v9, 0
	v_mov_b32_e32 v10, 0
	;; [unrolled: 1-line block ×3, first 2 shown]
	s_and_saveexec_b32 s1, s0
	s_cbranch_execz .LBB29_17
; %bb.14:
	v_mad_u64_u32 v[4:5], null, v2, 21, 20
	v_mov_b32_e32 v7, 0
	v_mov_b32_e32 v9, 0
	;; [unrolled: 1-line block ×4, first 2 shown]
	s_mov_b32 s0, 0
.LBB29_15:                              ; =>This Inner Loop Header: Depth=1
	v_ashrrev_i32_e32 v3, 31, v2
	v_add_nc_u32_e32 v13, -13, v4
	v_mov_b32_e32 v14, v7
	v_add_nc_u32_e32 v15, -6, v4
	v_mov_b32_e32 v16, v7
	v_lshlrev_b64 v[5:6], 2, v[2:3]
	v_mov_b32_e32 v17, v7
	v_lshlrev_b64 v[13:14], 2, v[13:14]
	v_add_nc_u32_e32 v2, 64, v2
	v_lshlrev_b64 v[15:16], 2, v[15:16]
	v_add_co_u32 v5, vcc_lo, s10, v5
	v_add_co_ci_u32_e64 v6, null, s11, v6, vcc_lo
	global_load_dword v3, v[5:6], off
	v_subrev_nc_u32_e32 v6, 20, v4
	v_mov_b32_e32 v5, v7
	v_lshlrev_b64 v[18:19], 2, v[6:7]
	v_subrev_nc_u32_e32 v6, 19, v4
	v_lshlrev_b64 v[20:21], 2, v[4:5]
	v_lshlrev_b64 v[5:6], 2, v[6:7]
	v_add_co_u32 v18, vcc_lo, s12, v18
	v_add_co_ci_u32_e64 v19, null, s13, v19, vcc_lo
	v_add_co_u32 v13, vcc_lo, s12, v13
	v_add_co_ci_u32_e64 v14, null, s13, v14, vcc_lo
	;; [unrolled: 2-line block ×5, first 2 shown]
	s_clause 0x3
	global_load_dword v8, v[18:19], off
	global_load_dword v19, v[13:14], off
	;; [unrolled: 1-line block ×4, first 2 shown]
	s_waitcnt vmcnt(4)
	v_subrev_nc_u32_e32 v3, s18, v3
	v_mul_lo_u32 v16, v3, 7
	v_add_nc_u32_e32 v6, 1, v16
	v_lshlrev_b64 v[13:14], 2, v[16:17]
	v_lshlrev_b64 v[17:18], 2, v[6:7]
	v_add_nc_u32_e32 v6, -12, v4
	v_add_co_u32 v13, vcc_lo, s14, v13
	v_add_co_ci_u32_e64 v14, null, s15, v14, vcc_lo
	v_add_co_u32 v17, vcc_lo, s14, v17
	v_lshlrev_b64 v[22:23], 2, v[6:7]
	v_add_nc_u32_e32 v6, -5, v4
	v_add_co_ci_u32_e64 v18, null, s15, v18, vcc_lo
	s_clause 0x1
	global_load_dword v3, v[13:14], off
	global_load_dword v26, v[17:18], off
	v_lshlrev_b64 v[13:14], 2, v[6:7]
	v_subrev_nc_u32_e32 v6, 18, v4
	v_add_co_u32 v17, vcc_lo, s12, v22
	v_add_co_ci_u32_e64 v18, null, s13, v23, vcc_lo
	v_add_co_u32 v13, vcc_lo, s12, v13
	v_lshlrev_b64 v[22:23], 2, v[6:7]
	v_add_nc_u32_e32 v6, 2, v16
	v_add_co_ci_u32_e64 v14, null, s13, v14, vcc_lo
	s_clause 0x1
	global_load_dword v27, v[17:18], off
	global_load_dword v28, v[13:14], off
	v_lshlrev_b64 v[17:18], 2, v[6:7]
	v_add_nc_u32_e32 v6, -11, v4
	v_add_co_u32 v13, vcc_lo, s12, v22
	v_add_co_ci_u32_e64 v14, null, s13, v23, vcc_lo
	v_lshlrev_b64 v[22:23], 2, v[6:7]
	v_add_nc_u32_e32 v6, -4, v4
	v_add_co_u32 v17, vcc_lo, s14, v17
	v_add_co_ci_u32_e64 v18, null, s15, v18, vcc_lo
	global_load_dword v29, v[13:14], off
	v_lshlrev_b64 v[13:14], 2, v[6:7]
	v_subrev_nc_u32_e32 v6, 17, v4
	global_load_dword v30, v[17:18], off
	v_add_co_u32 v17, vcc_lo, s12, v22
	v_add_co_ci_u32_e64 v18, null, s13, v23, vcc_lo
	v_add_co_u32 v13, vcc_lo, s12, v13
	v_lshlrev_b64 v[22:23], 2, v[6:7]
	v_add_nc_u32_e32 v6, 3, v16
	v_add_co_ci_u32_e64 v14, null, s13, v14, vcc_lo
	s_clause 0x1
	global_load_dword v31, v[17:18], off
	global_load_dword v32, v[13:14], off
	v_lshlrev_b64 v[17:18], 2, v[6:7]
	v_add_nc_u32_e32 v6, -10, v4
	v_add_co_u32 v13, vcc_lo, s12, v22
	v_add_co_ci_u32_e64 v14, null, s13, v23, vcc_lo
	v_lshlrev_b64 v[22:23], 2, v[6:7]
	v_add_nc_u32_e32 v6, -3, v4
	v_add_co_u32 v17, vcc_lo, s14, v17
	v_add_co_ci_u32_e64 v18, null, s15, v18, vcc_lo
	global_load_dword v33, v[13:14], off
	v_lshlrev_b64 v[13:14], 2, v[6:7]
	v_add_nc_u32_e32 v6, -16, v4
	global_load_dword v34, v[17:18], off
	v_add_co_u32 v17, vcc_lo, s12, v22
	v_add_co_ci_u32_e64 v18, null, s13, v23, vcc_lo
	v_add_co_u32 v13, vcc_lo, s12, v13
	v_lshlrev_b64 v[22:23], 2, v[6:7]
	v_add_nc_u32_e32 v6, 4, v16
	v_add_co_ci_u32_e64 v14, null, s13, v14, vcc_lo
	s_clause 0x1
	global_load_dword v35, v[17:18], off
	global_load_dword v36, v[13:14], off
	v_lshlrev_b64 v[17:18], 2, v[6:7]
	v_add_nc_u32_e32 v6, -9, v4
	v_add_co_u32 v13, vcc_lo, s12, v22
	v_add_co_ci_u32_e64 v14, null, s13, v23, vcc_lo
	v_lshlrev_b64 v[22:23], 2, v[6:7]
	v_add_nc_u32_e32 v6, -2, v4
	v_add_co_u32 v17, vcc_lo, s14, v17
	v_add_co_ci_u32_e64 v18, null, s15, v18, vcc_lo
	global_load_dword v37, v[13:14], off
	v_lshlrev_b64 v[13:14], 2, v[6:7]
	v_add_nc_u32_e32 v6, -15, v4
	;; [unrolled: 21-line block ×3, first 2 shown]
	global_load_dword v42, v[17:18], off
	v_add_co_u32 v17, vcc_lo, s12, v22
	v_add_co_ci_u32_e64 v18, null, s13, v23, vcc_lo
	v_lshlrev_b64 v[22:23], 2, v[6:7]
	v_add_nc_u32_e32 v6, 6, v16
	v_add_co_u32 v13, vcc_lo, s12, v13
	v_add_co_ci_u32_e64 v14, null, s13, v14, vcc_lo
	v_lshlrev_b64 v[15:16], 2, v[6:7]
	v_add_nc_u32_e32 v6, -7, v4
	s_clause 0x1
	global_load_dword v17, v[17:18], off
	global_load_dword v18, v[13:14], off
	v_add_co_u32 v13, vcc_lo, s12, v22
	v_lshlrev_b64 v[5:6], 2, v[6:7]
	v_add_co_ci_u32_e64 v14, null, s13, v23, vcc_lo
	v_add_co_u32 v15, vcc_lo, s14, v15
	v_add_co_ci_u32_e64 v16, null, s15, v16, vcc_lo
	v_add_co_u32 v5, vcc_lo, s12, v5
	v_add_co_ci_u32_e64 v6, null, s13, v6, vcc_lo
	global_load_dword v13, v[13:14], off
	global_load_dword v14, v[15:16], off
	s_clause 0x1
	global_load_dword v5, v[5:6], off
	global_load_dword v6, v[20:21], off
	v_cmp_ge_i32_e32 vcc_lo, v2, v12
	v_add_nc_u32_e32 v4, 0x540, v4
	s_or_b32 s0, vcc_lo, s0
	s_waitcnt vmcnt(23)
	v_fmac_f32_e32 v9, v8, v3
	v_fmac_f32_e32 v11, v19, v3
	;; [unrolled: 1-line block ×3, first 2 shown]
	s_waitcnt vmcnt(22)
	v_fmac_f32_e32 v9, v25, v26
	s_waitcnt vmcnt(21)
	v_fmac_f32_e32 v11, v27, v26
	;; [unrolled: 2-line block ×18, first 2 shown]
	s_andn2_b32 exec_lo, exec_lo, s0
	s_cbranch_execnz .LBB29_15
; %bb.16:
	s_or_b32 exec_lo, exec_lo, s0
.LBB29_17:
	s_or_b32 exec_lo, exec_lo, s1
.LBB29_18:
	v_mbcnt_lo_u32_b32 v2, -1, 0
	s_mov_b32 s3, -1
	v_or_b32_e32 v3, 32, v2
	v_xor_b32_e32 v6, 16, v2
	v_cmp_gt_i32_e32 vcc_lo, 32, v3
	v_cndmask_b32_e32 v3, v2, v3, vcc_lo
	v_cmp_gt_i32_e32 vcc_lo, 32, v6
	v_lshlrev_b32_e32 v3, 2, v3
	v_cndmask_b32_e32 v6, v2, v6, vcc_lo
	ds_bpermute_b32 v4, v3, v9
	ds_bpermute_b32 v5, v3, v11
	;; [unrolled: 1-line block ×3, first 2 shown]
	v_lshlrev_b32_e32 v6, 2, v6
	s_waitcnt lgkmcnt(2)
	v_add_f32_e32 v4, v9, v4
	s_waitcnt lgkmcnt(1)
	v_add_f32_e32 v5, v11, v5
	;; [unrolled: 2-line block ×3, first 2 shown]
	v_xor_b32_e32 v9, 8, v2
	ds_bpermute_b32 v7, v6, v4
	ds_bpermute_b32 v8, v6, v5
	ds_bpermute_b32 v6, v6, v3
	v_cmp_gt_i32_e32 vcc_lo, 32, v9
	v_cndmask_b32_e32 v9, v2, v9, vcc_lo
	v_lshlrev_b32_e32 v9, 2, v9
	s_waitcnt lgkmcnt(2)
	v_add_f32_e32 v4, v4, v7
	s_waitcnt lgkmcnt(1)
	v_add_f32_e32 v5, v5, v8
	s_waitcnt lgkmcnt(0)
	v_add_f32_e32 v3, v3, v6
	ds_bpermute_b32 v6, v9, v4
	ds_bpermute_b32 v7, v9, v5
	ds_bpermute_b32 v8, v9, v3
	v_xor_b32_e32 v9, 4, v2
	v_cmp_gt_i32_e32 vcc_lo, 32, v9
	v_cndmask_b32_e32 v9, v2, v9, vcc_lo
	v_lshlrev_b32_e32 v9, 2, v9
	s_waitcnt lgkmcnt(2)
	v_add_f32_e32 v4, v4, v6
	s_waitcnt lgkmcnt(1)
	v_add_f32_e32 v5, v5, v7
	s_waitcnt lgkmcnt(0)
	v_add_f32_e32 v3, v3, v8
	ds_bpermute_b32 v6, v9, v4
	ds_bpermute_b32 v7, v9, v5
	ds_bpermute_b32 v8, v9, v3
	v_xor_b32_e32 v9, 2, v2
	;; [unrolled: 13-line block ×3, first 2 shown]
	v_cmp_gt_i32_e32 vcc_lo, 32, v9
	v_cndmask_b32_e32 v2, v2, v9, vcc_lo
	v_cmp_eq_u32_e32 vcc_lo, 63, v0
	v_lshlrev_b32_e32 v9, 2, v2
	s_waitcnt lgkmcnt(2)
	v_add_f32_e32 v2, v4, v3
	s_waitcnt lgkmcnt(1)
	v_add_f32_e32 v3, v5, v7
	s_waitcnt lgkmcnt(0)
	v_add_f32_e32 v4, v6, v8
	ds_bpermute_b32 v5, v9, v2
	ds_bpermute_b32 v6, v9, v3
	;; [unrolled: 1-line block ×3, first 2 shown]
	s_and_b32 exec_lo, exec_lo, vcc_lo
	s_cbranch_execz .LBB29_23
; %bb.19:
	s_load_dwordx2 s[0:1], s[4:5], 0x38
	s_waitcnt lgkmcnt(0)
	v_add_f32_e32 v0, v2, v5
	v_add_f32_e32 v2, v3, v6
	;; [unrolled: 1-line block ×3, first 2 shown]
	v_lshl_add_u32 v3, v1, 1, v1
	v_cmp_eq_f32_e64 s4, s2, 0
	v_mul_f32_e32 v0, s16, v0
	v_mul_f32_e32 v1, s16, v2
	;; [unrolled: 1-line block ×3, first 2 shown]
	v_ashrrev_i32_e32 v4, 31, v3
	s_and_b32 vcc_lo, exec_lo, s4
	s_cbranch_vccz .LBB29_21
; %bb.20:
	v_lshlrev_b64 v[5:6], 2, v[3:4]
	s_mov_b32 s3, 0
	v_add_co_u32 v5, vcc_lo, s0, v5
	v_add_co_ci_u32_e64 v6, null, s1, v6, vcc_lo
	global_store_dwordx3 v[5:6], v[0:2], off
.LBB29_21:
	s_andn2_b32 vcc_lo, exec_lo, s3
	s_cbranch_vccnz .LBB29_23
; %bb.22:
	v_lshlrev_b64 v[3:4], 2, v[3:4]
	v_add_co_u32 v6, vcc_lo, s0, v3
	v_add_co_ci_u32_e64 v7, null, s1, v4, vcc_lo
	global_load_dwordx3 v[3:5], v[6:7], off
	s_waitcnt vmcnt(0)
	v_fmac_f32_e32 v0, s2, v3
	v_fmac_f32_e32 v1, s2, v4
	;; [unrolled: 1-line block ×3, first 2 shown]
	global_store_dwordx3 v[6:7], v[0:2], off
.LBB29_23:
	s_endpgm
	.section	.rodata,"a",@progbits
	.p2align	6, 0x0
	.amdhsa_kernel _ZN9rocsparseL19gebsrmvn_3xn_kernelILj128ELj7ELj64EfEEvi20rocsparse_direction_NS_24const_host_device_scalarIT2_EEPKiS6_PKS3_S8_S4_PS3_21rocsparse_index_base_b
		.amdhsa_group_segment_fixed_size 0
		.amdhsa_private_segment_fixed_size 0
		.amdhsa_kernarg_size 72
		.amdhsa_user_sgpr_count 6
		.amdhsa_user_sgpr_private_segment_buffer 1
		.amdhsa_user_sgpr_dispatch_ptr 0
		.amdhsa_user_sgpr_queue_ptr 0
		.amdhsa_user_sgpr_kernarg_segment_ptr 1
		.amdhsa_user_sgpr_dispatch_id 0
		.amdhsa_user_sgpr_flat_scratch_init 0
		.amdhsa_user_sgpr_private_segment_size 0
		.amdhsa_wavefront_size32 1
		.amdhsa_uses_dynamic_stack 0
		.amdhsa_system_sgpr_private_segment_wavefront_offset 0
		.amdhsa_system_sgpr_workgroup_id_x 1
		.amdhsa_system_sgpr_workgroup_id_y 0
		.amdhsa_system_sgpr_workgroup_id_z 0
		.amdhsa_system_sgpr_workgroup_info 0
		.amdhsa_system_vgpr_workitem_id 0
		.amdhsa_next_free_vgpr 44
		.amdhsa_next_free_sgpr 20
		.amdhsa_reserve_vcc 1
		.amdhsa_reserve_flat_scratch 0
		.amdhsa_float_round_mode_32 0
		.amdhsa_float_round_mode_16_64 0
		.amdhsa_float_denorm_mode_32 3
		.amdhsa_float_denorm_mode_16_64 3
		.amdhsa_dx10_clamp 1
		.amdhsa_ieee_mode 1
		.amdhsa_fp16_overflow 0
		.amdhsa_workgroup_processor_mode 1
		.amdhsa_memory_ordered 1
		.amdhsa_forward_progress 1
		.amdhsa_shared_vgpr_count 0
		.amdhsa_exception_fp_ieee_invalid_op 0
		.amdhsa_exception_fp_denorm_src 0
		.amdhsa_exception_fp_ieee_div_zero 0
		.amdhsa_exception_fp_ieee_overflow 0
		.amdhsa_exception_fp_ieee_underflow 0
		.amdhsa_exception_fp_ieee_inexact 0
		.amdhsa_exception_int_div_zero 0
	.end_amdhsa_kernel
	.section	.text._ZN9rocsparseL19gebsrmvn_3xn_kernelILj128ELj7ELj64EfEEvi20rocsparse_direction_NS_24const_host_device_scalarIT2_EEPKiS6_PKS3_S8_S4_PS3_21rocsparse_index_base_b,"axG",@progbits,_ZN9rocsparseL19gebsrmvn_3xn_kernelILj128ELj7ELj64EfEEvi20rocsparse_direction_NS_24const_host_device_scalarIT2_EEPKiS6_PKS3_S8_S4_PS3_21rocsparse_index_base_b,comdat
.Lfunc_end29:
	.size	_ZN9rocsparseL19gebsrmvn_3xn_kernelILj128ELj7ELj64EfEEvi20rocsparse_direction_NS_24const_host_device_scalarIT2_EEPKiS6_PKS3_S8_S4_PS3_21rocsparse_index_base_b, .Lfunc_end29-_ZN9rocsparseL19gebsrmvn_3xn_kernelILj128ELj7ELj64EfEEvi20rocsparse_direction_NS_24const_host_device_scalarIT2_EEPKiS6_PKS3_S8_S4_PS3_21rocsparse_index_base_b
                                        ; -- End function
	.set _ZN9rocsparseL19gebsrmvn_3xn_kernelILj128ELj7ELj64EfEEvi20rocsparse_direction_NS_24const_host_device_scalarIT2_EEPKiS6_PKS3_S8_S4_PS3_21rocsparse_index_base_b.num_vgpr, 44
	.set _ZN9rocsparseL19gebsrmvn_3xn_kernelILj128ELj7ELj64EfEEvi20rocsparse_direction_NS_24const_host_device_scalarIT2_EEPKiS6_PKS3_S8_S4_PS3_21rocsparse_index_base_b.num_agpr, 0
	.set _ZN9rocsparseL19gebsrmvn_3xn_kernelILj128ELj7ELj64EfEEvi20rocsparse_direction_NS_24const_host_device_scalarIT2_EEPKiS6_PKS3_S8_S4_PS3_21rocsparse_index_base_b.numbered_sgpr, 20
	.set _ZN9rocsparseL19gebsrmvn_3xn_kernelILj128ELj7ELj64EfEEvi20rocsparse_direction_NS_24const_host_device_scalarIT2_EEPKiS6_PKS3_S8_S4_PS3_21rocsparse_index_base_b.num_named_barrier, 0
	.set _ZN9rocsparseL19gebsrmvn_3xn_kernelILj128ELj7ELj64EfEEvi20rocsparse_direction_NS_24const_host_device_scalarIT2_EEPKiS6_PKS3_S8_S4_PS3_21rocsparse_index_base_b.private_seg_size, 0
	.set _ZN9rocsparseL19gebsrmvn_3xn_kernelILj128ELj7ELj64EfEEvi20rocsparse_direction_NS_24const_host_device_scalarIT2_EEPKiS6_PKS3_S8_S4_PS3_21rocsparse_index_base_b.uses_vcc, 1
	.set _ZN9rocsparseL19gebsrmvn_3xn_kernelILj128ELj7ELj64EfEEvi20rocsparse_direction_NS_24const_host_device_scalarIT2_EEPKiS6_PKS3_S8_S4_PS3_21rocsparse_index_base_b.uses_flat_scratch, 0
	.set _ZN9rocsparseL19gebsrmvn_3xn_kernelILj128ELj7ELj64EfEEvi20rocsparse_direction_NS_24const_host_device_scalarIT2_EEPKiS6_PKS3_S8_S4_PS3_21rocsparse_index_base_b.has_dyn_sized_stack, 0
	.set _ZN9rocsparseL19gebsrmvn_3xn_kernelILj128ELj7ELj64EfEEvi20rocsparse_direction_NS_24const_host_device_scalarIT2_EEPKiS6_PKS3_S8_S4_PS3_21rocsparse_index_base_b.has_recursion, 0
	.set _ZN9rocsparseL19gebsrmvn_3xn_kernelILj128ELj7ELj64EfEEvi20rocsparse_direction_NS_24const_host_device_scalarIT2_EEPKiS6_PKS3_S8_S4_PS3_21rocsparse_index_base_b.has_indirect_call, 0
	.section	.AMDGPU.csdata,"",@progbits
; Kernel info:
; codeLenInByte = 3476
; TotalNumSgprs: 22
; NumVgprs: 44
; ScratchSize: 0
; MemoryBound: 0
; FloatMode: 240
; IeeeMode: 1
; LDSByteSize: 0 bytes/workgroup (compile time only)
; SGPRBlocks: 0
; VGPRBlocks: 5
; NumSGPRsForWavesPerEU: 22
; NumVGPRsForWavesPerEU: 44
; Occupancy: 16
; WaveLimiterHint : 1
; COMPUTE_PGM_RSRC2:SCRATCH_EN: 0
; COMPUTE_PGM_RSRC2:USER_SGPR: 6
; COMPUTE_PGM_RSRC2:TRAP_HANDLER: 0
; COMPUTE_PGM_RSRC2:TGID_X_EN: 1
; COMPUTE_PGM_RSRC2:TGID_Y_EN: 0
; COMPUTE_PGM_RSRC2:TGID_Z_EN: 0
; COMPUTE_PGM_RSRC2:TIDIG_COMP_CNT: 0
	.section	.text._ZN9rocsparseL19gebsrmvn_3xn_kernelILj128ELj8ELj4EfEEvi20rocsparse_direction_NS_24const_host_device_scalarIT2_EEPKiS6_PKS3_S8_S4_PS3_21rocsparse_index_base_b,"axG",@progbits,_ZN9rocsparseL19gebsrmvn_3xn_kernelILj128ELj8ELj4EfEEvi20rocsparse_direction_NS_24const_host_device_scalarIT2_EEPKiS6_PKS3_S8_S4_PS3_21rocsparse_index_base_b,comdat
	.globl	_ZN9rocsparseL19gebsrmvn_3xn_kernelILj128ELj8ELj4EfEEvi20rocsparse_direction_NS_24const_host_device_scalarIT2_EEPKiS6_PKS3_S8_S4_PS3_21rocsparse_index_base_b ; -- Begin function _ZN9rocsparseL19gebsrmvn_3xn_kernelILj128ELj8ELj4EfEEvi20rocsparse_direction_NS_24const_host_device_scalarIT2_EEPKiS6_PKS3_S8_S4_PS3_21rocsparse_index_base_b
	.p2align	8
	.type	_ZN9rocsparseL19gebsrmvn_3xn_kernelILj128ELj8ELj4EfEEvi20rocsparse_direction_NS_24const_host_device_scalarIT2_EEPKiS6_PKS3_S8_S4_PS3_21rocsparse_index_base_b,@function
_ZN9rocsparseL19gebsrmvn_3xn_kernelILj128ELj8ELj4EfEEvi20rocsparse_direction_NS_24const_host_device_scalarIT2_EEPKiS6_PKS3_S8_S4_PS3_21rocsparse_index_base_b: ; @_ZN9rocsparseL19gebsrmvn_3xn_kernelILj128ELj8ELj4EfEEvi20rocsparse_direction_NS_24const_host_device_scalarIT2_EEPKiS6_PKS3_S8_S4_PS3_21rocsparse_index_base_b
; %bb.0:
	s_clause 0x2
	s_load_dwordx2 s[18:19], s[4:5], 0x40
	s_load_dwordx2 s[16:17], s[4:5], 0x8
	;; [unrolled: 1-line block ×3, first 2 shown]
	s_waitcnt lgkmcnt(0)
	s_bitcmp1_b32 s19, 0
	s_cselect_b32 s0, -1, 0
	s_and_b32 vcc_lo, exec_lo, s0
	s_xor_b32 s0, s0, -1
	s_cbranch_vccnz .LBB30_2
; %bb.1:
	s_load_dword s16, s[16:17], 0x0
.LBB30_2:
	s_andn2_b32 vcc_lo, exec_lo, s0
	s_cbranch_vccnz .LBB30_4
; %bb.3:
	s_load_dword s2, s[2:3], 0x0
.LBB30_4:
	s_waitcnt lgkmcnt(0)
	v_cmp_eq_f32_e64 s0, s16, 0
	v_cmp_eq_f32_e64 s1, s2, 1.0
	s_and_b32 s0, s0, s1
	s_and_b32 vcc_lo, exec_lo, s0
	s_cbranch_vccnz .LBB30_23
; %bb.5:
	s_load_dwordx2 s[0:1], s[4:5], 0x0
	v_lshrrev_b32_e32 v1, 2, v0
	v_lshl_or_b32 v1, s6, 5, v1
	s_waitcnt lgkmcnt(0)
	v_cmp_gt_i32_e32 vcc_lo, s0, v1
	s_and_saveexec_b32 s0, vcc_lo
	s_cbranch_execz .LBB30_23
; %bb.6:
	s_load_dwordx8 s[8:15], s[4:5], 0x10
	v_ashrrev_i32_e32 v2, 31, v1
	v_and_b32_e32 v0, 3, v0
	s_cmp_lg_u32 s1, 0
	v_lshlrev_b64 v[2:3], 2, v[1:2]
	s_waitcnt lgkmcnt(0)
	v_add_co_u32 v2, vcc_lo, s8, v2
	v_add_co_ci_u32_e64 v3, null, s9, v3, vcc_lo
	global_load_dwordx2 v[2:3], v[2:3], off
	s_waitcnt vmcnt(0)
	v_subrev_nc_u32_e32 v2, s18, v2
	v_subrev_nc_u32_e32 v12, s18, v3
	v_add_nc_u32_e32 v2, v2, v0
	v_cmp_lt_i32_e64 s0, v2, v12
	s_cbranch_scc0 .LBB30_12
; %bb.7:
	v_mov_b32_e32 v9, 0
	v_mov_b32_e32 v10, 0
	;; [unrolled: 1-line block ×3, first 2 shown]
	s_and_saveexec_b32 s1, s0
	s_cbranch_execz .LBB30_11
; %bb.8:
	v_mad_u64_u32 v[3:4], null, v2, 24, 23
	v_mov_b32_e32 v6, 0
	v_mov_b32_e32 v7, v2
	;; [unrolled: 1-line block ×5, first 2 shown]
	s_mov_b32 s3, 0
.LBB30_9:                               ; =>This Inner Loop Header: Depth=1
	v_ashrrev_i32_e32 v8, 31, v7
	v_mov_b32_e32 v22, v6
	v_lshlrev_b64 v[4:5], 2, v[7:8]
	v_add_nc_u32_e32 v7, 4, v7
	v_add_co_u32 v4, vcc_lo, s10, v4
	v_add_co_ci_u32_e64 v5, null, s11, v5, vcc_lo
	global_load_dword v8, v[4:5], off
	v_subrev_nc_u32_e32 v5, 23, v3
	v_mov_b32_e32 v4, v6
	v_lshlrev_b64 v[13:14], 2, v[5:6]
	v_add_nc_u32_e32 v5, -15, v3
	v_lshlrev_b64 v[15:16], 2, v[3:4]
	v_lshlrev_b64 v[17:18], 2, v[5:6]
	v_add_nc_u32_e32 v5, -14, v3
	v_add_co_u32 v19, vcc_lo, s12, v13
	v_add_co_ci_u32_e64 v20, null, s13, v14, vcc_lo
	v_lshlrev_b64 v[23:24], 2, v[5:6]
	v_add_nc_u32_e32 v5, -13, v3
	v_add_co_u32 v29, vcc_lo, s12, v15
	v_add_co_ci_u32_e64 v30, null, s13, v16, vcc_lo
	v_lshlrev_b64 v[27:28], 2, v[5:6]
	v_add_co_u32 v25, vcc_lo, s12, v17
	v_add_co_ci_u32_e64 v26, null, s13, v18, vcc_lo
	v_add_co_u32 v23, vcc_lo, s12, v23
	v_add_co_ci_u32_e64 v24, null, s13, v24, vcc_lo
	v_add_co_u32 v27, vcc_lo, s12, v27
	v_add_nc_u32_e32 v5, -12, v3
	v_add_co_ci_u32_e64 v28, null, s13, v28, vcc_lo
	s_clause 0x4
	global_load_dwordx4 v[13:16], v[19:20], off offset:16
	global_load_dwordx4 v[17:20], v[19:20], off
	global_load_dword v37, v[25:26], off
	global_load_dword v39, v[27:28], off
	;; [unrolled: 1-line block ×3, first 2 shown]
	v_lshlrev_b64 v[25:26], 2, v[5:6]
	v_add_nc_u32_e32 v5, -11, v3
	v_lshlrev_b64 v[23:24], 2, v[5:6]
	v_add_nc_u32_e32 v5, -10, v3
	v_add_co_u32 v25, vcc_lo, s12, v25
	v_add_co_ci_u32_e64 v26, null, s13, v26, vcc_lo
	v_add_co_u32 v23, vcc_lo, s12, v23
	v_lshlrev_b64 v[27:28], 2, v[5:6]
	v_add_nc_u32_e32 v5, -9, v3
	v_add_co_ci_u32_e64 v24, null, s13, v24, vcc_lo
	s_clause 0x1
	global_load_dword v40, v[25:26], off
	global_load_dword v41, v[23:24], off
	v_lshlrev_b64 v[25:26], 2, v[5:6]
	v_add_nc_u32_e32 v5, -8, v3
	v_add_co_u32 v23, vcc_lo, s12, v27
	v_add_co_ci_u32_e64 v24, null, s13, v28, vcc_lo
	v_add_co_u32 v25, vcc_lo, s12, v25
	v_lshlrev_b64 v[27:28], 2, v[5:6]
	v_add_nc_u32_e32 v5, -7, v3
	v_add_co_ci_u32_e64 v26, null, s13, v26, vcc_lo
	s_clause 0x1
	global_load_dword v42, v[23:24], off
	global_load_dword v43, v[25:26], off
	v_lshlrev_b64 v[23:24], 2, v[5:6]
	v_add_nc_u32_e32 v5, -6, v3
	v_add_co_u32 v25, vcc_lo, s12, v27
	v_add_co_ci_u32_e64 v26, null, s13, v28, vcc_lo
	v_lshlrev_b64 v[27:28], 2, v[5:6]
	v_add_co_u32 v23, vcc_lo, s12, v23
	v_add_co_ci_u32_e64 v24, null, s13, v24, vcc_lo
	global_load_dword v44, v[25:26], off
	v_add_co_u32 v33, vcc_lo, s12, v27
	global_load_dword v45, v[23:24], off
	v_add_co_ci_u32_e64 v34, null, s13, v28, vcc_lo
	v_add_nc_u32_e32 v5, -5, v3
	v_lshlrev_b64 v[31:32], 2, v[5:6]
	v_add_nc_u32_e32 v5, -4, v3
	v_lshlrev_b64 v[35:36], 2, v[5:6]
	v_add_nc_u32_e32 v5, -3, v3
	s_waitcnt vmcnt(11)
	v_subrev_nc_u32_e32 v4, s18, v8
	v_lshlrev_b32_e32 v21, 3, v4
	v_lshlrev_b64 v[21:22], 2, v[21:22]
	v_add_co_u32 v25, vcc_lo, s14, v21
	v_add_co_ci_u32_e64 v26, null, s15, v22, vcc_lo
	v_add_co_u32 v31, vcc_lo, s12, v31
	v_add_co_ci_u32_e64 v32, null, s13, v32, vcc_lo
	s_clause 0x1
	global_load_dwordx4 v[21:24], v[25:26], off
	global_load_dwordx4 v[25:28], v[25:26], off offset:16
	s_clause 0x1
	global_load_dword v8, v[33:34], off
	global_load_dword v46, v[31:32], off
	v_lshlrev_b64 v[33:34], 2, v[5:6]
	v_add_nc_u32_e32 v5, -2, v3
	v_add_co_u32 v31, vcc_lo, s12, v35
	v_add_co_ci_u32_e64 v32, null, s13, v36, vcc_lo
	v_lshlrev_b64 v[35:36], 2, v[5:6]
	v_add_nc_u32_e32 v5, -1, v3
	v_add_co_u32 v33, vcc_lo, s12, v33
	v_add_co_ci_u32_e64 v34, null, s13, v34, vcc_lo
	v_lshlrev_b64 v[4:5], 2, v[5:6]
	global_load_dword v47, v[31:32], off
	v_add_nc_u32_e32 v3, 0x60, v3
	global_load_dword v33, v[33:34], off
	v_add_co_u32 v31, vcc_lo, s12, v35
	v_add_co_ci_u32_e64 v32, null, s13, v36, vcc_lo
	v_add_co_u32 v4, vcc_lo, s12, v4
	v_add_co_ci_u32_e64 v5, null, s13, v5, vcc_lo
	s_clause 0x2
	global_load_dword v31, v[31:32], off
	global_load_dword v4, v[4:5], off
	;; [unrolled: 1-line block ×3, first 2 shown]
	v_cmp_ge_i32_e32 vcc_lo, v7, v12
	s_or_b32 s3, vcc_lo, s3
	s_waitcnt vmcnt(8)
	v_fmac_f32_e32 v9, v17, v21
	v_fmac_f32_e32 v11, v18, v21
	;; [unrolled: 1-line block ×12, first 2 shown]
	s_waitcnt vmcnt(7)
	v_fmac_f32_e32 v9, v41, v25
	v_fmac_f32_e32 v11, v42, v25
	;; [unrolled: 1-line block ×5, first 2 shown]
	s_waitcnt vmcnt(6)
	v_fmac_f32_e32 v10, v8, v26
	s_waitcnt vmcnt(5)
	v_fmac_f32_e32 v9, v46, v27
	;; [unrolled: 2-line block ×7, first 2 shown]
	s_andn2_b32 exec_lo, exec_lo, s3
	s_cbranch_execnz .LBB30_9
; %bb.10:
	s_or_b32 exec_lo, exec_lo, s3
.LBB30_11:
	s_or_b32 exec_lo, exec_lo, s1
	s_cbranch_execz .LBB30_13
	s_branch .LBB30_18
.LBB30_12:
                                        ; implicit-def: $vgpr9
                                        ; implicit-def: $vgpr10
                                        ; implicit-def: $vgpr11
.LBB30_13:
	v_mov_b32_e32 v9, 0
	v_mov_b32_e32 v10, 0
	;; [unrolled: 1-line block ×3, first 2 shown]
	s_and_saveexec_b32 s1, s0
	s_cbranch_execz .LBB30_17
; %bb.14:
	v_mad_u64_u32 v[4:5], null, v2, 24, 23
	v_mov_b32_e32 v7, 0
	v_mov_b32_e32 v9, 0
	;; [unrolled: 1-line block ×4, first 2 shown]
	s_mov_b32 s0, 0
.LBB30_15:                              ; =>This Inner Loop Header: Depth=1
	v_ashrrev_i32_e32 v3, 31, v2
	v_add_nc_u32_e32 v13, -15, v4
	v_mov_b32_e32 v14, v7
	v_add_nc_u32_e32 v15, -7, v4
	v_mov_b32_e32 v16, v7
	v_lshlrev_b64 v[5:6], 2, v[2:3]
	v_mov_b32_e32 v22, v7
	v_lshlrev_b64 v[13:14], 2, v[13:14]
	v_add_nc_u32_e32 v2, 4, v2
	v_lshlrev_b64 v[15:16], 2, v[15:16]
	v_add_co_u32 v5, vcc_lo, s10, v5
	v_add_co_ci_u32_e64 v6, null, s11, v6, vcc_lo
	global_load_dword v3, v[5:6], off
	v_subrev_nc_u32_e32 v6, 23, v4
	v_mov_b32_e32 v5, v7
	v_lshlrev_b64 v[17:18], 2, v[6:7]
	v_add_nc_u32_e32 v6, -14, v4
	v_lshlrev_b64 v[19:20], 2, v[4:5]
	v_lshlrev_b64 v[23:24], 2, v[6:7]
	v_add_co_u32 v17, vcc_lo, s12, v17
	v_add_nc_u32_e32 v6, -6, v4
	v_add_co_ci_u32_e64 v18, null, s13, v18, vcc_lo
	v_add_co_u32 v25, vcc_lo, s12, v13
	v_add_co_ci_u32_e64 v26, null, s13, v14, vcc_lo
	v_add_co_u32 v27, vcc_lo, s12, v15
	;; [unrolled: 2-line block ×3, first 2 shown]
	v_lshlrev_b64 v[31:32], 2, v[6:7]
	v_add_nc_u32_e32 v6, -13, v4
	v_add_co_ci_u32_e64 v30, null, s13, v20, vcc_lo
	v_add_co_u32 v23, vcc_lo, s12, v23
	v_add_co_ci_u32_e64 v24, null, s13, v24, vcc_lo
	s_clause 0x3
	global_load_dwordx4 v[13:16], v[17:18], off offset:16
	global_load_dwordx4 v[17:20], v[17:18], off
	global_load_dword v8, v[25:26], off
	global_load_dword v37, v[27:28], off
	v_lshlrev_b64 v[25:26], 2, v[6:7]
	v_add_nc_u32_e32 v6, -5, v4
	global_load_dword v38, v[23:24], off
	v_add_co_u32 v23, vcc_lo, s12, v31
	v_add_co_ci_u32_e64 v24, null, s13, v32, vcc_lo
	v_add_co_u32 v25, vcc_lo, s12, v25
	v_lshlrev_b64 v[27:28], 2, v[6:7]
	v_add_nc_u32_e32 v6, -12, v4
	v_add_co_ci_u32_e64 v26, null, s13, v26, vcc_lo
	s_clause 0x1
	global_load_dword v39, v[23:24], off
	global_load_dword v40, v[25:26], off
	v_lshlrev_b64 v[23:24], 2, v[6:7]
	v_add_nc_u32_e32 v6, -4, v4
	v_add_co_u32 v25, vcc_lo, s12, v27
	v_add_co_ci_u32_e64 v26, null, s13, v28, vcc_lo
	v_add_co_u32 v23, vcc_lo, s12, v23
	v_lshlrev_b64 v[27:28], 2, v[6:7]
	v_add_nc_u32_e32 v6, -11, v4
	v_add_co_ci_u32_e64 v24, null, s13, v24, vcc_lo
	s_clause 0x1
	global_load_dword v41, v[25:26], off
	global_load_dword v42, v[23:24], off
	v_lshlrev_b64 v[25:26], 2, v[6:7]
	v_add_nc_u32_e32 v6, -3, v4
	v_add_co_u32 v23, vcc_lo, s12, v27
	v_add_co_ci_u32_e64 v24, null, s13, v28, vcc_lo
	v_lshlrev_b64 v[27:28], 2, v[6:7]
	v_add_co_u32 v25, vcc_lo, s12, v25
	v_add_co_ci_u32_e64 v26, null, s13, v26, vcc_lo
	v_add_nc_u32_e32 v6, -10, v4
	v_add_co_u32 v33, vcc_lo, s12, v27
	s_clause 0x1
	global_load_dword v43, v[23:24], off
	global_load_dword v44, v[25:26], off
	v_add_co_ci_u32_e64 v34, null, s13, v28, vcc_lo
	v_lshlrev_b64 v[31:32], 2, v[6:7]
	v_add_nc_u32_e32 v6, -2, v4
	v_lshlrev_b64 v[35:36], 2, v[6:7]
	v_add_nc_u32_e32 v6, -9, v4
	s_waitcnt vmcnt(11)
	v_subrev_nc_u32_e32 v3, s18, v3
	v_lshlrev_b32_e32 v21, 3, v3
	v_lshlrev_b64 v[21:22], 2, v[21:22]
	v_add_co_u32 v25, vcc_lo, s14, v21
	v_add_co_ci_u32_e64 v26, null, s15, v22, vcc_lo
	v_add_co_u32 v31, vcc_lo, s12, v31
	v_add_co_ci_u32_e64 v32, null, s13, v32, vcc_lo
	s_clause 0x1
	global_load_dwordx4 v[21:24], v[25:26], off
	global_load_dwordx4 v[25:28], v[25:26], off offset:16
	s_clause 0x1
	global_load_dword v3, v[33:34], off
	global_load_dword v45, v[31:32], off
	v_lshlrev_b64 v[33:34], 2, v[6:7]
	v_add_nc_u32_e32 v6, -1, v4
	v_add_co_u32 v31, vcc_lo, s12, v35
	v_add_co_ci_u32_e64 v32, null, s13, v36, vcc_lo
	v_lshlrev_b64 v[35:36], 2, v[6:7]
	v_add_nc_u32_e32 v6, -8, v4
	v_add_co_u32 v33, vcc_lo, s12, v33
	v_add_co_ci_u32_e64 v34, null, s13, v34, vcc_lo
	v_lshlrev_b64 v[5:6], 2, v[6:7]
	global_load_dword v46, v[31:32], off
	v_add_nc_u32_e32 v4, 0x60, v4
	global_load_dword v33, v[33:34], off
	v_add_co_u32 v31, vcc_lo, s12, v35
	v_add_co_ci_u32_e64 v32, null, s13, v36, vcc_lo
	v_add_co_u32 v5, vcc_lo, s12, v5
	v_add_co_ci_u32_e64 v6, null, s13, v6, vcc_lo
	s_clause 0x2
	global_load_dword v31, v[31:32], off
	global_load_dword v5, v[5:6], off
	;; [unrolled: 1-line block ×3, first 2 shown]
	v_cmp_ge_i32_e32 vcc_lo, v2, v12
	s_or_b32 s0, vcc_lo, s0
	s_waitcnt vmcnt(8)
	v_fmac_f32_e32 v9, v17, v21
	v_fmac_f32_e32 v11, v8, v21
	v_fmac_f32_e32 v10, v37, v21
	v_fmac_f32_e32 v9, v18, v22
	v_fmac_f32_e32 v11, v38, v22
	v_fmac_f32_e32 v10, v39, v22
	v_fmac_f32_e32 v9, v19, v23
	v_fmac_f32_e32 v11, v40, v23
	v_fmac_f32_e32 v10, v41, v23
	v_fmac_f32_e32 v9, v20, v24
	v_fmac_f32_e32 v11, v42, v24
	v_fmac_f32_e32 v10, v43, v24
	s_waitcnt vmcnt(7)
	v_fmac_f32_e32 v9, v13, v25
	v_fmac_f32_e32 v11, v44, v25
	s_waitcnt vmcnt(6)
	v_fmac_f32_e32 v10, v3, v25
	v_fmac_f32_e32 v9, v14, v26
	s_waitcnt vmcnt(5)
	v_fmac_f32_e32 v11, v45, v26
	s_waitcnt vmcnt(4)
	v_fmac_f32_e32 v10, v46, v26
	v_fmac_f32_e32 v9, v15, v27
	s_waitcnt vmcnt(3)
	;; [unrolled: 5-line block ×3, first 2 shown]
	v_fmac_f32_e32 v11, v5, v28
	s_waitcnt vmcnt(0)
	v_fmac_f32_e32 v10, v6, v28
	s_andn2_b32 exec_lo, exec_lo, s0
	s_cbranch_execnz .LBB30_15
; %bb.16:
	s_or_b32 exec_lo, exec_lo, s0
.LBB30_17:
	s_or_b32 exec_lo, exec_lo, s1
.LBB30_18:
	v_mbcnt_lo_u32_b32 v2, -1, 0
	s_mov_b32 s3, -1
	v_xor_b32_e32 v3, 2, v2
	v_cmp_gt_i32_e32 vcc_lo, 32, v3
	v_cndmask_b32_e32 v3, v2, v3, vcc_lo
	v_lshlrev_b32_e32 v3, 2, v3
	ds_bpermute_b32 v4, v3, v9
	ds_bpermute_b32 v5, v3, v11
	;; [unrolled: 1-line block ×3, first 2 shown]
	v_xor_b32_e32 v3, 1, v2
	v_cmp_gt_i32_e32 vcc_lo, 32, v3
	v_cndmask_b32_e32 v2, v2, v3, vcc_lo
	v_cmp_eq_u32_e32 vcc_lo, 3, v0
	v_lshlrev_b32_e32 v7, 2, v2
	s_waitcnt lgkmcnt(2)
	v_add_f32_e32 v2, v9, v4
	s_waitcnt lgkmcnt(1)
	v_add_f32_e32 v3, v11, v5
	;; [unrolled: 2-line block ×3, first 2 shown]
	ds_bpermute_b32 v5, v7, v2
	ds_bpermute_b32 v6, v7, v3
	;; [unrolled: 1-line block ×3, first 2 shown]
	s_and_b32 exec_lo, exec_lo, vcc_lo
	s_cbranch_execz .LBB30_23
; %bb.19:
	s_load_dwordx2 s[0:1], s[4:5], 0x38
	s_waitcnt lgkmcnt(0)
	v_add_f32_e32 v0, v2, v5
	v_add_f32_e32 v2, v3, v6
	;; [unrolled: 1-line block ×3, first 2 shown]
	v_lshl_add_u32 v3, v1, 1, v1
	v_cmp_eq_f32_e64 s4, s2, 0
	v_mul_f32_e32 v0, s16, v0
	v_mul_f32_e32 v1, s16, v2
	;; [unrolled: 1-line block ×3, first 2 shown]
	v_ashrrev_i32_e32 v4, 31, v3
	s_and_b32 vcc_lo, exec_lo, s4
	s_cbranch_vccz .LBB30_21
; %bb.20:
	v_lshlrev_b64 v[5:6], 2, v[3:4]
	s_mov_b32 s3, 0
	v_add_co_u32 v5, vcc_lo, s0, v5
	v_add_co_ci_u32_e64 v6, null, s1, v6, vcc_lo
	global_store_dwordx3 v[5:6], v[0:2], off
.LBB30_21:
	s_andn2_b32 vcc_lo, exec_lo, s3
	s_cbranch_vccnz .LBB30_23
; %bb.22:
	v_lshlrev_b64 v[3:4], 2, v[3:4]
	v_add_co_u32 v6, vcc_lo, s0, v3
	v_add_co_ci_u32_e64 v7, null, s1, v4, vcc_lo
	global_load_dwordx3 v[3:5], v[6:7], off
	s_waitcnt vmcnt(0)
	v_fmac_f32_e32 v0, s2, v3
	v_fmac_f32_e32 v1, s2, v4
	;; [unrolled: 1-line block ×3, first 2 shown]
	global_store_dwordx3 v[6:7], v[0:2], off
.LBB30_23:
	s_endpgm
	.section	.rodata,"a",@progbits
	.p2align	6, 0x0
	.amdhsa_kernel _ZN9rocsparseL19gebsrmvn_3xn_kernelILj128ELj8ELj4EfEEvi20rocsparse_direction_NS_24const_host_device_scalarIT2_EEPKiS6_PKS3_S8_S4_PS3_21rocsparse_index_base_b
		.amdhsa_group_segment_fixed_size 0
		.amdhsa_private_segment_fixed_size 0
		.amdhsa_kernarg_size 72
		.amdhsa_user_sgpr_count 6
		.amdhsa_user_sgpr_private_segment_buffer 1
		.amdhsa_user_sgpr_dispatch_ptr 0
		.amdhsa_user_sgpr_queue_ptr 0
		.amdhsa_user_sgpr_kernarg_segment_ptr 1
		.amdhsa_user_sgpr_dispatch_id 0
		.amdhsa_user_sgpr_flat_scratch_init 0
		.amdhsa_user_sgpr_private_segment_size 0
		.amdhsa_wavefront_size32 1
		.amdhsa_uses_dynamic_stack 0
		.amdhsa_system_sgpr_private_segment_wavefront_offset 0
		.amdhsa_system_sgpr_workgroup_id_x 1
		.amdhsa_system_sgpr_workgroup_id_y 0
		.amdhsa_system_sgpr_workgroup_id_z 0
		.amdhsa_system_sgpr_workgroup_info 0
		.amdhsa_system_vgpr_workitem_id 0
		.amdhsa_next_free_vgpr 48
		.amdhsa_next_free_sgpr 20
		.amdhsa_reserve_vcc 1
		.amdhsa_reserve_flat_scratch 0
		.amdhsa_float_round_mode_32 0
		.amdhsa_float_round_mode_16_64 0
		.amdhsa_float_denorm_mode_32 3
		.amdhsa_float_denorm_mode_16_64 3
		.amdhsa_dx10_clamp 1
		.amdhsa_ieee_mode 1
		.amdhsa_fp16_overflow 0
		.amdhsa_workgroup_processor_mode 1
		.amdhsa_memory_ordered 1
		.amdhsa_forward_progress 1
		.amdhsa_shared_vgpr_count 0
		.amdhsa_exception_fp_ieee_invalid_op 0
		.amdhsa_exception_fp_denorm_src 0
		.amdhsa_exception_fp_ieee_div_zero 0
		.amdhsa_exception_fp_ieee_overflow 0
		.amdhsa_exception_fp_ieee_underflow 0
		.amdhsa_exception_fp_ieee_inexact 0
		.amdhsa_exception_int_div_zero 0
	.end_amdhsa_kernel
	.section	.text._ZN9rocsparseL19gebsrmvn_3xn_kernelILj128ELj8ELj4EfEEvi20rocsparse_direction_NS_24const_host_device_scalarIT2_EEPKiS6_PKS3_S8_S4_PS3_21rocsparse_index_base_b,"axG",@progbits,_ZN9rocsparseL19gebsrmvn_3xn_kernelILj128ELj8ELj4EfEEvi20rocsparse_direction_NS_24const_host_device_scalarIT2_EEPKiS6_PKS3_S8_S4_PS3_21rocsparse_index_base_b,comdat
.Lfunc_end30:
	.size	_ZN9rocsparseL19gebsrmvn_3xn_kernelILj128ELj8ELj4EfEEvi20rocsparse_direction_NS_24const_host_device_scalarIT2_EEPKiS6_PKS3_S8_S4_PS3_21rocsparse_index_base_b, .Lfunc_end30-_ZN9rocsparseL19gebsrmvn_3xn_kernelILj128ELj8ELj4EfEEvi20rocsparse_direction_NS_24const_host_device_scalarIT2_EEPKiS6_PKS3_S8_S4_PS3_21rocsparse_index_base_b
                                        ; -- End function
	.set _ZN9rocsparseL19gebsrmvn_3xn_kernelILj128ELj8ELj4EfEEvi20rocsparse_direction_NS_24const_host_device_scalarIT2_EEPKiS6_PKS3_S8_S4_PS3_21rocsparse_index_base_b.num_vgpr, 48
	.set _ZN9rocsparseL19gebsrmvn_3xn_kernelILj128ELj8ELj4EfEEvi20rocsparse_direction_NS_24const_host_device_scalarIT2_EEPKiS6_PKS3_S8_S4_PS3_21rocsparse_index_base_b.num_agpr, 0
	.set _ZN9rocsparseL19gebsrmvn_3xn_kernelILj128ELj8ELj4EfEEvi20rocsparse_direction_NS_24const_host_device_scalarIT2_EEPKiS6_PKS3_S8_S4_PS3_21rocsparse_index_base_b.numbered_sgpr, 20
	.set _ZN9rocsparseL19gebsrmvn_3xn_kernelILj128ELj8ELj4EfEEvi20rocsparse_direction_NS_24const_host_device_scalarIT2_EEPKiS6_PKS3_S8_S4_PS3_21rocsparse_index_base_b.num_named_barrier, 0
	.set _ZN9rocsparseL19gebsrmvn_3xn_kernelILj128ELj8ELj4EfEEvi20rocsparse_direction_NS_24const_host_device_scalarIT2_EEPKiS6_PKS3_S8_S4_PS3_21rocsparse_index_base_b.private_seg_size, 0
	.set _ZN9rocsparseL19gebsrmvn_3xn_kernelILj128ELj8ELj4EfEEvi20rocsparse_direction_NS_24const_host_device_scalarIT2_EEPKiS6_PKS3_S8_S4_PS3_21rocsparse_index_base_b.uses_vcc, 1
	.set _ZN9rocsparseL19gebsrmvn_3xn_kernelILj128ELj8ELj4EfEEvi20rocsparse_direction_NS_24const_host_device_scalarIT2_EEPKiS6_PKS3_S8_S4_PS3_21rocsparse_index_base_b.uses_flat_scratch, 0
	.set _ZN9rocsparseL19gebsrmvn_3xn_kernelILj128ELj8ELj4EfEEvi20rocsparse_direction_NS_24const_host_device_scalarIT2_EEPKiS6_PKS3_S8_S4_PS3_21rocsparse_index_base_b.has_dyn_sized_stack, 0
	.set _ZN9rocsparseL19gebsrmvn_3xn_kernelILj128ELj8ELj4EfEEvi20rocsparse_direction_NS_24const_host_device_scalarIT2_EEPKiS6_PKS3_S8_S4_PS3_21rocsparse_index_base_b.has_recursion, 0
	.set _ZN9rocsparseL19gebsrmvn_3xn_kernelILj128ELj8ELj4EfEEvi20rocsparse_direction_NS_24const_host_device_scalarIT2_EEPKiS6_PKS3_S8_S4_PS3_21rocsparse_index_base_b.has_indirect_call, 0
	.section	.AMDGPU.csdata,"",@progbits
; Kernel info:
; codeLenInByte = 2452
; TotalNumSgprs: 22
; NumVgprs: 48
; ScratchSize: 0
; MemoryBound: 0
; FloatMode: 240
; IeeeMode: 1
; LDSByteSize: 0 bytes/workgroup (compile time only)
; SGPRBlocks: 0
; VGPRBlocks: 5
; NumSGPRsForWavesPerEU: 22
; NumVGPRsForWavesPerEU: 48
; Occupancy: 16
; WaveLimiterHint : 1
; COMPUTE_PGM_RSRC2:SCRATCH_EN: 0
; COMPUTE_PGM_RSRC2:USER_SGPR: 6
; COMPUTE_PGM_RSRC2:TRAP_HANDLER: 0
; COMPUTE_PGM_RSRC2:TGID_X_EN: 1
; COMPUTE_PGM_RSRC2:TGID_Y_EN: 0
; COMPUTE_PGM_RSRC2:TGID_Z_EN: 0
; COMPUTE_PGM_RSRC2:TIDIG_COMP_CNT: 0
	.section	.text._ZN9rocsparseL19gebsrmvn_3xn_kernelILj128ELj8ELj8EfEEvi20rocsparse_direction_NS_24const_host_device_scalarIT2_EEPKiS6_PKS3_S8_S4_PS3_21rocsparse_index_base_b,"axG",@progbits,_ZN9rocsparseL19gebsrmvn_3xn_kernelILj128ELj8ELj8EfEEvi20rocsparse_direction_NS_24const_host_device_scalarIT2_EEPKiS6_PKS3_S8_S4_PS3_21rocsparse_index_base_b,comdat
	.globl	_ZN9rocsparseL19gebsrmvn_3xn_kernelILj128ELj8ELj8EfEEvi20rocsparse_direction_NS_24const_host_device_scalarIT2_EEPKiS6_PKS3_S8_S4_PS3_21rocsparse_index_base_b ; -- Begin function _ZN9rocsparseL19gebsrmvn_3xn_kernelILj128ELj8ELj8EfEEvi20rocsparse_direction_NS_24const_host_device_scalarIT2_EEPKiS6_PKS3_S8_S4_PS3_21rocsparse_index_base_b
	.p2align	8
	.type	_ZN9rocsparseL19gebsrmvn_3xn_kernelILj128ELj8ELj8EfEEvi20rocsparse_direction_NS_24const_host_device_scalarIT2_EEPKiS6_PKS3_S8_S4_PS3_21rocsparse_index_base_b,@function
_ZN9rocsparseL19gebsrmvn_3xn_kernelILj128ELj8ELj8EfEEvi20rocsparse_direction_NS_24const_host_device_scalarIT2_EEPKiS6_PKS3_S8_S4_PS3_21rocsparse_index_base_b: ; @_ZN9rocsparseL19gebsrmvn_3xn_kernelILj128ELj8ELj8EfEEvi20rocsparse_direction_NS_24const_host_device_scalarIT2_EEPKiS6_PKS3_S8_S4_PS3_21rocsparse_index_base_b
; %bb.0:
	s_clause 0x2
	s_load_dwordx2 s[18:19], s[4:5], 0x40
	s_load_dwordx2 s[16:17], s[4:5], 0x8
	;; [unrolled: 1-line block ×3, first 2 shown]
	s_waitcnt lgkmcnt(0)
	s_bitcmp1_b32 s19, 0
	s_cselect_b32 s0, -1, 0
	s_and_b32 vcc_lo, exec_lo, s0
	s_xor_b32 s0, s0, -1
	s_cbranch_vccnz .LBB31_2
; %bb.1:
	s_load_dword s16, s[16:17], 0x0
.LBB31_2:
	s_andn2_b32 vcc_lo, exec_lo, s0
	s_cbranch_vccnz .LBB31_4
; %bb.3:
	s_load_dword s2, s[2:3], 0x0
.LBB31_4:
	s_waitcnt lgkmcnt(0)
	v_cmp_eq_f32_e64 s0, s16, 0
	v_cmp_eq_f32_e64 s1, s2, 1.0
	s_and_b32 s0, s0, s1
	s_and_b32 vcc_lo, exec_lo, s0
	s_cbranch_vccnz .LBB31_23
; %bb.5:
	s_load_dwordx2 s[0:1], s[4:5], 0x0
	v_lshrrev_b32_e32 v1, 3, v0
	v_lshl_or_b32 v1, s6, 4, v1
	s_waitcnt lgkmcnt(0)
	v_cmp_gt_i32_e32 vcc_lo, s0, v1
	s_and_saveexec_b32 s0, vcc_lo
	s_cbranch_execz .LBB31_23
; %bb.6:
	s_load_dwordx8 s[8:15], s[4:5], 0x10
	v_ashrrev_i32_e32 v2, 31, v1
	v_and_b32_e32 v0, 7, v0
	s_cmp_lg_u32 s1, 0
	v_lshlrev_b64 v[2:3], 2, v[1:2]
	s_waitcnt lgkmcnt(0)
	v_add_co_u32 v2, vcc_lo, s8, v2
	v_add_co_ci_u32_e64 v3, null, s9, v3, vcc_lo
	global_load_dwordx2 v[2:3], v[2:3], off
	s_waitcnt vmcnt(0)
	v_subrev_nc_u32_e32 v2, s18, v2
	v_subrev_nc_u32_e32 v12, s18, v3
	v_add_nc_u32_e32 v2, v2, v0
	v_cmp_lt_i32_e64 s0, v2, v12
	s_cbranch_scc0 .LBB31_12
; %bb.7:
	v_mov_b32_e32 v9, 0
	v_mov_b32_e32 v10, 0
	;; [unrolled: 1-line block ×3, first 2 shown]
	s_and_saveexec_b32 s1, s0
	s_cbranch_execz .LBB31_11
; %bb.8:
	v_mad_u64_u32 v[3:4], null, v2, 24, 23
	v_mov_b32_e32 v6, 0
	v_mov_b32_e32 v7, v2
	;; [unrolled: 1-line block ×5, first 2 shown]
	s_mov_b32 s3, 0
.LBB31_9:                               ; =>This Inner Loop Header: Depth=1
	v_ashrrev_i32_e32 v8, 31, v7
	v_mov_b32_e32 v22, v6
	v_lshlrev_b64 v[4:5], 2, v[7:8]
	v_add_nc_u32_e32 v7, 8, v7
	v_add_co_u32 v4, vcc_lo, s10, v4
	v_add_co_ci_u32_e64 v5, null, s11, v5, vcc_lo
	global_load_dword v8, v[4:5], off
	v_subrev_nc_u32_e32 v5, 23, v3
	v_mov_b32_e32 v4, v6
	v_lshlrev_b64 v[13:14], 2, v[5:6]
	v_add_nc_u32_e32 v5, -15, v3
	v_lshlrev_b64 v[15:16], 2, v[3:4]
	v_lshlrev_b64 v[17:18], 2, v[5:6]
	v_add_nc_u32_e32 v5, -14, v3
	v_add_co_u32 v19, vcc_lo, s12, v13
	v_add_co_ci_u32_e64 v20, null, s13, v14, vcc_lo
	v_lshlrev_b64 v[23:24], 2, v[5:6]
	v_add_nc_u32_e32 v5, -13, v3
	v_add_co_u32 v29, vcc_lo, s12, v15
	v_add_co_ci_u32_e64 v30, null, s13, v16, vcc_lo
	v_lshlrev_b64 v[27:28], 2, v[5:6]
	v_add_co_u32 v25, vcc_lo, s12, v17
	v_add_co_ci_u32_e64 v26, null, s13, v18, vcc_lo
	v_add_co_u32 v23, vcc_lo, s12, v23
	v_add_co_ci_u32_e64 v24, null, s13, v24, vcc_lo
	v_add_co_u32 v27, vcc_lo, s12, v27
	v_add_nc_u32_e32 v5, -12, v3
	v_add_co_ci_u32_e64 v28, null, s13, v28, vcc_lo
	s_clause 0x4
	global_load_dwordx4 v[13:16], v[19:20], off offset:16
	global_load_dwordx4 v[17:20], v[19:20], off
	global_load_dword v37, v[25:26], off
	global_load_dword v39, v[27:28], off
	global_load_dword v38, v[23:24], off
	v_lshlrev_b64 v[25:26], 2, v[5:6]
	v_add_nc_u32_e32 v5, -11, v3
	v_lshlrev_b64 v[23:24], 2, v[5:6]
	v_add_nc_u32_e32 v5, -10, v3
	v_add_co_u32 v25, vcc_lo, s12, v25
	v_add_co_ci_u32_e64 v26, null, s13, v26, vcc_lo
	v_add_co_u32 v23, vcc_lo, s12, v23
	v_lshlrev_b64 v[27:28], 2, v[5:6]
	v_add_nc_u32_e32 v5, -9, v3
	v_add_co_ci_u32_e64 v24, null, s13, v24, vcc_lo
	s_clause 0x1
	global_load_dword v40, v[25:26], off
	global_load_dword v41, v[23:24], off
	v_lshlrev_b64 v[25:26], 2, v[5:6]
	v_add_nc_u32_e32 v5, -8, v3
	v_add_co_u32 v23, vcc_lo, s12, v27
	v_add_co_ci_u32_e64 v24, null, s13, v28, vcc_lo
	v_add_co_u32 v25, vcc_lo, s12, v25
	v_lshlrev_b64 v[27:28], 2, v[5:6]
	v_add_nc_u32_e32 v5, -7, v3
	v_add_co_ci_u32_e64 v26, null, s13, v26, vcc_lo
	s_clause 0x1
	global_load_dword v42, v[23:24], off
	global_load_dword v43, v[25:26], off
	v_lshlrev_b64 v[23:24], 2, v[5:6]
	v_add_nc_u32_e32 v5, -6, v3
	v_add_co_u32 v25, vcc_lo, s12, v27
	v_add_co_ci_u32_e64 v26, null, s13, v28, vcc_lo
	v_lshlrev_b64 v[27:28], 2, v[5:6]
	v_add_co_u32 v23, vcc_lo, s12, v23
	v_add_co_ci_u32_e64 v24, null, s13, v24, vcc_lo
	global_load_dword v44, v[25:26], off
	v_add_co_u32 v33, vcc_lo, s12, v27
	global_load_dword v45, v[23:24], off
	v_add_co_ci_u32_e64 v34, null, s13, v28, vcc_lo
	v_add_nc_u32_e32 v5, -5, v3
	v_lshlrev_b64 v[31:32], 2, v[5:6]
	v_add_nc_u32_e32 v5, -4, v3
	v_lshlrev_b64 v[35:36], 2, v[5:6]
	v_add_nc_u32_e32 v5, -3, v3
	s_waitcnt vmcnt(11)
	v_subrev_nc_u32_e32 v4, s18, v8
	v_lshlrev_b32_e32 v21, 3, v4
	v_lshlrev_b64 v[21:22], 2, v[21:22]
	v_add_co_u32 v25, vcc_lo, s14, v21
	v_add_co_ci_u32_e64 v26, null, s15, v22, vcc_lo
	v_add_co_u32 v31, vcc_lo, s12, v31
	v_add_co_ci_u32_e64 v32, null, s13, v32, vcc_lo
	s_clause 0x1
	global_load_dwordx4 v[21:24], v[25:26], off
	global_load_dwordx4 v[25:28], v[25:26], off offset:16
	s_clause 0x1
	global_load_dword v8, v[33:34], off
	global_load_dword v46, v[31:32], off
	v_lshlrev_b64 v[33:34], 2, v[5:6]
	v_add_nc_u32_e32 v5, -2, v3
	v_add_co_u32 v31, vcc_lo, s12, v35
	v_add_co_ci_u32_e64 v32, null, s13, v36, vcc_lo
	v_lshlrev_b64 v[35:36], 2, v[5:6]
	v_add_nc_u32_e32 v5, -1, v3
	v_add_co_u32 v33, vcc_lo, s12, v33
	v_add_co_ci_u32_e64 v34, null, s13, v34, vcc_lo
	v_lshlrev_b64 v[4:5], 2, v[5:6]
	global_load_dword v47, v[31:32], off
	v_add_nc_u32_e32 v3, 0xc0, v3
	global_load_dword v33, v[33:34], off
	v_add_co_u32 v31, vcc_lo, s12, v35
	v_add_co_ci_u32_e64 v32, null, s13, v36, vcc_lo
	v_add_co_u32 v4, vcc_lo, s12, v4
	v_add_co_ci_u32_e64 v5, null, s13, v5, vcc_lo
	s_clause 0x2
	global_load_dword v31, v[31:32], off
	global_load_dword v4, v[4:5], off
	global_load_dword v5, v[29:30], off
	v_cmp_ge_i32_e32 vcc_lo, v7, v12
	s_or_b32 s3, vcc_lo, s3
	s_waitcnt vmcnt(8)
	v_fmac_f32_e32 v9, v17, v21
	v_fmac_f32_e32 v11, v18, v21
	v_fmac_f32_e32 v10, v19, v21
	v_fmac_f32_e32 v9, v20, v22
	v_fmac_f32_e32 v11, v13, v22
	v_fmac_f32_e32 v10, v14, v22
	v_fmac_f32_e32 v9, v15, v23
	v_fmac_f32_e32 v11, v16, v23
	v_fmac_f32_e32 v10, v37, v23
	v_fmac_f32_e32 v9, v38, v24
	v_fmac_f32_e32 v11, v39, v24
	v_fmac_f32_e32 v10, v40, v24
	s_waitcnt vmcnt(7)
	v_fmac_f32_e32 v9, v41, v25
	v_fmac_f32_e32 v11, v42, v25
	;; [unrolled: 1-line block ×5, first 2 shown]
	s_waitcnt vmcnt(6)
	v_fmac_f32_e32 v10, v8, v26
	s_waitcnt vmcnt(5)
	v_fmac_f32_e32 v9, v46, v27
	;; [unrolled: 2-line block ×7, first 2 shown]
	s_andn2_b32 exec_lo, exec_lo, s3
	s_cbranch_execnz .LBB31_9
; %bb.10:
	s_or_b32 exec_lo, exec_lo, s3
.LBB31_11:
	s_or_b32 exec_lo, exec_lo, s1
	s_cbranch_execz .LBB31_13
	s_branch .LBB31_18
.LBB31_12:
                                        ; implicit-def: $vgpr9
                                        ; implicit-def: $vgpr10
                                        ; implicit-def: $vgpr11
.LBB31_13:
	v_mov_b32_e32 v9, 0
	v_mov_b32_e32 v10, 0
	;; [unrolled: 1-line block ×3, first 2 shown]
	s_and_saveexec_b32 s1, s0
	s_cbranch_execz .LBB31_17
; %bb.14:
	v_mad_u64_u32 v[4:5], null, v2, 24, 23
	v_mov_b32_e32 v7, 0
	v_mov_b32_e32 v9, 0
	;; [unrolled: 1-line block ×4, first 2 shown]
	s_mov_b32 s0, 0
.LBB31_15:                              ; =>This Inner Loop Header: Depth=1
	v_ashrrev_i32_e32 v3, 31, v2
	v_add_nc_u32_e32 v13, -15, v4
	v_mov_b32_e32 v14, v7
	v_add_nc_u32_e32 v15, -7, v4
	v_mov_b32_e32 v16, v7
	v_lshlrev_b64 v[5:6], 2, v[2:3]
	v_mov_b32_e32 v22, v7
	v_lshlrev_b64 v[13:14], 2, v[13:14]
	v_add_nc_u32_e32 v2, 8, v2
	v_lshlrev_b64 v[15:16], 2, v[15:16]
	v_add_co_u32 v5, vcc_lo, s10, v5
	v_add_co_ci_u32_e64 v6, null, s11, v6, vcc_lo
	global_load_dword v3, v[5:6], off
	v_subrev_nc_u32_e32 v6, 23, v4
	v_mov_b32_e32 v5, v7
	v_lshlrev_b64 v[17:18], 2, v[6:7]
	v_add_nc_u32_e32 v6, -14, v4
	v_lshlrev_b64 v[19:20], 2, v[4:5]
	v_lshlrev_b64 v[23:24], 2, v[6:7]
	v_add_co_u32 v17, vcc_lo, s12, v17
	v_add_nc_u32_e32 v6, -6, v4
	v_add_co_ci_u32_e64 v18, null, s13, v18, vcc_lo
	v_add_co_u32 v25, vcc_lo, s12, v13
	v_add_co_ci_u32_e64 v26, null, s13, v14, vcc_lo
	v_add_co_u32 v27, vcc_lo, s12, v15
	;; [unrolled: 2-line block ×3, first 2 shown]
	v_lshlrev_b64 v[31:32], 2, v[6:7]
	v_add_nc_u32_e32 v6, -13, v4
	v_add_co_ci_u32_e64 v30, null, s13, v20, vcc_lo
	v_add_co_u32 v23, vcc_lo, s12, v23
	v_add_co_ci_u32_e64 v24, null, s13, v24, vcc_lo
	s_clause 0x3
	global_load_dwordx4 v[13:16], v[17:18], off offset:16
	global_load_dwordx4 v[17:20], v[17:18], off
	global_load_dword v8, v[25:26], off
	global_load_dword v37, v[27:28], off
	v_lshlrev_b64 v[25:26], 2, v[6:7]
	v_add_nc_u32_e32 v6, -5, v4
	global_load_dword v38, v[23:24], off
	v_add_co_u32 v23, vcc_lo, s12, v31
	v_add_co_ci_u32_e64 v24, null, s13, v32, vcc_lo
	v_add_co_u32 v25, vcc_lo, s12, v25
	v_lshlrev_b64 v[27:28], 2, v[6:7]
	v_add_nc_u32_e32 v6, -12, v4
	v_add_co_ci_u32_e64 v26, null, s13, v26, vcc_lo
	s_clause 0x1
	global_load_dword v39, v[23:24], off
	global_load_dword v40, v[25:26], off
	v_lshlrev_b64 v[23:24], 2, v[6:7]
	v_add_nc_u32_e32 v6, -4, v4
	v_add_co_u32 v25, vcc_lo, s12, v27
	v_add_co_ci_u32_e64 v26, null, s13, v28, vcc_lo
	v_add_co_u32 v23, vcc_lo, s12, v23
	v_lshlrev_b64 v[27:28], 2, v[6:7]
	v_add_nc_u32_e32 v6, -11, v4
	v_add_co_ci_u32_e64 v24, null, s13, v24, vcc_lo
	s_clause 0x1
	global_load_dword v41, v[25:26], off
	global_load_dword v42, v[23:24], off
	v_lshlrev_b64 v[25:26], 2, v[6:7]
	v_add_nc_u32_e32 v6, -3, v4
	v_add_co_u32 v23, vcc_lo, s12, v27
	v_add_co_ci_u32_e64 v24, null, s13, v28, vcc_lo
	v_lshlrev_b64 v[27:28], 2, v[6:7]
	v_add_co_u32 v25, vcc_lo, s12, v25
	v_add_co_ci_u32_e64 v26, null, s13, v26, vcc_lo
	v_add_nc_u32_e32 v6, -10, v4
	v_add_co_u32 v33, vcc_lo, s12, v27
	s_clause 0x1
	global_load_dword v43, v[23:24], off
	global_load_dword v44, v[25:26], off
	v_add_co_ci_u32_e64 v34, null, s13, v28, vcc_lo
	v_lshlrev_b64 v[31:32], 2, v[6:7]
	v_add_nc_u32_e32 v6, -2, v4
	v_lshlrev_b64 v[35:36], 2, v[6:7]
	v_add_nc_u32_e32 v6, -9, v4
	s_waitcnt vmcnt(11)
	v_subrev_nc_u32_e32 v3, s18, v3
	v_lshlrev_b32_e32 v21, 3, v3
	v_lshlrev_b64 v[21:22], 2, v[21:22]
	v_add_co_u32 v25, vcc_lo, s14, v21
	v_add_co_ci_u32_e64 v26, null, s15, v22, vcc_lo
	v_add_co_u32 v31, vcc_lo, s12, v31
	v_add_co_ci_u32_e64 v32, null, s13, v32, vcc_lo
	s_clause 0x1
	global_load_dwordx4 v[21:24], v[25:26], off
	global_load_dwordx4 v[25:28], v[25:26], off offset:16
	s_clause 0x1
	global_load_dword v3, v[33:34], off
	global_load_dword v45, v[31:32], off
	v_lshlrev_b64 v[33:34], 2, v[6:7]
	v_add_nc_u32_e32 v6, -1, v4
	v_add_co_u32 v31, vcc_lo, s12, v35
	v_add_co_ci_u32_e64 v32, null, s13, v36, vcc_lo
	v_lshlrev_b64 v[35:36], 2, v[6:7]
	v_add_nc_u32_e32 v6, -8, v4
	v_add_co_u32 v33, vcc_lo, s12, v33
	v_add_co_ci_u32_e64 v34, null, s13, v34, vcc_lo
	v_lshlrev_b64 v[5:6], 2, v[6:7]
	global_load_dword v46, v[31:32], off
	v_add_nc_u32_e32 v4, 0xc0, v4
	global_load_dword v33, v[33:34], off
	v_add_co_u32 v31, vcc_lo, s12, v35
	v_add_co_ci_u32_e64 v32, null, s13, v36, vcc_lo
	v_add_co_u32 v5, vcc_lo, s12, v5
	v_add_co_ci_u32_e64 v6, null, s13, v6, vcc_lo
	s_clause 0x2
	global_load_dword v31, v[31:32], off
	global_load_dword v5, v[5:6], off
	;; [unrolled: 1-line block ×3, first 2 shown]
	v_cmp_ge_i32_e32 vcc_lo, v2, v12
	s_or_b32 s0, vcc_lo, s0
	s_waitcnt vmcnt(8)
	v_fmac_f32_e32 v9, v17, v21
	v_fmac_f32_e32 v11, v8, v21
	;; [unrolled: 1-line block ×12, first 2 shown]
	s_waitcnt vmcnt(7)
	v_fmac_f32_e32 v9, v13, v25
	v_fmac_f32_e32 v11, v44, v25
	s_waitcnt vmcnt(6)
	v_fmac_f32_e32 v10, v3, v25
	v_fmac_f32_e32 v9, v14, v26
	s_waitcnt vmcnt(5)
	v_fmac_f32_e32 v11, v45, v26
	s_waitcnt vmcnt(4)
	v_fmac_f32_e32 v10, v46, v26
	v_fmac_f32_e32 v9, v15, v27
	s_waitcnt vmcnt(3)
	;; [unrolled: 5-line block ×3, first 2 shown]
	v_fmac_f32_e32 v11, v5, v28
	s_waitcnt vmcnt(0)
	v_fmac_f32_e32 v10, v6, v28
	s_andn2_b32 exec_lo, exec_lo, s0
	s_cbranch_execnz .LBB31_15
; %bb.16:
	s_or_b32 exec_lo, exec_lo, s0
.LBB31_17:
	s_or_b32 exec_lo, exec_lo, s1
.LBB31_18:
	v_mbcnt_lo_u32_b32 v2, -1, 0
	s_mov_b32 s3, -1
	v_xor_b32_e32 v3, 4, v2
	v_xor_b32_e32 v6, 2, v2
	v_cmp_gt_i32_e32 vcc_lo, 32, v3
	v_cndmask_b32_e32 v3, v2, v3, vcc_lo
	v_cmp_gt_i32_e32 vcc_lo, 32, v6
	v_lshlrev_b32_e32 v3, 2, v3
	v_cndmask_b32_e32 v6, v2, v6, vcc_lo
	ds_bpermute_b32 v4, v3, v9
	ds_bpermute_b32 v5, v3, v11
	;; [unrolled: 1-line block ×3, first 2 shown]
	v_lshlrev_b32_e32 v6, 2, v6
	s_waitcnt lgkmcnt(2)
	v_add_f32_e32 v4, v9, v4
	s_waitcnt lgkmcnt(1)
	v_add_f32_e32 v5, v11, v5
	s_waitcnt lgkmcnt(0)
	v_add_f32_e32 v7, v10, v3
	v_xor_b32_e32 v9, 1, v2
	ds_bpermute_b32 v3, v6, v4
	ds_bpermute_b32 v8, v6, v5
	;; [unrolled: 1-line block ×3, first 2 shown]
	v_cmp_gt_i32_e32 vcc_lo, 32, v9
	v_cndmask_b32_e32 v2, v2, v9, vcc_lo
	v_cmp_eq_u32_e32 vcc_lo, 7, v0
	v_lshlrev_b32_e32 v9, 2, v2
	s_waitcnt lgkmcnt(2)
	v_add_f32_e32 v2, v4, v3
	s_waitcnt lgkmcnt(1)
	v_add_f32_e32 v3, v5, v8
	;; [unrolled: 2-line block ×3, first 2 shown]
	ds_bpermute_b32 v5, v9, v2
	ds_bpermute_b32 v6, v9, v3
	;; [unrolled: 1-line block ×3, first 2 shown]
	s_and_b32 exec_lo, exec_lo, vcc_lo
	s_cbranch_execz .LBB31_23
; %bb.19:
	s_load_dwordx2 s[0:1], s[4:5], 0x38
	s_waitcnt lgkmcnt(0)
	v_add_f32_e32 v0, v2, v5
	v_add_f32_e32 v2, v3, v6
	;; [unrolled: 1-line block ×3, first 2 shown]
	v_lshl_add_u32 v3, v1, 1, v1
	v_cmp_eq_f32_e64 s4, s2, 0
	v_mul_f32_e32 v0, s16, v0
	v_mul_f32_e32 v1, s16, v2
	;; [unrolled: 1-line block ×3, first 2 shown]
	v_ashrrev_i32_e32 v4, 31, v3
	s_and_b32 vcc_lo, exec_lo, s4
	s_cbranch_vccz .LBB31_21
; %bb.20:
	v_lshlrev_b64 v[5:6], 2, v[3:4]
	s_mov_b32 s3, 0
	v_add_co_u32 v5, vcc_lo, s0, v5
	v_add_co_ci_u32_e64 v6, null, s1, v6, vcc_lo
	global_store_dwordx3 v[5:6], v[0:2], off
.LBB31_21:
	s_andn2_b32 vcc_lo, exec_lo, s3
	s_cbranch_vccnz .LBB31_23
; %bb.22:
	v_lshlrev_b64 v[3:4], 2, v[3:4]
	v_add_co_u32 v6, vcc_lo, s0, v3
	v_add_co_ci_u32_e64 v7, null, s1, v4, vcc_lo
	global_load_dwordx3 v[3:5], v[6:7], off
	s_waitcnt vmcnt(0)
	v_fmac_f32_e32 v0, s2, v3
	v_fmac_f32_e32 v1, s2, v4
	;; [unrolled: 1-line block ×3, first 2 shown]
	global_store_dwordx3 v[6:7], v[0:2], off
.LBB31_23:
	s_endpgm
	.section	.rodata,"a",@progbits
	.p2align	6, 0x0
	.amdhsa_kernel _ZN9rocsparseL19gebsrmvn_3xn_kernelILj128ELj8ELj8EfEEvi20rocsparse_direction_NS_24const_host_device_scalarIT2_EEPKiS6_PKS3_S8_S4_PS3_21rocsparse_index_base_b
		.amdhsa_group_segment_fixed_size 0
		.amdhsa_private_segment_fixed_size 0
		.amdhsa_kernarg_size 72
		.amdhsa_user_sgpr_count 6
		.amdhsa_user_sgpr_private_segment_buffer 1
		.amdhsa_user_sgpr_dispatch_ptr 0
		.amdhsa_user_sgpr_queue_ptr 0
		.amdhsa_user_sgpr_kernarg_segment_ptr 1
		.amdhsa_user_sgpr_dispatch_id 0
		.amdhsa_user_sgpr_flat_scratch_init 0
		.amdhsa_user_sgpr_private_segment_size 0
		.amdhsa_wavefront_size32 1
		.amdhsa_uses_dynamic_stack 0
		.amdhsa_system_sgpr_private_segment_wavefront_offset 0
		.amdhsa_system_sgpr_workgroup_id_x 1
		.amdhsa_system_sgpr_workgroup_id_y 0
		.amdhsa_system_sgpr_workgroup_id_z 0
		.amdhsa_system_sgpr_workgroup_info 0
		.amdhsa_system_vgpr_workitem_id 0
		.amdhsa_next_free_vgpr 48
		.amdhsa_next_free_sgpr 20
		.amdhsa_reserve_vcc 1
		.amdhsa_reserve_flat_scratch 0
		.amdhsa_float_round_mode_32 0
		.amdhsa_float_round_mode_16_64 0
		.amdhsa_float_denorm_mode_32 3
		.amdhsa_float_denorm_mode_16_64 3
		.amdhsa_dx10_clamp 1
		.amdhsa_ieee_mode 1
		.amdhsa_fp16_overflow 0
		.amdhsa_workgroup_processor_mode 1
		.amdhsa_memory_ordered 1
		.amdhsa_forward_progress 1
		.amdhsa_shared_vgpr_count 0
		.amdhsa_exception_fp_ieee_invalid_op 0
		.amdhsa_exception_fp_denorm_src 0
		.amdhsa_exception_fp_ieee_div_zero 0
		.amdhsa_exception_fp_ieee_overflow 0
		.amdhsa_exception_fp_ieee_underflow 0
		.amdhsa_exception_fp_ieee_inexact 0
		.amdhsa_exception_int_div_zero 0
	.end_amdhsa_kernel
	.section	.text._ZN9rocsparseL19gebsrmvn_3xn_kernelILj128ELj8ELj8EfEEvi20rocsparse_direction_NS_24const_host_device_scalarIT2_EEPKiS6_PKS3_S8_S4_PS3_21rocsparse_index_base_b,"axG",@progbits,_ZN9rocsparseL19gebsrmvn_3xn_kernelILj128ELj8ELj8EfEEvi20rocsparse_direction_NS_24const_host_device_scalarIT2_EEPKiS6_PKS3_S8_S4_PS3_21rocsparse_index_base_b,comdat
.Lfunc_end31:
	.size	_ZN9rocsparseL19gebsrmvn_3xn_kernelILj128ELj8ELj8EfEEvi20rocsparse_direction_NS_24const_host_device_scalarIT2_EEPKiS6_PKS3_S8_S4_PS3_21rocsparse_index_base_b, .Lfunc_end31-_ZN9rocsparseL19gebsrmvn_3xn_kernelILj128ELj8ELj8EfEEvi20rocsparse_direction_NS_24const_host_device_scalarIT2_EEPKiS6_PKS3_S8_S4_PS3_21rocsparse_index_base_b
                                        ; -- End function
	.set _ZN9rocsparseL19gebsrmvn_3xn_kernelILj128ELj8ELj8EfEEvi20rocsparse_direction_NS_24const_host_device_scalarIT2_EEPKiS6_PKS3_S8_S4_PS3_21rocsparse_index_base_b.num_vgpr, 48
	.set _ZN9rocsparseL19gebsrmvn_3xn_kernelILj128ELj8ELj8EfEEvi20rocsparse_direction_NS_24const_host_device_scalarIT2_EEPKiS6_PKS3_S8_S4_PS3_21rocsparse_index_base_b.num_agpr, 0
	.set _ZN9rocsparseL19gebsrmvn_3xn_kernelILj128ELj8ELj8EfEEvi20rocsparse_direction_NS_24const_host_device_scalarIT2_EEPKiS6_PKS3_S8_S4_PS3_21rocsparse_index_base_b.numbered_sgpr, 20
	.set _ZN9rocsparseL19gebsrmvn_3xn_kernelILj128ELj8ELj8EfEEvi20rocsparse_direction_NS_24const_host_device_scalarIT2_EEPKiS6_PKS3_S8_S4_PS3_21rocsparse_index_base_b.num_named_barrier, 0
	.set _ZN9rocsparseL19gebsrmvn_3xn_kernelILj128ELj8ELj8EfEEvi20rocsparse_direction_NS_24const_host_device_scalarIT2_EEPKiS6_PKS3_S8_S4_PS3_21rocsparse_index_base_b.private_seg_size, 0
	.set _ZN9rocsparseL19gebsrmvn_3xn_kernelILj128ELj8ELj8EfEEvi20rocsparse_direction_NS_24const_host_device_scalarIT2_EEPKiS6_PKS3_S8_S4_PS3_21rocsparse_index_base_b.uses_vcc, 1
	.set _ZN9rocsparseL19gebsrmvn_3xn_kernelILj128ELj8ELj8EfEEvi20rocsparse_direction_NS_24const_host_device_scalarIT2_EEPKiS6_PKS3_S8_S4_PS3_21rocsparse_index_base_b.uses_flat_scratch, 0
	.set _ZN9rocsparseL19gebsrmvn_3xn_kernelILj128ELj8ELj8EfEEvi20rocsparse_direction_NS_24const_host_device_scalarIT2_EEPKiS6_PKS3_S8_S4_PS3_21rocsparse_index_base_b.has_dyn_sized_stack, 0
	.set _ZN9rocsparseL19gebsrmvn_3xn_kernelILj128ELj8ELj8EfEEvi20rocsparse_direction_NS_24const_host_device_scalarIT2_EEPKiS6_PKS3_S8_S4_PS3_21rocsparse_index_base_b.has_recursion, 0
	.set _ZN9rocsparseL19gebsrmvn_3xn_kernelILj128ELj8ELj8EfEEvi20rocsparse_direction_NS_24const_host_device_scalarIT2_EEPKiS6_PKS3_S8_S4_PS3_21rocsparse_index_base_b.has_indirect_call, 0
	.section	.AMDGPU.csdata,"",@progbits
; Kernel info:
; codeLenInByte = 2516
; TotalNumSgprs: 22
; NumVgprs: 48
; ScratchSize: 0
; MemoryBound: 0
; FloatMode: 240
; IeeeMode: 1
; LDSByteSize: 0 bytes/workgroup (compile time only)
; SGPRBlocks: 0
; VGPRBlocks: 5
; NumSGPRsForWavesPerEU: 22
; NumVGPRsForWavesPerEU: 48
; Occupancy: 16
; WaveLimiterHint : 1
; COMPUTE_PGM_RSRC2:SCRATCH_EN: 0
; COMPUTE_PGM_RSRC2:USER_SGPR: 6
; COMPUTE_PGM_RSRC2:TRAP_HANDLER: 0
; COMPUTE_PGM_RSRC2:TGID_X_EN: 1
; COMPUTE_PGM_RSRC2:TGID_Y_EN: 0
; COMPUTE_PGM_RSRC2:TGID_Z_EN: 0
; COMPUTE_PGM_RSRC2:TIDIG_COMP_CNT: 0
	.section	.text._ZN9rocsparseL19gebsrmvn_3xn_kernelILj128ELj8ELj16EfEEvi20rocsparse_direction_NS_24const_host_device_scalarIT2_EEPKiS6_PKS3_S8_S4_PS3_21rocsparse_index_base_b,"axG",@progbits,_ZN9rocsparseL19gebsrmvn_3xn_kernelILj128ELj8ELj16EfEEvi20rocsparse_direction_NS_24const_host_device_scalarIT2_EEPKiS6_PKS3_S8_S4_PS3_21rocsparse_index_base_b,comdat
	.globl	_ZN9rocsparseL19gebsrmvn_3xn_kernelILj128ELj8ELj16EfEEvi20rocsparse_direction_NS_24const_host_device_scalarIT2_EEPKiS6_PKS3_S8_S4_PS3_21rocsparse_index_base_b ; -- Begin function _ZN9rocsparseL19gebsrmvn_3xn_kernelILj128ELj8ELj16EfEEvi20rocsparse_direction_NS_24const_host_device_scalarIT2_EEPKiS6_PKS3_S8_S4_PS3_21rocsparse_index_base_b
	.p2align	8
	.type	_ZN9rocsparseL19gebsrmvn_3xn_kernelILj128ELj8ELj16EfEEvi20rocsparse_direction_NS_24const_host_device_scalarIT2_EEPKiS6_PKS3_S8_S4_PS3_21rocsparse_index_base_b,@function
_ZN9rocsparseL19gebsrmvn_3xn_kernelILj128ELj8ELj16EfEEvi20rocsparse_direction_NS_24const_host_device_scalarIT2_EEPKiS6_PKS3_S8_S4_PS3_21rocsparse_index_base_b: ; @_ZN9rocsparseL19gebsrmvn_3xn_kernelILj128ELj8ELj16EfEEvi20rocsparse_direction_NS_24const_host_device_scalarIT2_EEPKiS6_PKS3_S8_S4_PS3_21rocsparse_index_base_b
; %bb.0:
	s_clause 0x2
	s_load_dwordx2 s[18:19], s[4:5], 0x40
	s_load_dwordx2 s[16:17], s[4:5], 0x8
	;; [unrolled: 1-line block ×3, first 2 shown]
	s_waitcnt lgkmcnt(0)
	s_bitcmp1_b32 s19, 0
	s_cselect_b32 s0, -1, 0
	s_and_b32 vcc_lo, exec_lo, s0
	s_xor_b32 s0, s0, -1
	s_cbranch_vccnz .LBB32_2
; %bb.1:
	s_load_dword s16, s[16:17], 0x0
.LBB32_2:
	s_andn2_b32 vcc_lo, exec_lo, s0
	s_cbranch_vccnz .LBB32_4
; %bb.3:
	s_load_dword s2, s[2:3], 0x0
.LBB32_4:
	s_waitcnt lgkmcnt(0)
	v_cmp_eq_f32_e64 s0, s16, 0
	v_cmp_eq_f32_e64 s1, s2, 1.0
	s_and_b32 s0, s0, s1
	s_and_b32 vcc_lo, exec_lo, s0
	s_cbranch_vccnz .LBB32_23
; %bb.5:
	s_load_dwordx2 s[0:1], s[4:5], 0x0
	v_lshrrev_b32_e32 v1, 4, v0
	v_lshl_or_b32 v1, s6, 3, v1
	s_waitcnt lgkmcnt(0)
	v_cmp_gt_i32_e32 vcc_lo, s0, v1
	s_and_saveexec_b32 s0, vcc_lo
	s_cbranch_execz .LBB32_23
; %bb.6:
	s_load_dwordx8 s[8:15], s[4:5], 0x10
	v_ashrrev_i32_e32 v2, 31, v1
	v_and_b32_e32 v0, 15, v0
	s_cmp_lg_u32 s1, 0
	v_lshlrev_b64 v[2:3], 2, v[1:2]
	s_waitcnt lgkmcnt(0)
	v_add_co_u32 v2, vcc_lo, s8, v2
	v_add_co_ci_u32_e64 v3, null, s9, v3, vcc_lo
	global_load_dwordx2 v[2:3], v[2:3], off
	s_waitcnt vmcnt(0)
	v_subrev_nc_u32_e32 v2, s18, v2
	v_subrev_nc_u32_e32 v12, s18, v3
	v_add_nc_u32_e32 v2, v2, v0
	v_cmp_lt_i32_e64 s0, v2, v12
	s_cbranch_scc0 .LBB32_12
; %bb.7:
	v_mov_b32_e32 v9, 0
	v_mov_b32_e32 v10, 0
	;; [unrolled: 1-line block ×3, first 2 shown]
	s_and_saveexec_b32 s1, s0
	s_cbranch_execz .LBB32_11
; %bb.8:
	v_mad_u64_u32 v[3:4], null, v2, 24, 23
	v_mov_b32_e32 v6, 0
	v_mov_b32_e32 v7, v2
	;; [unrolled: 1-line block ×5, first 2 shown]
	s_mov_b32 s3, 0
.LBB32_9:                               ; =>This Inner Loop Header: Depth=1
	v_ashrrev_i32_e32 v8, 31, v7
	v_mov_b32_e32 v22, v6
	v_lshlrev_b64 v[4:5], 2, v[7:8]
	v_add_nc_u32_e32 v7, 16, v7
	v_add_co_u32 v4, vcc_lo, s10, v4
	v_add_co_ci_u32_e64 v5, null, s11, v5, vcc_lo
	global_load_dword v8, v[4:5], off
	v_subrev_nc_u32_e32 v5, 23, v3
	v_mov_b32_e32 v4, v6
	v_lshlrev_b64 v[13:14], 2, v[5:6]
	v_add_nc_u32_e32 v5, -15, v3
	v_lshlrev_b64 v[15:16], 2, v[3:4]
	v_lshlrev_b64 v[17:18], 2, v[5:6]
	v_add_nc_u32_e32 v5, -14, v3
	v_add_co_u32 v19, vcc_lo, s12, v13
	v_add_co_ci_u32_e64 v20, null, s13, v14, vcc_lo
	v_lshlrev_b64 v[23:24], 2, v[5:6]
	v_add_nc_u32_e32 v5, -13, v3
	v_add_co_u32 v29, vcc_lo, s12, v15
	v_add_co_ci_u32_e64 v30, null, s13, v16, vcc_lo
	v_lshlrev_b64 v[27:28], 2, v[5:6]
	v_add_co_u32 v25, vcc_lo, s12, v17
	v_add_co_ci_u32_e64 v26, null, s13, v18, vcc_lo
	v_add_co_u32 v23, vcc_lo, s12, v23
	v_add_co_ci_u32_e64 v24, null, s13, v24, vcc_lo
	v_add_co_u32 v27, vcc_lo, s12, v27
	v_add_nc_u32_e32 v5, -12, v3
	v_add_co_ci_u32_e64 v28, null, s13, v28, vcc_lo
	s_clause 0x4
	global_load_dwordx4 v[13:16], v[19:20], off offset:16
	global_load_dwordx4 v[17:20], v[19:20], off
	global_load_dword v37, v[25:26], off
	global_load_dword v39, v[27:28], off
	;; [unrolled: 1-line block ×3, first 2 shown]
	v_lshlrev_b64 v[25:26], 2, v[5:6]
	v_add_nc_u32_e32 v5, -11, v3
	v_lshlrev_b64 v[23:24], 2, v[5:6]
	v_add_nc_u32_e32 v5, -10, v3
	v_add_co_u32 v25, vcc_lo, s12, v25
	v_add_co_ci_u32_e64 v26, null, s13, v26, vcc_lo
	v_add_co_u32 v23, vcc_lo, s12, v23
	v_lshlrev_b64 v[27:28], 2, v[5:6]
	v_add_nc_u32_e32 v5, -9, v3
	v_add_co_ci_u32_e64 v24, null, s13, v24, vcc_lo
	s_clause 0x1
	global_load_dword v40, v[25:26], off
	global_load_dword v41, v[23:24], off
	v_lshlrev_b64 v[25:26], 2, v[5:6]
	v_add_nc_u32_e32 v5, -8, v3
	v_add_co_u32 v23, vcc_lo, s12, v27
	v_add_co_ci_u32_e64 v24, null, s13, v28, vcc_lo
	v_add_co_u32 v25, vcc_lo, s12, v25
	v_lshlrev_b64 v[27:28], 2, v[5:6]
	v_add_nc_u32_e32 v5, -7, v3
	v_add_co_ci_u32_e64 v26, null, s13, v26, vcc_lo
	s_clause 0x1
	global_load_dword v42, v[23:24], off
	global_load_dword v43, v[25:26], off
	v_lshlrev_b64 v[23:24], 2, v[5:6]
	v_add_nc_u32_e32 v5, -6, v3
	v_add_co_u32 v25, vcc_lo, s12, v27
	v_add_co_ci_u32_e64 v26, null, s13, v28, vcc_lo
	v_lshlrev_b64 v[27:28], 2, v[5:6]
	v_add_co_u32 v23, vcc_lo, s12, v23
	v_add_co_ci_u32_e64 v24, null, s13, v24, vcc_lo
	global_load_dword v44, v[25:26], off
	v_add_co_u32 v33, vcc_lo, s12, v27
	global_load_dword v45, v[23:24], off
	v_add_co_ci_u32_e64 v34, null, s13, v28, vcc_lo
	v_add_nc_u32_e32 v5, -5, v3
	v_lshlrev_b64 v[31:32], 2, v[5:6]
	v_add_nc_u32_e32 v5, -4, v3
	v_lshlrev_b64 v[35:36], 2, v[5:6]
	v_add_nc_u32_e32 v5, -3, v3
	s_waitcnt vmcnt(11)
	v_subrev_nc_u32_e32 v4, s18, v8
	v_lshlrev_b32_e32 v21, 3, v4
	v_lshlrev_b64 v[21:22], 2, v[21:22]
	v_add_co_u32 v25, vcc_lo, s14, v21
	v_add_co_ci_u32_e64 v26, null, s15, v22, vcc_lo
	v_add_co_u32 v31, vcc_lo, s12, v31
	v_add_co_ci_u32_e64 v32, null, s13, v32, vcc_lo
	s_clause 0x1
	global_load_dwordx4 v[21:24], v[25:26], off
	global_load_dwordx4 v[25:28], v[25:26], off offset:16
	s_clause 0x1
	global_load_dword v8, v[33:34], off
	global_load_dword v46, v[31:32], off
	v_lshlrev_b64 v[33:34], 2, v[5:6]
	v_add_nc_u32_e32 v5, -2, v3
	v_add_co_u32 v31, vcc_lo, s12, v35
	v_add_co_ci_u32_e64 v32, null, s13, v36, vcc_lo
	v_lshlrev_b64 v[35:36], 2, v[5:6]
	v_add_nc_u32_e32 v5, -1, v3
	v_add_co_u32 v33, vcc_lo, s12, v33
	v_add_co_ci_u32_e64 v34, null, s13, v34, vcc_lo
	v_lshlrev_b64 v[4:5], 2, v[5:6]
	global_load_dword v47, v[31:32], off
	v_add_nc_u32_e32 v3, 0x180, v3
	global_load_dword v33, v[33:34], off
	v_add_co_u32 v31, vcc_lo, s12, v35
	v_add_co_ci_u32_e64 v32, null, s13, v36, vcc_lo
	v_add_co_u32 v4, vcc_lo, s12, v4
	v_add_co_ci_u32_e64 v5, null, s13, v5, vcc_lo
	s_clause 0x2
	global_load_dword v31, v[31:32], off
	global_load_dword v4, v[4:5], off
	;; [unrolled: 1-line block ×3, first 2 shown]
	v_cmp_ge_i32_e32 vcc_lo, v7, v12
	s_or_b32 s3, vcc_lo, s3
	s_waitcnt vmcnt(8)
	v_fmac_f32_e32 v9, v17, v21
	v_fmac_f32_e32 v11, v18, v21
	v_fmac_f32_e32 v10, v19, v21
	v_fmac_f32_e32 v9, v20, v22
	v_fmac_f32_e32 v11, v13, v22
	v_fmac_f32_e32 v10, v14, v22
	v_fmac_f32_e32 v9, v15, v23
	v_fmac_f32_e32 v11, v16, v23
	v_fmac_f32_e32 v10, v37, v23
	v_fmac_f32_e32 v9, v38, v24
	v_fmac_f32_e32 v11, v39, v24
	v_fmac_f32_e32 v10, v40, v24
	s_waitcnt vmcnt(7)
	v_fmac_f32_e32 v9, v41, v25
	v_fmac_f32_e32 v11, v42, v25
	;; [unrolled: 1-line block ×5, first 2 shown]
	s_waitcnt vmcnt(6)
	v_fmac_f32_e32 v10, v8, v26
	s_waitcnt vmcnt(5)
	v_fmac_f32_e32 v9, v46, v27
	;; [unrolled: 2-line block ×7, first 2 shown]
	s_andn2_b32 exec_lo, exec_lo, s3
	s_cbranch_execnz .LBB32_9
; %bb.10:
	s_or_b32 exec_lo, exec_lo, s3
.LBB32_11:
	s_or_b32 exec_lo, exec_lo, s1
	s_cbranch_execz .LBB32_13
	s_branch .LBB32_18
.LBB32_12:
                                        ; implicit-def: $vgpr9
                                        ; implicit-def: $vgpr10
                                        ; implicit-def: $vgpr11
.LBB32_13:
	v_mov_b32_e32 v9, 0
	v_mov_b32_e32 v10, 0
	;; [unrolled: 1-line block ×3, first 2 shown]
	s_and_saveexec_b32 s1, s0
	s_cbranch_execz .LBB32_17
; %bb.14:
	v_mad_u64_u32 v[4:5], null, v2, 24, 23
	v_mov_b32_e32 v7, 0
	v_mov_b32_e32 v9, 0
	;; [unrolled: 1-line block ×4, first 2 shown]
	s_mov_b32 s0, 0
.LBB32_15:                              ; =>This Inner Loop Header: Depth=1
	v_ashrrev_i32_e32 v3, 31, v2
	v_add_nc_u32_e32 v13, -15, v4
	v_mov_b32_e32 v14, v7
	v_add_nc_u32_e32 v15, -7, v4
	v_mov_b32_e32 v16, v7
	v_lshlrev_b64 v[5:6], 2, v[2:3]
	v_mov_b32_e32 v22, v7
	v_lshlrev_b64 v[13:14], 2, v[13:14]
	v_add_nc_u32_e32 v2, 16, v2
	v_lshlrev_b64 v[15:16], 2, v[15:16]
	v_add_co_u32 v5, vcc_lo, s10, v5
	v_add_co_ci_u32_e64 v6, null, s11, v6, vcc_lo
	global_load_dword v3, v[5:6], off
	v_subrev_nc_u32_e32 v6, 23, v4
	v_mov_b32_e32 v5, v7
	v_lshlrev_b64 v[17:18], 2, v[6:7]
	v_add_nc_u32_e32 v6, -14, v4
	v_lshlrev_b64 v[19:20], 2, v[4:5]
	v_lshlrev_b64 v[23:24], 2, v[6:7]
	v_add_co_u32 v17, vcc_lo, s12, v17
	v_add_nc_u32_e32 v6, -6, v4
	v_add_co_ci_u32_e64 v18, null, s13, v18, vcc_lo
	v_add_co_u32 v25, vcc_lo, s12, v13
	v_add_co_ci_u32_e64 v26, null, s13, v14, vcc_lo
	v_add_co_u32 v27, vcc_lo, s12, v15
	;; [unrolled: 2-line block ×3, first 2 shown]
	v_lshlrev_b64 v[31:32], 2, v[6:7]
	v_add_nc_u32_e32 v6, -13, v4
	v_add_co_ci_u32_e64 v30, null, s13, v20, vcc_lo
	v_add_co_u32 v23, vcc_lo, s12, v23
	v_add_co_ci_u32_e64 v24, null, s13, v24, vcc_lo
	s_clause 0x3
	global_load_dwordx4 v[13:16], v[17:18], off offset:16
	global_load_dwordx4 v[17:20], v[17:18], off
	global_load_dword v8, v[25:26], off
	global_load_dword v37, v[27:28], off
	v_lshlrev_b64 v[25:26], 2, v[6:7]
	v_add_nc_u32_e32 v6, -5, v4
	global_load_dword v38, v[23:24], off
	v_add_co_u32 v23, vcc_lo, s12, v31
	v_add_co_ci_u32_e64 v24, null, s13, v32, vcc_lo
	v_add_co_u32 v25, vcc_lo, s12, v25
	v_lshlrev_b64 v[27:28], 2, v[6:7]
	v_add_nc_u32_e32 v6, -12, v4
	v_add_co_ci_u32_e64 v26, null, s13, v26, vcc_lo
	s_clause 0x1
	global_load_dword v39, v[23:24], off
	global_load_dword v40, v[25:26], off
	v_lshlrev_b64 v[23:24], 2, v[6:7]
	v_add_nc_u32_e32 v6, -4, v4
	v_add_co_u32 v25, vcc_lo, s12, v27
	v_add_co_ci_u32_e64 v26, null, s13, v28, vcc_lo
	v_add_co_u32 v23, vcc_lo, s12, v23
	v_lshlrev_b64 v[27:28], 2, v[6:7]
	v_add_nc_u32_e32 v6, -11, v4
	v_add_co_ci_u32_e64 v24, null, s13, v24, vcc_lo
	s_clause 0x1
	global_load_dword v41, v[25:26], off
	global_load_dword v42, v[23:24], off
	v_lshlrev_b64 v[25:26], 2, v[6:7]
	v_add_nc_u32_e32 v6, -3, v4
	v_add_co_u32 v23, vcc_lo, s12, v27
	v_add_co_ci_u32_e64 v24, null, s13, v28, vcc_lo
	v_lshlrev_b64 v[27:28], 2, v[6:7]
	v_add_co_u32 v25, vcc_lo, s12, v25
	v_add_co_ci_u32_e64 v26, null, s13, v26, vcc_lo
	v_add_nc_u32_e32 v6, -10, v4
	v_add_co_u32 v33, vcc_lo, s12, v27
	s_clause 0x1
	global_load_dword v43, v[23:24], off
	global_load_dword v44, v[25:26], off
	v_add_co_ci_u32_e64 v34, null, s13, v28, vcc_lo
	v_lshlrev_b64 v[31:32], 2, v[6:7]
	v_add_nc_u32_e32 v6, -2, v4
	v_lshlrev_b64 v[35:36], 2, v[6:7]
	v_add_nc_u32_e32 v6, -9, v4
	s_waitcnt vmcnt(11)
	v_subrev_nc_u32_e32 v3, s18, v3
	v_lshlrev_b32_e32 v21, 3, v3
	v_lshlrev_b64 v[21:22], 2, v[21:22]
	v_add_co_u32 v25, vcc_lo, s14, v21
	v_add_co_ci_u32_e64 v26, null, s15, v22, vcc_lo
	v_add_co_u32 v31, vcc_lo, s12, v31
	v_add_co_ci_u32_e64 v32, null, s13, v32, vcc_lo
	s_clause 0x1
	global_load_dwordx4 v[21:24], v[25:26], off
	global_load_dwordx4 v[25:28], v[25:26], off offset:16
	s_clause 0x1
	global_load_dword v3, v[33:34], off
	global_load_dword v45, v[31:32], off
	v_lshlrev_b64 v[33:34], 2, v[6:7]
	v_add_nc_u32_e32 v6, -1, v4
	v_add_co_u32 v31, vcc_lo, s12, v35
	v_add_co_ci_u32_e64 v32, null, s13, v36, vcc_lo
	v_lshlrev_b64 v[35:36], 2, v[6:7]
	v_add_nc_u32_e32 v6, -8, v4
	v_add_co_u32 v33, vcc_lo, s12, v33
	v_add_co_ci_u32_e64 v34, null, s13, v34, vcc_lo
	v_lshlrev_b64 v[5:6], 2, v[6:7]
	global_load_dword v46, v[31:32], off
	v_add_nc_u32_e32 v4, 0x180, v4
	global_load_dword v33, v[33:34], off
	v_add_co_u32 v31, vcc_lo, s12, v35
	v_add_co_ci_u32_e64 v32, null, s13, v36, vcc_lo
	v_add_co_u32 v5, vcc_lo, s12, v5
	v_add_co_ci_u32_e64 v6, null, s13, v6, vcc_lo
	s_clause 0x2
	global_load_dword v31, v[31:32], off
	global_load_dword v5, v[5:6], off
	global_load_dword v6, v[29:30], off
	v_cmp_ge_i32_e32 vcc_lo, v2, v12
	s_or_b32 s0, vcc_lo, s0
	s_waitcnt vmcnt(8)
	v_fmac_f32_e32 v9, v17, v21
	v_fmac_f32_e32 v11, v8, v21
	;; [unrolled: 1-line block ×12, first 2 shown]
	s_waitcnt vmcnt(7)
	v_fmac_f32_e32 v9, v13, v25
	v_fmac_f32_e32 v11, v44, v25
	s_waitcnt vmcnt(6)
	v_fmac_f32_e32 v10, v3, v25
	v_fmac_f32_e32 v9, v14, v26
	s_waitcnt vmcnt(5)
	v_fmac_f32_e32 v11, v45, v26
	s_waitcnt vmcnt(4)
	v_fmac_f32_e32 v10, v46, v26
	v_fmac_f32_e32 v9, v15, v27
	s_waitcnt vmcnt(3)
	;; [unrolled: 5-line block ×3, first 2 shown]
	v_fmac_f32_e32 v11, v5, v28
	s_waitcnt vmcnt(0)
	v_fmac_f32_e32 v10, v6, v28
	s_andn2_b32 exec_lo, exec_lo, s0
	s_cbranch_execnz .LBB32_15
; %bb.16:
	s_or_b32 exec_lo, exec_lo, s0
.LBB32_17:
	s_or_b32 exec_lo, exec_lo, s1
.LBB32_18:
	v_mbcnt_lo_u32_b32 v2, -1, 0
	s_mov_b32 s3, -1
	v_xor_b32_e32 v3, 8, v2
	v_xor_b32_e32 v6, 4, v2
	v_cmp_gt_i32_e32 vcc_lo, 32, v3
	v_cndmask_b32_e32 v3, v2, v3, vcc_lo
	v_cmp_gt_i32_e32 vcc_lo, 32, v6
	v_lshlrev_b32_e32 v3, 2, v3
	v_cndmask_b32_e32 v6, v2, v6, vcc_lo
	ds_bpermute_b32 v4, v3, v9
	ds_bpermute_b32 v5, v3, v11
	;; [unrolled: 1-line block ×3, first 2 shown]
	v_lshlrev_b32_e32 v6, 2, v6
	s_waitcnt lgkmcnt(2)
	v_add_f32_e32 v4, v9, v4
	s_waitcnt lgkmcnt(1)
	v_add_f32_e32 v5, v11, v5
	s_waitcnt lgkmcnt(0)
	v_add_f32_e32 v3, v10, v3
	v_xor_b32_e32 v9, 2, v2
	ds_bpermute_b32 v7, v6, v4
	ds_bpermute_b32 v8, v6, v5
	;; [unrolled: 1-line block ×3, first 2 shown]
	v_cmp_gt_i32_e32 vcc_lo, 32, v9
	v_cndmask_b32_e32 v9, v2, v9, vcc_lo
	v_lshlrev_b32_e32 v9, 2, v9
	s_waitcnt lgkmcnt(2)
	v_add_f32_e32 v4, v4, v7
	s_waitcnt lgkmcnt(1)
	v_add_f32_e32 v5, v5, v8
	;; [unrolled: 2-line block ×3, first 2 shown]
	ds_bpermute_b32 v3, v9, v4
	ds_bpermute_b32 v7, v9, v5
	;; [unrolled: 1-line block ×3, first 2 shown]
	v_xor_b32_e32 v9, 1, v2
	v_cmp_gt_i32_e32 vcc_lo, 32, v9
	v_cndmask_b32_e32 v2, v2, v9, vcc_lo
	v_cmp_eq_u32_e32 vcc_lo, 15, v0
	v_lshlrev_b32_e32 v9, 2, v2
	s_waitcnt lgkmcnt(2)
	v_add_f32_e32 v2, v4, v3
	s_waitcnt lgkmcnt(1)
	v_add_f32_e32 v3, v5, v7
	;; [unrolled: 2-line block ×3, first 2 shown]
	ds_bpermute_b32 v5, v9, v2
	ds_bpermute_b32 v6, v9, v3
	;; [unrolled: 1-line block ×3, first 2 shown]
	s_and_b32 exec_lo, exec_lo, vcc_lo
	s_cbranch_execz .LBB32_23
; %bb.19:
	s_load_dwordx2 s[0:1], s[4:5], 0x38
	s_waitcnt lgkmcnt(0)
	v_add_f32_e32 v0, v2, v5
	v_add_f32_e32 v2, v3, v6
	;; [unrolled: 1-line block ×3, first 2 shown]
	v_lshl_add_u32 v3, v1, 1, v1
	v_cmp_eq_f32_e64 s4, s2, 0
	v_mul_f32_e32 v0, s16, v0
	v_mul_f32_e32 v1, s16, v2
	;; [unrolled: 1-line block ×3, first 2 shown]
	v_ashrrev_i32_e32 v4, 31, v3
	s_and_b32 vcc_lo, exec_lo, s4
	s_cbranch_vccz .LBB32_21
; %bb.20:
	v_lshlrev_b64 v[5:6], 2, v[3:4]
	s_mov_b32 s3, 0
	v_add_co_u32 v5, vcc_lo, s0, v5
	v_add_co_ci_u32_e64 v6, null, s1, v6, vcc_lo
	global_store_dwordx3 v[5:6], v[0:2], off
.LBB32_21:
	s_andn2_b32 vcc_lo, exec_lo, s3
	s_cbranch_vccnz .LBB32_23
; %bb.22:
	v_lshlrev_b64 v[3:4], 2, v[3:4]
	v_add_co_u32 v6, vcc_lo, s0, v3
	v_add_co_ci_u32_e64 v7, null, s1, v4, vcc_lo
	global_load_dwordx3 v[3:5], v[6:7], off
	s_waitcnt vmcnt(0)
	v_fmac_f32_e32 v0, s2, v3
	v_fmac_f32_e32 v1, s2, v4
	;; [unrolled: 1-line block ×3, first 2 shown]
	global_store_dwordx3 v[6:7], v[0:2], off
.LBB32_23:
	s_endpgm
	.section	.rodata,"a",@progbits
	.p2align	6, 0x0
	.amdhsa_kernel _ZN9rocsparseL19gebsrmvn_3xn_kernelILj128ELj8ELj16EfEEvi20rocsparse_direction_NS_24const_host_device_scalarIT2_EEPKiS6_PKS3_S8_S4_PS3_21rocsparse_index_base_b
		.amdhsa_group_segment_fixed_size 0
		.amdhsa_private_segment_fixed_size 0
		.amdhsa_kernarg_size 72
		.amdhsa_user_sgpr_count 6
		.amdhsa_user_sgpr_private_segment_buffer 1
		.amdhsa_user_sgpr_dispatch_ptr 0
		.amdhsa_user_sgpr_queue_ptr 0
		.amdhsa_user_sgpr_kernarg_segment_ptr 1
		.amdhsa_user_sgpr_dispatch_id 0
		.amdhsa_user_sgpr_flat_scratch_init 0
		.amdhsa_user_sgpr_private_segment_size 0
		.amdhsa_wavefront_size32 1
		.amdhsa_uses_dynamic_stack 0
		.amdhsa_system_sgpr_private_segment_wavefront_offset 0
		.amdhsa_system_sgpr_workgroup_id_x 1
		.amdhsa_system_sgpr_workgroup_id_y 0
		.amdhsa_system_sgpr_workgroup_id_z 0
		.amdhsa_system_sgpr_workgroup_info 0
		.amdhsa_system_vgpr_workitem_id 0
		.amdhsa_next_free_vgpr 48
		.amdhsa_next_free_sgpr 20
		.amdhsa_reserve_vcc 1
		.amdhsa_reserve_flat_scratch 0
		.amdhsa_float_round_mode_32 0
		.amdhsa_float_round_mode_16_64 0
		.amdhsa_float_denorm_mode_32 3
		.amdhsa_float_denorm_mode_16_64 3
		.amdhsa_dx10_clamp 1
		.amdhsa_ieee_mode 1
		.amdhsa_fp16_overflow 0
		.amdhsa_workgroup_processor_mode 1
		.amdhsa_memory_ordered 1
		.amdhsa_forward_progress 1
		.amdhsa_shared_vgpr_count 0
		.amdhsa_exception_fp_ieee_invalid_op 0
		.amdhsa_exception_fp_denorm_src 0
		.amdhsa_exception_fp_ieee_div_zero 0
		.amdhsa_exception_fp_ieee_overflow 0
		.amdhsa_exception_fp_ieee_underflow 0
		.amdhsa_exception_fp_ieee_inexact 0
		.amdhsa_exception_int_div_zero 0
	.end_amdhsa_kernel
	.section	.text._ZN9rocsparseL19gebsrmvn_3xn_kernelILj128ELj8ELj16EfEEvi20rocsparse_direction_NS_24const_host_device_scalarIT2_EEPKiS6_PKS3_S8_S4_PS3_21rocsparse_index_base_b,"axG",@progbits,_ZN9rocsparseL19gebsrmvn_3xn_kernelILj128ELj8ELj16EfEEvi20rocsparse_direction_NS_24const_host_device_scalarIT2_EEPKiS6_PKS3_S8_S4_PS3_21rocsparse_index_base_b,comdat
.Lfunc_end32:
	.size	_ZN9rocsparseL19gebsrmvn_3xn_kernelILj128ELj8ELj16EfEEvi20rocsparse_direction_NS_24const_host_device_scalarIT2_EEPKiS6_PKS3_S8_S4_PS3_21rocsparse_index_base_b, .Lfunc_end32-_ZN9rocsparseL19gebsrmvn_3xn_kernelILj128ELj8ELj16EfEEvi20rocsparse_direction_NS_24const_host_device_scalarIT2_EEPKiS6_PKS3_S8_S4_PS3_21rocsparse_index_base_b
                                        ; -- End function
	.set _ZN9rocsparseL19gebsrmvn_3xn_kernelILj128ELj8ELj16EfEEvi20rocsparse_direction_NS_24const_host_device_scalarIT2_EEPKiS6_PKS3_S8_S4_PS3_21rocsparse_index_base_b.num_vgpr, 48
	.set _ZN9rocsparseL19gebsrmvn_3xn_kernelILj128ELj8ELj16EfEEvi20rocsparse_direction_NS_24const_host_device_scalarIT2_EEPKiS6_PKS3_S8_S4_PS3_21rocsparse_index_base_b.num_agpr, 0
	.set _ZN9rocsparseL19gebsrmvn_3xn_kernelILj128ELj8ELj16EfEEvi20rocsparse_direction_NS_24const_host_device_scalarIT2_EEPKiS6_PKS3_S8_S4_PS3_21rocsparse_index_base_b.numbered_sgpr, 20
	.set _ZN9rocsparseL19gebsrmvn_3xn_kernelILj128ELj8ELj16EfEEvi20rocsparse_direction_NS_24const_host_device_scalarIT2_EEPKiS6_PKS3_S8_S4_PS3_21rocsparse_index_base_b.num_named_barrier, 0
	.set _ZN9rocsparseL19gebsrmvn_3xn_kernelILj128ELj8ELj16EfEEvi20rocsparse_direction_NS_24const_host_device_scalarIT2_EEPKiS6_PKS3_S8_S4_PS3_21rocsparse_index_base_b.private_seg_size, 0
	.set _ZN9rocsparseL19gebsrmvn_3xn_kernelILj128ELj8ELj16EfEEvi20rocsparse_direction_NS_24const_host_device_scalarIT2_EEPKiS6_PKS3_S8_S4_PS3_21rocsparse_index_base_b.uses_vcc, 1
	.set _ZN9rocsparseL19gebsrmvn_3xn_kernelILj128ELj8ELj16EfEEvi20rocsparse_direction_NS_24const_host_device_scalarIT2_EEPKiS6_PKS3_S8_S4_PS3_21rocsparse_index_base_b.uses_flat_scratch, 0
	.set _ZN9rocsparseL19gebsrmvn_3xn_kernelILj128ELj8ELj16EfEEvi20rocsparse_direction_NS_24const_host_device_scalarIT2_EEPKiS6_PKS3_S8_S4_PS3_21rocsparse_index_base_b.has_dyn_sized_stack, 0
	.set _ZN9rocsparseL19gebsrmvn_3xn_kernelILj128ELj8ELj16EfEEvi20rocsparse_direction_NS_24const_host_device_scalarIT2_EEPKiS6_PKS3_S8_S4_PS3_21rocsparse_index_base_b.has_recursion, 0
	.set _ZN9rocsparseL19gebsrmvn_3xn_kernelILj128ELj8ELj16EfEEvi20rocsparse_direction_NS_24const_host_device_scalarIT2_EEPKiS6_PKS3_S8_S4_PS3_21rocsparse_index_base_b.has_indirect_call, 0
	.section	.AMDGPU.csdata,"",@progbits
; Kernel info:
; codeLenInByte = 2580
; TotalNumSgprs: 22
; NumVgprs: 48
; ScratchSize: 0
; MemoryBound: 0
; FloatMode: 240
; IeeeMode: 1
; LDSByteSize: 0 bytes/workgroup (compile time only)
; SGPRBlocks: 0
; VGPRBlocks: 5
; NumSGPRsForWavesPerEU: 22
; NumVGPRsForWavesPerEU: 48
; Occupancy: 16
; WaveLimiterHint : 1
; COMPUTE_PGM_RSRC2:SCRATCH_EN: 0
; COMPUTE_PGM_RSRC2:USER_SGPR: 6
; COMPUTE_PGM_RSRC2:TRAP_HANDLER: 0
; COMPUTE_PGM_RSRC2:TGID_X_EN: 1
; COMPUTE_PGM_RSRC2:TGID_Y_EN: 0
; COMPUTE_PGM_RSRC2:TGID_Z_EN: 0
; COMPUTE_PGM_RSRC2:TIDIG_COMP_CNT: 0
	.section	.text._ZN9rocsparseL19gebsrmvn_3xn_kernelILj128ELj8ELj32EfEEvi20rocsparse_direction_NS_24const_host_device_scalarIT2_EEPKiS6_PKS3_S8_S4_PS3_21rocsparse_index_base_b,"axG",@progbits,_ZN9rocsparseL19gebsrmvn_3xn_kernelILj128ELj8ELj32EfEEvi20rocsparse_direction_NS_24const_host_device_scalarIT2_EEPKiS6_PKS3_S8_S4_PS3_21rocsparse_index_base_b,comdat
	.globl	_ZN9rocsparseL19gebsrmvn_3xn_kernelILj128ELj8ELj32EfEEvi20rocsparse_direction_NS_24const_host_device_scalarIT2_EEPKiS6_PKS3_S8_S4_PS3_21rocsparse_index_base_b ; -- Begin function _ZN9rocsparseL19gebsrmvn_3xn_kernelILj128ELj8ELj32EfEEvi20rocsparse_direction_NS_24const_host_device_scalarIT2_EEPKiS6_PKS3_S8_S4_PS3_21rocsparse_index_base_b
	.p2align	8
	.type	_ZN9rocsparseL19gebsrmvn_3xn_kernelILj128ELj8ELj32EfEEvi20rocsparse_direction_NS_24const_host_device_scalarIT2_EEPKiS6_PKS3_S8_S4_PS3_21rocsparse_index_base_b,@function
_ZN9rocsparseL19gebsrmvn_3xn_kernelILj128ELj8ELj32EfEEvi20rocsparse_direction_NS_24const_host_device_scalarIT2_EEPKiS6_PKS3_S8_S4_PS3_21rocsparse_index_base_b: ; @_ZN9rocsparseL19gebsrmvn_3xn_kernelILj128ELj8ELj32EfEEvi20rocsparse_direction_NS_24const_host_device_scalarIT2_EEPKiS6_PKS3_S8_S4_PS3_21rocsparse_index_base_b
; %bb.0:
	s_clause 0x2
	s_load_dwordx2 s[18:19], s[4:5], 0x40
	s_load_dwordx2 s[16:17], s[4:5], 0x8
	;; [unrolled: 1-line block ×3, first 2 shown]
	s_waitcnt lgkmcnt(0)
	s_bitcmp1_b32 s19, 0
	s_cselect_b32 s0, -1, 0
	s_and_b32 vcc_lo, exec_lo, s0
	s_xor_b32 s0, s0, -1
	s_cbranch_vccnz .LBB33_2
; %bb.1:
	s_load_dword s16, s[16:17], 0x0
.LBB33_2:
	s_andn2_b32 vcc_lo, exec_lo, s0
	s_cbranch_vccnz .LBB33_4
; %bb.3:
	s_load_dword s2, s[2:3], 0x0
.LBB33_4:
	s_waitcnt lgkmcnt(0)
	v_cmp_eq_f32_e64 s0, s16, 0
	v_cmp_eq_f32_e64 s1, s2, 1.0
	s_and_b32 s0, s0, s1
	s_and_b32 vcc_lo, exec_lo, s0
	s_cbranch_vccnz .LBB33_23
; %bb.5:
	s_load_dwordx2 s[0:1], s[4:5], 0x0
	v_lshrrev_b32_e32 v1, 5, v0
	v_lshl_or_b32 v1, s6, 2, v1
	s_waitcnt lgkmcnt(0)
	v_cmp_gt_i32_e32 vcc_lo, s0, v1
	s_and_saveexec_b32 s0, vcc_lo
	s_cbranch_execz .LBB33_23
; %bb.6:
	s_load_dwordx8 s[8:15], s[4:5], 0x10
	v_ashrrev_i32_e32 v2, 31, v1
	v_and_b32_e32 v0, 31, v0
	s_cmp_lg_u32 s1, 0
	v_lshlrev_b64 v[2:3], 2, v[1:2]
	s_waitcnt lgkmcnt(0)
	v_add_co_u32 v2, vcc_lo, s8, v2
	v_add_co_ci_u32_e64 v3, null, s9, v3, vcc_lo
	global_load_dwordx2 v[2:3], v[2:3], off
	s_waitcnt vmcnt(0)
	v_subrev_nc_u32_e32 v2, s18, v2
	v_subrev_nc_u32_e32 v12, s18, v3
	v_add_nc_u32_e32 v2, v2, v0
	v_cmp_lt_i32_e64 s0, v2, v12
	s_cbranch_scc0 .LBB33_12
; %bb.7:
	v_mov_b32_e32 v9, 0
	v_mov_b32_e32 v10, 0
	;; [unrolled: 1-line block ×3, first 2 shown]
	s_and_saveexec_b32 s1, s0
	s_cbranch_execz .LBB33_11
; %bb.8:
	v_mad_u64_u32 v[3:4], null, v2, 24, 23
	v_mov_b32_e32 v6, 0
	v_mov_b32_e32 v7, v2
	;; [unrolled: 1-line block ×5, first 2 shown]
	s_mov_b32 s3, 0
.LBB33_9:                               ; =>This Inner Loop Header: Depth=1
	v_ashrrev_i32_e32 v8, 31, v7
	v_mov_b32_e32 v22, v6
	v_lshlrev_b64 v[4:5], 2, v[7:8]
	v_add_nc_u32_e32 v7, 32, v7
	v_add_co_u32 v4, vcc_lo, s10, v4
	v_add_co_ci_u32_e64 v5, null, s11, v5, vcc_lo
	global_load_dword v8, v[4:5], off
	v_subrev_nc_u32_e32 v5, 23, v3
	v_mov_b32_e32 v4, v6
	v_lshlrev_b64 v[13:14], 2, v[5:6]
	v_add_nc_u32_e32 v5, -15, v3
	v_lshlrev_b64 v[15:16], 2, v[3:4]
	v_lshlrev_b64 v[17:18], 2, v[5:6]
	v_add_nc_u32_e32 v5, -14, v3
	v_add_co_u32 v19, vcc_lo, s12, v13
	v_add_co_ci_u32_e64 v20, null, s13, v14, vcc_lo
	v_lshlrev_b64 v[23:24], 2, v[5:6]
	v_add_nc_u32_e32 v5, -13, v3
	v_add_co_u32 v29, vcc_lo, s12, v15
	v_add_co_ci_u32_e64 v30, null, s13, v16, vcc_lo
	v_lshlrev_b64 v[27:28], 2, v[5:6]
	v_add_co_u32 v25, vcc_lo, s12, v17
	v_add_co_ci_u32_e64 v26, null, s13, v18, vcc_lo
	v_add_co_u32 v23, vcc_lo, s12, v23
	v_add_co_ci_u32_e64 v24, null, s13, v24, vcc_lo
	v_add_co_u32 v27, vcc_lo, s12, v27
	v_add_nc_u32_e32 v5, -12, v3
	v_add_co_ci_u32_e64 v28, null, s13, v28, vcc_lo
	s_clause 0x4
	global_load_dwordx4 v[13:16], v[19:20], off offset:16
	global_load_dwordx4 v[17:20], v[19:20], off
	global_load_dword v37, v[25:26], off
	global_load_dword v39, v[27:28], off
	;; [unrolled: 1-line block ×3, first 2 shown]
	v_lshlrev_b64 v[25:26], 2, v[5:6]
	v_add_nc_u32_e32 v5, -11, v3
	v_lshlrev_b64 v[23:24], 2, v[5:6]
	v_add_nc_u32_e32 v5, -10, v3
	v_add_co_u32 v25, vcc_lo, s12, v25
	v_add_co_ci_u32_e64 v26, null, s13, v26, vcc_lo
	v_add_co_u32 v23, vcc_lo, s12, v23
	v_lshlrev_b64 v[27:28], 2, v[5:6]
	v_add_nc_u32_e32 v5, -9, v3
	v_add_co_ci_u32_e64 v24, null, s13, v24, vcc_lo
	s_clause 0x1
	global_load_dword v40, v[25:26], off
	global_load_dword v41, v[23:24], off
	v_lshlrev_b64 v[25:26], 2, v[5:6]
	v_add_nc_u32_e32 v5, -8, v3
	v_add_co_u32 v23, vcc_lo, s12, v27
	v_add_co_ci_u32_e64 v24, null, s13, v28, vcc_lo
	v_add_co_u32 v25, vcc_lo, s12, v25
	v_lshlrev_b64 v[27:28], 2, v[5:6]
	v_add_nc_u32_e32 v5, -7, v3
	v_add_co_ci_u32_e64 v26, null, s13, v26, vcc_lo
	s_clause 0x1
	global_load_dword v42, v[23:24], off
	global_load_dword v43, v[25:26], off
	v_lshlrev_b64 v[23:24], 2, v[5:6]
	v_add_nc_u32_e32 v5, -6, v3
	v_add_co_u32 v25, vcc_lo, s12, v27
	v_add_co_ci_u32_e64 v26, null, s13, v28, vcc_lo
	v_lshlrev_b64 v[27:28], 2, v[5:6]
	v_add_co_u32 v23, vcc_lo, s12, v23
	v_add_co_ci_u32_e64 v24, null, s13, v24, vcc_lo
	global_load_dword v44, v[25:26], off
	v_add_co_u32 v33, vcc_lo, s12, v27
	global_load_dword v45, v[23:24], off
	v_add_co_ci_u32_e64 v34, null, s13, v28, vcc_lo
	v_add_nc_u32_e32 v5, -5, v3
	v_lshlrev_b64 v[31:32], 2, v[5:6]
	v_add_nc_u32_e32 v5, -4, v3
	v_lshlrev_b64 v[35:36], 2, v[5:6]
	v_add_nc_u32_e32 v5, -3, v3
	s_waitcnt vmcnt(11)
	v_subrev_nc_u32_e32 v4, s18, v8
	v_lshlrev_b32_e32 v21, 3, v4
	v_lshlrev_b64 v[21:22], 2, v[21:22]
	v_add_co_u32 v25, vcc_lo, s14, v21
	v_add_co_ci_u32_e64 v26, null, s15, v22, vcc_lo
	v_add_co_u32 v31, vcc_lo, s12, v31
	v_add_co_ci_u32_e64 v32, null, s13, v32, vcc_lo
	s_clause 0x1
	global_load_dwordx4 v[21:24], v[25:26], off
	global_load_dwordx4 v[25:28], v[25:26], off offset:16
	s_clause 0x1
	global_load_dword v8, v[33:34], off
	global_load_dword v46, v[31:32], off
	v_lshlrev_b64 v[33:34], 2, v[5:6]
	v_add_nc_u32_e32 v5, -2, v3
	v_add_co_u32 v31, vcc_lo, s12, v35
	v_add_co_ci_u32_e64 v32, null, s13, v36, vcc_lo
	v_lshlrev_b64 v[35:36], 2, v[5:6]
	v_add_nc_u32_e32 v5, -1, v3
	v_add_co_u32 v33, vcc_lo, s12, v33
	v_add_co_ci_u32_e64 v34, null, s13, v34, vcc_lo
	v_lshlrev_b64 v[4:5], 2, v[5:6]
	global_load_dword v47, v[31:32], off
	v_add_nc_u32_e32 v3, 0x300, v3
	global_load_dword v33, v[33:34], off
	v_add_co_u32 v31, vcc_lo, s12, v35
	v_add_co_ci_u32_e64 v32, null, s13, v36, vcc_lo
	v_add_co_u32 v4, vcc_lo, s12, v4
	v_add_co_ci_u32_e64 v5, null, s13, v5, vcc_lo
	s_clause 0x2
	global_load_dword v31, v[31:32], off
	global_load_dword v4, v[4:5], off
	;; [unrolled: 1-line block ×3, first 2 shown]
	v_cmp_ge_i32_e32 vcc_lo, v7, v12
	s_or_b32 s3, vcc_lo, s3
	s_waitcnt vmcnt(8)
	v_fmac_f32_e32 v9, v17, v21
	v_fmac_f32_e32 v11, v18, v21
	;; [unrolled: 1-line block ×12, first 2 shown]
	s_waitcnt vmcnt(7)
	v_fmac_f32_e32 v9, v41, v25
	v_fmac_f32_e32 v11, v42, v25
	;; [unrolled: 1-line block ×5, first 2 shown]
	s_waitcnt vmcnt(6)
	v_fmac_f32_e32 v10, v8, v26
	s_waitcnt vmcnt(5)
	v_fmac_f32_e32 v9, v46, v27
	;; [unrolled: 2-line block ×7, first 2 shown]
	s_andn2_b32 exec_lo, exec_lo, s3
	s_cbranch_execnz .LBB33_9
; %bb.10:
	s_or_b32 exec_lo, exec_lo, s3
.LBB33_11:
	s_or_b32 exec_lo, exec_lo, s1
	s_cbranch_execz .LBB33_13
	s_branch .LBB33_18
.LBB33_12:
                                        ; implicit-def: $vgpr9
                                        ; implicit-def: $vgpr10
                                        ; implicit-def: $vgpr11
.LBB33_13:
	v_mov_b32_e32 v9, 0
	v_mov_b32_e32 v10, 0
	;; [unrolled: 1-line block ×3, first 2 shown]
	s_and_saveexec_b32 s1, s0
	s_cbranch_execz .LBB33_17
; %bb.14:
	v_mad_u64_u32 v[4:5], null, v2, 24, 23
	v_mov_b32_e32 v7, 0
	v_mov_b32_e32 v9, 0
	;; [unrolled: 1-line block ×4, first 2 shown]
	s_mov_b32 s0, 0
.LBB33_15:                              ; =>This Inner Loop Header: Depth=1
	v_ashrrev_i32_e32 v3, 31, v2
	v_add_nc_u32_e32 v13, -15, v4
	v_mov_b32_e32 v14, v7
	v_add_nc_u32_e32 v15, -7, v4
	v_mov_b32_e32 v16, v7
	v_lshlrev_b64 v[5:6], 2, v[2:3]
	v_mov_b32_e32 v22, v7
	v_lshlrev_b64 v[13:14], 2, v[13:14]
	v_add_nc_u32_e32 v2, 32, v2
	v_lshlrev_b64 v[15:16], 2, v[15:16]
	v_add_co_u32 v5, vcc_lo, s10, v5
	v_add_co_ci_u32_e64 v6, null, s11, v6, vcc_lo
	global_load_dword v3, v[5:6], off
	v_subrev_nc_u32_e32 v6, 23, v4
	v_mov_b32_e32 v5, v7
	v_lshlrev_b64 v[17:18], 2, v[6:7]
	v_add_nc_u32_e32 v6, -14, v4
	v_lshlrev_b64 v[19:20], 2, v[4:5]
	v_lshlrev_b64 v[23:24], 2, v[6:7]
	v_add_co_u32 v17, vcc_lo, s12, v17
	v_add_nc_u32_e32 v6, -6, v4
	v_add_co_ci_u32_e64 v18, null, s13, v18, vcc_lo
	v_add_co_u32 v25, vcc_lo, s12, v13
	v_add_co_ci_u32_e64 v26, null, s13, v14, vcc_lo
	v_add_co_u32 v27, vcc_lo, s12, v15
	;; [unrolled: 2-line block ×3, first 2 shown]
	v_lshlrev_b64 v[31:32], 2, v[6:7]
	v_add_nc_u32_e32 v6, -13, v4
	v_add_co_ci_u32_e64 v30, null, s13, v20, vcc_lo
	v_add_co_u32 v23, vcc_lo, s12, v23
	v_add_co_ci_u32_e64 v24, null, s13, v24, vcc_lo
	s_clause 0x3
	global_load_dwordx4 v[13:16], v[17:18], off offset:16
	global_load_dwordx4 v[17:20], v[17:18], off
	global_load_dword v8, v[25:26], off
	global_load_dword v37, v[27:28], off
	v_lshlrev_b64 v[25:26], 2, v[6:7]
	v_add_nc_u32_e32 v6, -5, v4
	global_load_dword v38, v[23:24], off
	v_add_co_u32 v23, vcc_lo, s12, v31
	v_add_co_ci_u32_e64 v24, null, s13, v32, vcc_lo
	v_add_co_u32 v25, vcc_lo, s12, v25
	v_lshlrev_b64 v[27:28], 2, v[6:7]
	v_add_nc_u32_e32 v6, -12, v4
	v_add_co_ci_u32_e64 v26, null, s13, v26, vcc_lo
	s_clause 0x1
	global_load_dword v39, v[23:24], off
	global_load_dword v40, v[25:26], off
	v_lshlrev_b64 v[23:24], 2, v[6:7]
	v_add_nc_u32_e32 v6, -4, v4
	v_add_co_u32 v25, vcc_lo, s12, v27
	v_add_co_ci_u32_e64 v26, null, s13, v28, vcc_lo
	v_add_co_u32 v23, vcc_lo, s12, v23
	v_lshlrev_b64 v[27:28], 2, v[6:7]
	v_add_nc_u32_e32 v6, -11, v4
	v_add_co_ci_u32_e64 v24, null, s13, v24, vcc_lo
	s_clause 0x1
	global_load_dword v41, v[25:26], off
	global_load_dword v42, v[23:24], off
	v_lshlrev_b64 v[25:26], 2, v[6:7]
	v_add_nc_u32_e32 v6, -3, v4
	v_add_co_u32 v23, vcc_lo, s12, v27
	v_add_co_ci_u32_e64 v24, null, s13, v28, vcc_lo
	v_lshlrev_b64 v[27:28], 2, v[6:7]
	v_add_co_u32 v25, vcc_lo, s12, v25
	v_add_co_ci_u32_e64 v26, null, s13, v26, vcc_lo
	v_add_nc_u32_e32 v6, -10, v4
	v_add_co_u32 v33, vcc_lo, s12, v27
	s_clause 0x1
	global_load_dword v43, v[23:24], off
	global_load_dword v44, v[25:26], off
	v_add_co_ci_u32_e64 v34, null, s13, v28, vcc_lo
	v_lshlrev_b64 v[31:32], 2, v[6:7]
	v_add_nc_u32_e32 v6, -2, v4
	v_lshlrev_b64 v[35:36], 2, v[6:7]
	v_add_nc_u32_e32 v6, -9, v4
	s_waitcnt vmcnt(11)
	v_subrev_nc_u32_e32 v3, s18, v3
	v_lshlrev_b32_e32 v21, 3, v3
	v_lshlrev_b64 v[21:22], 2, v[21:22]
	v_add_co_u32 v25, vcc_lo, s14, v21
	v_add_co_ci_u32_e64 v26, null, s15, v22, vcc_lo
	v_add_co_u32 v31, vcc_lo, s12, v31
	v_add_co_ci_u32_e64 v32, null, s13, v32, vcc_lo
	s_clause 0x1
	global_load_dwordx4 v[21:24], v[25:26], off
	global_load_dwordx4 v[25:28], v[25:26], off offset:16
	s_clause 0x1
	global_load_dword v3, v[33:34], off
	global_load_dword v45, v[31:32], off
	v_lshlrev_b64 v[33:34], 2, v[6:7]
	v_add_nc_u32_e32 v6, -1, v4
	v_add_co_u32 v31, vcc_lo, s12, v35
	v_add_co_ci_u32_e64 v32, null, s13, v36, vcc_lo
	v_lshlrev_b64 v[35:36], 2, v[6:7]
	v_add_nc_u32_e32 v6, -8, v4
	v_add_co_u32 v33, vcc_lo, s12, v33
	v_add_co_ci_u32_e64 v34, null, s13, v34, vcc_lo
	v_lshlrev_b64 v[5:6], 2, v[6:7]
	global_load_dword v46, v[31:32], off
	v_add_nc_u32_e32 v4, 0x300, v4
	global_load_dword v33, v[33:34], off
	v_add_co_u32 v31, vcc_lo, s12, v35
	v_add_co_ci_u32_e64 v32, null, s13, v36, vcc_lo
	v_add_co_u32 v5, vcc_lo, s12, v5
	v_add_co_ci_u32_e64 v6, null, s13, v6, vcc_lo
	s_clause 0x2
	global_load_dword v31, v[31:32], off
	global_load_dword v5, v[5:6], off
	;; [unrolled: 1-line block ×3, first 2 shown]
	v_cmp_ge_i32_e32 vcc_lo, v2, v12
	s_or_b32 s0, vcc_lo, s0
	s_waitcnt vmcnt(8)
	v_fmac_f32_e32 v9, v17, v21
	v_fmac_f32_e32 v11, v8, v21
	;; [unrolled: 1-line block ×12, first 2 shown]
	s_waitcnt vmcnt(7)
	v_fmac_f32_e32 v9, v13, v25
	v_fmac_f32_e32 v11, v44, v25
	s_waitcnt vmcnt(6)
	v_fmac_f32_e32 v10, v3, v25
	v_fmac_f32_e32 v9, v14, v26
	s_waitcnt vmcnt(5)
	v_fmac_f32_e32 v11, v45, v26
	s_waitcnt vmcnt(4)
	v_fmac_f32_e32 v10, v46, v26
	v_fmac_f32_e32 v9, v15, v27
	s_waitcnt vmcnt(3)
	;; [unrolled: 5-line block ×3, first 2 shown]
	v_fmac_f32_e32 v11, v5, v28
	s_waitcnt vmcnt(0)
	v_fmac_f32_e32 v10, v6, v28
	s_andn2_b32 exec_lo, exec_lo, s0
	s_cbranch_execnz .LBB33_15
; %bb.16:
	s_or_b32 exec_lo, exec_lo, s0
.LBB33_17:
	s_or_b32 exec_lo, exec_lo, s1
.LBB33_18:
	v_mbcnt_lo_u32_b32 v2, -1, 0
	s_mov_b32 s3, -1
	v_xor_b32_e32 v3, 16, v2
	v_xor_b32_e32 v6, 8, v2
	v_cmp_gt_i32_e32 vcc_lo, 32, v3
	v_cndmask_b32_e32 v3, v2, v3, vcc_lo
	v_cmp_gt_i32_e32 vcc_lo, 32, v6
	v_lshlrev_b32_e32 v3, 2, v3
	v_cndmask_b32_e32 v6, v2, v6, vcc_lo
	ds_bpermute_b32 v4, v3, v9
	ds_bpermute_b32 v5, v3, v11
	;; [unrolled: 1-line block ×3, first 2 shown]
	v_lshlrev_b32_e32 v6, 2, v6
	s_waitcnt lgkmcnt(2)
	v_add_f32_e32 v4, v9, v4
	s_waitcnt lgkmcnt(1)
	v_add_f32_e32 v5, v11, v5
	;; [unrolled: 2-line block ×3, first 2 shown]
	v_xor_b32_e32 v9, 4, v2
	ds_bpermute_b32 v7, v6, v4
	ds_bpermute_b32 v8, v6, v5
	;; [unrolled: 1-line block ×3, first 2 shown]
	v_cmp_gt_i32_e32 vcc_lo, 32, v9
	v_cndmask_b32_e32 v9, v2, v9, vcc_lo
	v_lshlrev_b32_e32 v9, 2, v9
	s_waitcnt lgkmcnt(2)
	v_add_f32_e32 v4, v4, v7
	s_waitcnt lgkmcnt(1)
	v_add_f32_e32 v5, v5, v8
	;; [unrolled: 2-line block ×3, first 2 shown]
	ds_bpermute_b32 v6, v9, v4
	ds_bpermute_b32 v7, v9, v5
	;; [unrolled: 1-line block ×3, first 2 shown]
	v_xor_b32_e32 v9, 2, v2
	v_cmp_gt_i32_e32 vcc_lo, 32, v9
	v_cndmask_b32_e32 v9, v2, v9, vcc_lo
	v_lshlrev_b32_e32 v9, 2, v9
	s_waitcnt lgkmcnt(2)
	v_add_f32_e32 v4, v4, v6
	s_waitcnt lgkmcnt(1)
	v_add_f32_e32 v5, v5, v7
	;; [unrolled: 2-line block ×3, first 2 shown]
	ds_bpermute_b32 v3, v9, v4
	ds_bpermute_b32 v7, v9, v5
	;; [unrolled: 1-line block ×3, first 2 shown]
	v_xor_b32_e32 v9, 1, v2
	v_cmp_gt_i32_e32 vcc_lo, 32, v9
	v_cndmask_b32_e32 v2, v2, v9, vcc_lo
	v_cmp_eq_u32_e32 vcc_lo, 31, v0
	v_lshlrev_b32_e32 v9, 2, v2
	s_waitcnt lgkmcnt(2)
	v_add_f32_e32 v2, v4, v3
	s_waitcnt lgkmcnt(1)
	v_add_f32_e32 v3, v5, v7
	;; [unrolled: 2-line block ×3, first 2 shown]
	ds_bpermute_b32 v5, v9, v2
	ds_bpermute_b32 v6, v9, v3
	;; [unrolled: 1-line block ×3, first 2 shown]
	s_and_b32 exec_lo, exec_lo, vcc_lo
	s_cbranch_execz .LBB33_23
; %bb.19:
	s_load_dwordx2 s[0:1], s[4:5], 0x38
	s_waitcnt lgkmcnt(0)
	v_add_f32_e32 v0, v2, v5
	v_add_f32_e32 v2, v3, v6
	;; [unrolled: 1-line block ×3, first 2 shown]
	v_lshl_add_u32 v3, v1, 1, v1
	v_cmp_eq_f32_e64 s4, s2, 0
	v_mul_f32_e32 v0, s16, v0
	v_mul_f32_e32 v1, s16, v2
	;; [unrolled: 1-line block ×3, first 2 shown]
	v_ashrrev_i32_e32 v4, 31, v3
	s_and_b32 vcc_lo, exec_lo, s4
	s_cbranch_vccz .LBB33_21
; %bb.20:
	v_lshlrev_b64 v[5:6], 2, v[3:4]
	s_mov_b32 s3, 0
	v_add_co_u32 v5, vcc_lo, s0, v5
	v_add_co_ci_u32_e64 v6, null, s1, v6, vcc_lo
	global_store_dwordx3 v[5:6], v[0:2], off
.LBB33_21:
	s_andn2_b32 vcc_lo, exec_lo, s3
	s_cbranch_vccnz .LBB33_23
; %bb.22:
	v_lshlrev_b64 v[3:4], 2, v[3:4]
	v_add_co_u32 v6, vcc_lo, s0, v3
	v_add_co_ci_u32_e64 v7, null, s1, v4, vcc_lo
	global_load_dwordx3 v[3:5], v[6:7], off
	s_waitcnt vmcnt(0)
	v_fmac_f32_e32 v0, s2, v3
	v_fmac_f32_e32 v1, s2, v4
	v_fmac_f32_e32 v2, s2, v5
	global_store_dwordx3 v[6:7], v[0:2], off
.LBB33_23:
	s_endpgm
	.section	.rodata,"a",@progbits
	.p2align	6, 0x0
	.amdhsa_kernel _ZN9rocsparseL19gebsrmvn_3xn_kernelILj128ELj8ELj32EfEEvi20rocsparse_direction_NS_24const_host_device_scalarIT2_EEPKiS6_PKS3_S8_S4_PS3_21rocsparse_index_base_b
		.amdhsa_group_segment_fixed_size 0
		.amdhsa_private_segment_fixed_size 0
		.amdhsa_kernarg_size 72
		.amdhsa_user_sgpr_count 6
		.amdhsa_user_sgpr_private_segment_buffer 1
		.amdhsa_user_sgpr_dispatch_ptr 0
		.amdhsa_user_sgpr_queue_ptr 0
		.amdhsa_user_sgpr_kernarg_segment_ptr 1
		.amdhsa_user_sgpr_dispatch_id 0
		.amdhsa_user_sgpr_flat_scratch_init 0
		.amdhsa_user_sgpr_private_segment_size 0
		.amdhsa_wavefront_size32 1
		.amdhsa_uses_dynamic_stack 0
		.amdhsa_system_sgpr_private_segment_wavefront_offset 0
		.amdhsa_system_sgpr_workgroup_id_x 1
		.amdhsa_system_sgpr_workgroup_id_y 0
		.amdhsa_system_sgpr_workgroup_id_z 0
		.amdhsa_system_sgpr_workgroup_info 0
		.amdhsa_system_vgpr_workitem_id 0
		.amdhsa_next_free_vgpr 48
		.amdhsa_next_free_sgpr 20
		.amdhsa_reserve_vcc 1
		.amdhsa_reserve_flat_scratch 0
		.amdhsa_float_round_mode_32 0
		.amdhsa_float_round_mode_16_64 0
		.amdhsa_float_denorm_mode_32 3
		.amdhsa_float_denorm_mode_16_64 3
		.amdhsa_dx10_clamp 1
		.amdhsa_ieee_mode 1
		.amdhsa_fp16_overflow 0
		.amdhsa_workgroup_processor_mode 1
		.amdhsa_memory_ordered 1
		.amdhsa_forward_progress 1
		.amdhsa_shared_vgpr_count 0
		.amdhsa_exception_fp_ieee_invalid_op 0
		.amdhsa_exception_fp_denorm_src 0
		.amdhsa_exception_fp_ieee_div_zero 0
		.amdhsa_exception_fp_ieee_overflow 0
		.amdhsa_exception_fp_ieee_underflow 0
		.amdhsa_exception_fp_ieee_inexact 0
		.amdhsa_exception_int_div_zero 0
	.end_amdhsa_kernel
	.section	.text._ZN9rocsparseL19gebsrmvn_3xn_kernelILj128ELj8ELj32EfEEvi20rocsparse_direction_NS_24const_host_device_scalarIT2_EEPKiS6_PKS3_S8_S4_PS3_21rocsparse_index_base_b,"axG",@progbits,_ZN9rocsparseL19gebsrmvn_3xn_kernelILj128ELj8ELj32EfEEvi20rocsparse_direction_NS_24const_host_device_scalarIT2_EEPKiS6_PKS3_S8_S4_PS3_21rocsparse_index_base_b,comdat
.Lfunc_end33:
	.size	_ZN9rocsparseL19gebsrmvn_3xn_kernelILj128ELj8ELj32EfEEvi20rocsparse_direction_NS_24const_host_device_scalarIT2_EEPKiS6_PKS3_S8_S4_PS3_21rocsparse_index_base_b, .Lfunc_end33-_ZN9rocsparseL19gebsrmvn_3xn_kernelILj128ELj8ELj32EfEEvi20rocsparse_direction_NS_24const_host_device_scalarIT2_EEPKiS6_PKS3_S8_S4_PS3_21rocsparse_index_base_b
                                        ; -- End function
	.set _ZN9rocsparseL19gebsrmvn_3xn_kernelILj128ELj8ELj32EfEEvi20rocsparse_direction_NS_24const_host_device_scalarIT2_EEPKiS6_PKS3_S8_S4_PS3_21rocsparse_index_base_b.num_vgpr, 48
	.set _ZN9rocsparseL19gebsrmvn_3xn_kernelILj128ELj8ELj32EfEEvi20rocsparse_direction_NS_24const_host_device_scalarIT2_EEPKiS6_PKS3_S8_S4_PS3_21rocsparse_index_base_b.num_agpr, 0
	.set _ZN9rocsparseL19gebsrmvn_3xn_kernelILj128ELj8ELj32EfEEvi20rocsparse_direction_NS_24const_host_device_scalarIT2_EEPKiS6_PKS3_S8_S4_PS3_21rocsparse_index_base_b.numbered_sgpr, 20
	.set _ZN9rocsparseL19gebsrmvn_3xn_kernelILj128ELj8ELj32EfEEvi20rocsparse_direction_NS_24const_host_device_scalarIT2_EEPKiS6_PKS3_S8_S4_PS3_21rocsparse_index_base_b.num_named_barrier, 0
	.set _ZN9rocsparseL19gebsrmvn_3xn_kernelILj128ELj8ELj32EfEEvi20rocsparse_direction_NS_24const_host_device_scalarIT2_EEPKiS6_PKS3_S8_S4_PS3_21rocsparse_index_base_b.private_seg_size, 0
	.set _ZN9rocsparseL19gebsrmvn_3xn_kernelILj128ELj8ELj32EfEEvi20rocsparse_direction_NS_24const_host_device_scalarIT2_EEPKiS6_PKS3_S8_S4_PS3_21rocsparse_index_base_b.uses_vcc, 1
	.set _ZN9rocsparseL19gebsrmvn_3xn_kernelILj128ELj8ELj32EfEEvi20rocsparse_direction_NS_24const_host_device_scalarIT2_EEPKiS6_PKS3_S8_S4_PS3_21rocsparse_index_base_b.uses_flat_scratch, 0
	.set _ZN9rocsparseL19gebsrmvn_3xn_kernelILj128ELj8ELj32EfEEvi20rocsparse_direction_NS_24const_host_device_scalarIT2_EEPKiS6_PKS3_S8_S4_PS3_21rocsparse_index_base_b.has_dyn_sized_stack, 0
	.set _ZN9rocsparseL19gebsrmvn_3xn_kernelILj128ELj8ELj32EfEEvi20rocsparse_direction_NS_24const_host_device_scalarIT2_EEPKiS6_PKS3_S8_S4_PS3_21rocsparse_index_base_b.has_recursion, 0
	.set _ZN9rocsparseL19gebsrmvn_3xn_kernelILj128ELj8ELj32EfEEvi20rocsparse_direction_NS_24const_host_device_scalarIT2_EEPKiS6_PKS3_S8_S4_PS3_21rocsparse_index_base_b.has_indirect_call, 0
	.section	.AMDGPU.csdata,"",@progbits
; Kernel info:
; codeLenInByte = 2644
; TotalNumSgprs: 22
; NumVgprs: 48
; ScratchSize: 0
; MemoryBound: 0
; FloatMode: 240
; IeeeMode: 1
; LDSByteSize: 0 bytes/workgroup (compile time only)
; SGPRBlocks: 0
; VGPRBlocks: 5
; NumSGPRsForWavesPerEU: 22
; NumVGPRsForWavesPerEU: 48
; Occupancy: 16
; WaveLimiterHint : 1
; COMPUTE_PGM_RSRC2:SCRATCH_EN: 0
; COMPUTE_PGM_RSRC2:USER_SGPR: 6
; COMPUTE_PGM_RSRC2:TRAP_HANDLER: 0
; COMPUTE_PGM_RSRC2:TGID_X_EN: 1
; COMPUTE_PGM_RSRC2:TGID_Y_EN: 0
; COMPUTE_PGM_RSRC2:TGID_Z_EN: 0
; COMPUTE_PGM_RSRC2:TIDIG_COMP_CNT: 0
	.section	.text._ZN9rocsparseL19gebsrmvn_3xn_kernelILj128ELj8ELj64EfEEvi20rocsparse_direction_NS_24const_host_device_scalarIT2_EEPKiS6_PKS3_S8_S4_PS3_21rocsparse_index_base_b,"axG",@progbits,_ZN9rocsparseL19gebsrmvn_3xn_kernelILj128ELj8ELj64EfEEvi20rocsparse_direction_NS_24const_host_device_scalarIT2_EEPKiS6_PKS3_S8_S4_PS3_21rocsparse_index_base_b,comdat
	.globl	_ZN9rocsparseL19gebsrmvn_3xn_kernelILj128ELj8ELj64EfEEvi20rocsparse_direction_NS_24const_host_device_scalarIT2_EEPKiS6_PKS3_S8_S4_PS3_21rocsparse_index_base_b ; -- Begin function _ZN9rocsparseL19gebsrmvn_3xn_kernelILj128ELj8ELj64EfEEvi20rocsparse_direction_NS_24const_host_device_scalarIT2_EEPKiS6_PKS3_S8_S4_PS3_21rocsparse_index_base_b
	.p2align	8
	.type	_ZN9rocsparseL19gebsrmvn_3xn_kernelILj128ELj8ELj64EfEEvi20rocsparse_direction_NS_24const_host_device_scalarIT2_EEPKiS6_PKS3_S8_S4_PS3_21rocsparse_index_base_b,@function
_ZN9rocsparseL19gebsrmvn_3xn_kernelILj128ELj8ELj64EfEEvi20rocsparse_direction_NS_24const_host_device_scalarIT2_EEPKiS6_PKS3_S8_S4_PS3_21rocsparse_index_base_b: ; @_ZN9rocsparseL19gebsrmvn_3xn_kernelILj128ELj8ELj64EfEEvi20rocsparse_direction_NS_24const_host_device_scalarIT2_EEPKiS6_PKS3_S8_S4_PS3_21rocsparse_index_base_b
; %bb.0:
	s_clause 0x2
	s_load_dwordx2 s[18:19], s[4:5], 0x40
	s_load_dwordx2 s[16:17], s[4:5], 0x8
	;; [unrolled: 1-line block ×3, first 2 shown]
	s_waitcnt lgkmcnt(0)
	s_bitcmp1_b32 s19, 0
	s_cselect_b32 s0, -1, 0
	s_and_b32 vcc_lo, exec_lo, s0
	s_xor_b32 s0, s0, -1
	s_cbranch_vccnz .LBB34_2
; %bb.1:
	s_load_dword s16, s[16:17], 0x0
.LBB34_2:
	s_andn2_b32 vcc_lo, exec_lo, s0
	s_cbranch_vccnz .LBB34_4
; %bb.3:
	s_load_dword s2, s[2:3], 0x0
.LBB34_4:
	s_waitcnt lgkmcnt(0)
	v_cmp_eq_f32_e64 s0, s16, 0
	v_cmp_eq_f32_e64 s1, s2, 1.0
	s_and_b32 s0, s0, s1
	s_and_b32 vcc_lo, exec_lo, s0
	s_cbranch_vccnz .LBB34_23
; %bb.5:
	s_load_dwordx2 s[0:1], s[4:5], 0x0
	v_lshrrev_b32_e32 v1, 6, v0
	v_lshl_or_b32 v1, s6, 1, v1
	s_waitcnt lgkmcnt(0)
	v_cmp_gt_i32_e32 vcc_lo, s0, v1
	s_and_saveexec_b32 s0, vcc_lo
	s_cbranch_execz .LBB34_23
; %bb.6:
	s_load_dwordx8 s[8:15], s[4:5], 0x10
	v_ashrrev_i32_e32 v2, 31, v1
	v_and_b32_e32 v0, 63, v0
	s_cmp_lg_u32 s1, 0
	v_lshlrev_b64 v[2:3], 2, v[1:2]
	s_waitcnt lgkmcnt(0)
	v_add_co_u32 v2, vcc_lo, s8, v2
	v_add_co_ci_u32_e64 v3, null, s9, v3, vcc_lo
	global_load_dwordx2 v[2:3], v[2:3], off
	s_waitcnt vmcnt(0)
	v_subrev_nc_u32_e32 v2, s18, v2
	v_subrev_nc_u32_e32 v12, s18, v3
	v_add_nc_u32_e32 v2, v2, v0
	v_cmp_lt_i32_e64 s0, v2, v12
	s_cbranch_scc0 .LBB34_12
; %bb.7:
	v_mov_b32_e32 v9, 0
	v_mov_b32_e32 v10, 0
	;; [unrolled: 1-line block ×3, first 2 shown]
	s_and_saveexec_b32 s1, s0
	s_cbranch_execz .LBB34_11
; %bb.8:
	v_mad_u64_u32 v[3:4], null, v2, 24, 23
	v_mov_b32_e32 v6, 0
	v_mov_b32_e32 v7, v2
	;; [unrolled: 1-line block ×5, first 2 shown]
	s_mov_b32 s3, 0
.LBB34_9:                               ; =>This Inner Loop Header: Depth=1
	v_ashrrev_i32_e32 v8, 31, v7
	v_mov_b32_e32 v22, v6
	v_lshlrev_b64 v[4:5], 2, v[7:8]
	v_add_nc_u32_e32 v7, 64, v7
	v_add_co_u32 v4, vcc_lo, s10, v4
	v_add_co_ci_u32_e64 v5, null, s11, v5, vcc_lo
	global_load_dword v8, v[4:5], off
	v_subrev_nc_u32_e32 v5, 23, v3
	v_mov_b32_e32 v4, v6
	v_lshlrev_b64 v[13:14], 2, v[5:6]
	v_add_nc_u32_e32 v5, -15, v3
	v_lshlrev_b64 v[15:16], 2, v[3:4]
	v_lshlrev_b64 v[17:18], 2, v[5:6]
	v_add_nc_u32_e32 v5, -14, v3
	v_add_co_u32 v19, vcc_lo, s12, v13
	v_add_co_ci_u32_e64 v20, null, s13, v14, vcc_lo
	v_lshlrev_b64 v[23:24], 2, v[5:6]
	v_add_nc_u32_e32 v5, -13, v3
	v_add_co_u32 v29, vcc_lo, s12, v15
	v_add_co_ci_u32_e64 v30, null, s13, v16, vcc_lo
	v_lshlrev_b64 v[27:28], 2, v[5:6]
	v_add_co_u32 v25, vcc_lo, s12, v17
	v_add_co_ci_u32_e64 v26, null, s13, v18, vcc_lo
	v_add_co_u32 v23, vcc_lo, s12, v23
	v_add_co_ci_u32_e64 v24, null, s13, v24, vcc_lo
	v_add_co_u32 v27, vcc_lo, s12, v27
	v_add_nc_u32_e32 v5, -12, v3
	v_add_co_ci_u32_e64 v28, null, s13, v28, vcc_lo
	s_clause 0x4
	global_load_dwordx4 v[13:16], v[19:20], off offset:16
	global_load_dwordx4 v[17:20], v[19:20], off
	global_load_dword v37, v[25:26], off
	global_load_dword v39, v[27:28], off
	;; [unrolled: 1-line block ×3, first 2 shown]
	v_lshlrev_b64 v[25:26], 2, v[5:6]
	v_add_nc_u32_e32 v5, -11, v3
	v_lshlrev_b64 v[23:24], 2, v[5:6]
	v_add_nc_u32_e32 v5, -10, v3
	v_add_co_u32 v25, vcc_lo, s12, v25
	v_add_co_ci_u32_e64 v26, null, s13, v26, vcc_lo
	v_add_co_u32 v23, vcc_lo, s12, v23
	v_lshlrev_b64 v[27:28], 2, v[5:6]
	v_add_nc_u32_e32 v5, -9, v3
	v_add_co_ci_u32_e64 v24, null, s13, v24, vcc_lo
	s_clause 0x1
	global_load_dword v40, v[25:26], off
	global_load_dword v41, v[23:24], off
	v_lshlrev_b64 v[25:26], 2, v[5:6]
	v_add_nc_u32_e32 v5, -8, v3
	v_add_co_u32 v23, vcc_lo, s12, v27
	v_add_co_ci_u32_e64 v24, null, s13, v28, vcc_lo
	v_add_co_u32 v25, vcc_lo, s12, v25
	v_lshlrev_b64 v[27:28], 2, v[5:6]
	v_add_nc_u32_e32 v5, -7, v3
	v_add_co_ci_u32_e64 v26, null, s13, v26, vcc_lo
	s_clause 0x1
	global_load_dword v42, v[23:24], off
	global_load_dword v43, v[25:26], off
	v_lshlrev_b64 v[23:24], 2, v[5:6]
	v_add_nc_u32_e32 v5, -6, v3
	v_add_co_u32 v25, vcc_lo, s12, v27
	v_add_co_ci_u32_e64 v26, null, s13, v28, vcc_lo
	v_lshlrev_b64 v[27:28], 2, v[5:6]
	v_add_co_u32 v23, vcc_lo, s12, v23
	v_add_co_ci_u32_e64 v24, null, s13, v24, vcc_lo
	global_load_dword v44, v[25:26], off
	v_add_co_u32 v33, vcc_lo, s12, v27
	global_load_dword v45, v[23:24], off
	v_add_co_ci_u32_e64 v34, null, s13, v28, vcc_lo
	v_add_nc_u32_e32 v5, -5, v3
	v_lshlrev_b64 v[31:32], 2, v[5:6]
	v_add_nc_u32_e32 v5, -4, v3
	v_lshlrev_b64 v[35:36], 2, v[5:6]
	v_add_nc_u32_e32 v5, -3, v3
	s_waitcnt vmcnt(11)
	v_subrev_nc_u32_e32 v4, s18, v8
	v_lshlrev_b32_e32 v21, 3, v4
	v_lshlrev_b64 v[21:22], 2, v[21:22]
	v_add_co_u32 v25, vcc_lo, s14, v21
	v_add_co_ci_u32_e64 v26, null, s15, v22, vcc_lo
	v_add_co_u32 v31, vcc_lo, s12, v31
	v_add_co_ci_u32_e64 v32, null, s13, v32, vcc_lo
	s_clause 0x1
	global_load_dwordx4 v[21:24], v[25:26], off
	global_load_dwordx4 v[25:28], v[25:26], off offset:16
	s_clause 0x1
	global_load_dword v8, v[33:34], off
	global_load_dword v46, v[31:32], off
	v_lshlrev_b64 v[33:34], 2, v[5:6]
	v_add_nc_u32_e32 v5, -2, v3
	v_add_co_u32 v31, vcc_lo, s12, v35
	v_add_co_ci_u32_e64 v32, null, s13, v36, vcc_lo
	v_lshlrev_b64 v[35:36], 2, v[5:6]
	v_add_nc_u32_e32 v5, -1, v3
	v_add_co_u32 v33, vcc_lo, s12, v33
	v_add_co_ci_u32_e64 v34, null, s13, v34, vcc_lo
	v_lshlrev_b64 v[4:5], 2, v[5:6]
	global_load_dword v47, v[31:32], off
	v_add_nc_u32_e32 v3, 0x600, v3
	global_load_dword v33, v[33:34], off
	v_add_co_u32 v31, vcc_lo, s12, v35
	v_add_co_ci_u32_e64 v32, null, s13, v36, vcc_lo
	v_add_co_u32 v4, vcc_lo, s12, v4
	v_add_co_ci_u32_e64 v5, null, s13, v5, vcc_lo
	s_clause 0x2
	global_load_dword v31, v[31:32], off
	global_load_dword v4, v[4:5], off
	;; [unrolled: 1-line block ×3, first 2 shown]
	v_cmp_ge_i32_e32 vcc_lo, v7, v12
	s_or_b32 s3, vcc_lo, s3
	s_waitcnt vmcnt(8)
	v_fmac_f32_e32 v9, v17, v21
	v_fmac_f32_e32 v11, v18, v21
	;; [unrolled: 1-line block ×12, first 2 shown]
	s_waitcnt vmcnt(7)
	v_fmac_f32_e32 v9, v41, v25
	v_fmac_f32_e32 v11, v42, v25
	;; [unrolled: 1-line block ×5, first 2 shown]
	s_waitcnt vmcnt(6)
	v_fmac_f32_e32 v10, v8, v26
	s_waitcnt vmcnt(5)
	v_fmac_f32_e32 v9, v46, v27
	;; [unrolled: 2-line block ×7, first 2 shown]
	s_andn2_b32 exec_lo, exec_lo, s3
	s_cbranch_execnz .LBB34_9
; %bb.10:
	s_or_b32 exec_lo, exec_lo, s3
.LBB34_11:
	s_or_b32 exec_lo, exec_lo, s1
	s_cbranch_execz .LBB34_13
	s_branch .LBB34_18
.LBB34_12:
                                        ; implicit-def: $vgpr9
                                        ; implicit-def: $vgpr10
                                        ; implicit-def: $vgpr11
.LBB34_13:
	v_mov_b32_e32 v9, 0
	v_mov_b32_e32 v10, 0
	;; [unrolled: 1-line block ×3, first 2 shown]
	s_and_saveexec_b32 s1, s0
	s_cbranch_execz .LBB34_17
; %bb.14:
	v_mad_u64_u32 v[4:5], null, v2, 24, 23
	v_mov_b32_e32 v7, 0
	v_mov_b32_e32 v9, 0
	;; [unrolled: 1-line block ×4, first 2 shown]
	s_mov_b32 s0, 0
.LBB34_15:                              ; =>This Inner Loop Header: Depth=1
	v_ashrrev_i32_e32 v3, 31, v2
	v_add_nc_u32_e32 v13, -15, v4
	v_mov_b32_e32 v14, v7
	v_add_nc_u32_e32 v15, -7, v4
	v_mov_b32_e32 v16, v7
	v_lshlrev_b64 v[5:6], 2, v[2:3]
	v_mov_b32_e32 v22, v7
	v_lshlrev_b64 v[13:14], 2, v[13:14]
	v_add_nc_u32_e32 v2, 64, v2
	v_lshlrev_b64 v[15:16], 2, v[15:16]
	v_add_co_u32 v5, vcc_lo, s10, v5
	v_add_co_ci_u32_e64 v6, null, s11, v6, vcc_lo
	global_load_dword v3, v[5:6], off
	v_subrev_nc_u32_e32 v6, 23, v4
	v_mov_b32_e32 v5, v7
	v_lshlrev_b64 v[17:18], 2, v[6:7]
	v_add_nc_u32_e32 v6, -14, v4
	v_lshlrev_b64 v[19:20], 2, v[4:5]
	v_lshlrev_b64 v[23:24], 2, v[6:7]
	v_add_co_u32 v17, vcc_lo, s12, v17
	v_add_nc_u32_e32 v6, -6, v4
	v_add_co_ci_u32_e64 v18, null, s13, v18, vcc_lo
	v_add_co_u32 v25, vcc_lo, s12, v13
	v_add_co_ci_u32_e64 v26, null, s13, v14, vcc_lo
	v_add_co_u32 v27, vcc_lo, s12, v15
	;; [unrolled: 2-line block ×3, first 2 shown]
	v_lshlrev_b64 v[31:32], 2, v[6:7]
	v_add_nc_u32_e32 v6, -13, v4
	v_add_co_ci_u32_e64 v30, null, s13, v20, vcc_lo
	v_add_co_u32 v23, vcc_lo, s12, v23
	v_add_co_ci_u32_e64 v24, null, s13, v24, vcc_lo
	s_clause 0x3
	global_load_dwordx4 v[13:16], v[17:18], off offset:16
	global_load_dwordx4 v[17:20], v[17:18], off
	global_load_dword v8, v[25:26], off
	global_load_dword v37, v[27:28], off
	v_lshlrev_b64 v[25:26], 2, v[6:7]
	v_add_nc_u32_e32 v6, -5, v4
	global_load_dword v38, v[23:24], off
	v_add_co_u32 v23, vcc_lo, s12, v31
	v_add_co_ci_u32_e64 v24, null, s13, v32, vcc_lo
	v_add_co_u32 v25, vcc_lo, s12, v25
	v_lshlrev_b64 v[27:28], 2, v[6:7]
	v_add_nc_u32_e32 v6, -12, v4
	v_add_co_ci_u32_e64 v26, null, s13, v26, vcc_lo
	s_clause 0x1
	global_load_dword v39, v[23:24], off
	global_load_dword v40, v[25:26], off
	v_lshlrev_b64 v[23:24], 2, v[6:7]
	v_add_nc_u32_e32 v6, -4, v4
	v_add_co_u32 v25, vcc_lo, s12, v27
	v_add_co_ci_u32_e64 v26, null, s13, v28, vcc_lo
	v_add_co_u32 v23, vcc_lo, s12, v23
	v_lshlrev_b64 v[27:28], 2, v[6:7]
	v_add_nc_u32_e32 v6, -11, v4
	v_add_co_ci_u32_e64 v24, null, s13, v24, vcc_lo
	s_clause 0x1
	global_load_dword v41, v[25:26], off
	global_load_dword v42, v[23:24], off
	v_lshlrev_b64 v[25:26], 2, v[6:7]
	v_add_nc_u32_e32 v6, -3, v4
	v_add_co_u32 v23, vcc_lo, s12, v27
	v_add_co_ci_u32_e64 v24, null, s13, v28, vcc_lo
	v_lshlrev_b64 v[27:28], 2, v[6:7]
	v_add_co_u32 v25, vcc_lo, s12, v25
	v_add_co_ci_u32_e64 v26, null, s13, v26, vcc_lo
	v_add_nc_u32_e32 v6, -10, v4
	v_add_co_u32 v33, vcc_lo, s12, v27
	s_clause 0x1
	global_load_dword v43, v[23:24], off
	global_load_dword v44, v[25:26], off
	v_add_co_ci_u32_e64 v34, null, s13, v28, vcc_lo
	v_lshlrev_b64 v[31:32], 2, v[6:7]
	v_add_nc_u32_e32 v6, -2, v4
	v_lshlrev_b64 v[35:36], 2, v[6:7]
	v_add_nc_u32_e32 v6, -9, v4
	s_waitcnt vmcnt(11)
	v_subrev_nc_u32_e32 v3, s18, v3
	v_lshlrev_b32_e32 v21, 3, v3
	v_lshlrev_b64 v[21:22], 2, v[21:22]
	v_add_co_u32 v25, vcc_lo, s14, v21
	v_add_co_ci_u32_e64 v26, null, s15, v22, vcc_lo
	v_add_co_u32 v31, vcc_lo, s12, v31
	v_add_co_ci_u32_e64 v32, null, s13, v32, vcc_lo
	s_clause 0x1
	global_load_dwordx4 v[21:24], v[25:26], off
	global_load_dwordx4 v[25:28], v[25:26], off offset:16
	s_clause 0x1
	global_load_dword v3, v[33:34], off
	global_load_dword v45, v[31:32], off
	v_lshlrev_b64 v[33:34], 2, v[6:7]
	v_add_nc_u32_e32 v6, -1, v4
	v_add_co_u32 v31, vcc_lo, s12, v35
	v_add_co_ci_u32_e64 v32, null, s13, v36, vcc_lo
	v_lshlrev_b64 v[35:36], 2, v[6:7]
	v_add_nc_u32_e32 v6, -8, v4
	v_add_co_u32 v33, vcc_lo, s12, v33
	v_add_co_ci_u32_e64 v34, null, s13, v34, vcc_lo
	v_lshlrev_b64 v[5:6], 2, v[6:7]
	global_load_dword v46, v[31:32], off
	v_add_nc_u32_e32 v4, 0x600, v4
	global_load_dword v33, v[33:34], off
	v_add_co_u32 v31, vcc_lo, s12, v35
	v_add_co_ci_u32_e64 v32, null, s13, v36, vcc_lo
	v_add_co_u32 v5, vcc_lo, s12, v5
	v_add_co_ci_u32_e64 v6, null, s13, v6, vcc_lo
	s_clause 0x2
	global_load_dword v31, v[31:32], off
	global_load_dword v5, v[5:6], off
	;; [unrolled: 1-line block ×3, first 2 shown]
	v_cmp_ge_i32_e32 vcc_lo, v2, v12
	s_or_b32 s0, vcc_lo, s0
	s_waitcnt vmcnt(8)
	v_fmac_f32_e32 v9, v17, v21
	v_fmac_f32_e32 v11, v8, v21
	;; [unrolled: 1-line block ×12, first 2 shown]
	s_waitcnt vmcnt(7)
	v_fmac_f32_e32 v9, v13, v25
	v_fmac_f32_e32 v11, v44, v25
	s_waitcnt vmcnt(6)
	v_fmac_f32_e32 v10, v3, v25
	v_fmac_f32_e32 v9, v14, v26
	s_waitcnt vmcnt(5)
	v_fmac_f32_e32 v11, v45, v26
	s_waitcnt vmcnt(4)
	v_fmac_f32_e32 v10, v46, v26
	v_fmac_f32_e32 v9, v15, v27
	s_waitcnt vmcnt(3)
	;; [unrolled: 5-line block ×3, first 2 shown]
	v_fmac_f32_e32 v11, v5, v28
	s_waitcnt vmcnt(0)
	v_fmac_f32_e32 v10, v6, v28
	s_andn2_b32 exec_lo, exec_lo, s0
	s_cbranch_execnz .LBB34_15
; %bb.16:
	s_or_b32 exec_lo, exec_lo, s0
.LBB34_17:
	s_or_b32 exec_lo, exec_lo, s1
.LBB34_18:
	v_mbcnt_lo_u32_b32 v2, -1, 0
	s_mov_b32 s3, -1
	v_or_b32_e32 v3, 32, v2
	v_xor_b32_e32 v6, 16, v2
	v_cmp_gt_i32_e32 vcc_lo, 32, v3
	v_cndmask_b32_e32 v3, v2, v3, vcc_lo
	v_cmp_gt_i32_e32 vcc_lo, 32, v6
	v_lshlrev_b32_e32 v3, 2, v3
	v_cndmask_b32_e32 v6, v2, v6, vcc_lo
	ds_bpermute_b32 v4, v3, v9
	ds_bpermute_b32 v5, v3, v11
	;; [unrolled: 1-line block ×3, first 2 shown]
	v_lshlrev_b32_e32 v6, 2, v6
	s_waitcnt lgkmcnt(2)
	v_add_f32_e32 v4, v9, v4
	s_waitcnt lgkmcnt(1)
	v_add_f32_e32 v5, v11, v5
	;; [unrolled: 2-line block ×3, first 2 shown]
	v_xor_b32_e32 v9, 8, v2
	ds_bpermute_b32 v7, v6, v4
	ds_bpermute_b32 v8, v6, v5
	;; [unrolled: 1-line block ×3, first 2 shown]
	v_cmp_gt_i32_e32 vcc_lo, 32, v9
	v_cndmask_b32_e32 v9, v2, v9, vcc_lo
	v_lshlrev_b32_e32 v9, 2, v9
	s_waitcnt lgkmcnt(2)
	v_add_f32_e32 v4, v4, v7
	s_waitcnt lgkmcnt(1)
	v_add_f32_e32 v5, v5, v8
	s_waitcnt lgkmcnt(0)
	v_add_f32_e32 v3, v3, v6
	ds_bpermute_b32 v6, v9, v4
	ds_bpermute_b32 v7, v9, v5
	ds_bpermute_b32 v8, v9, v3
	v_xor_b32_e32 v9, 4, v2
	v_cmp_gt_i32_e32 vcc_lo, 32, v9
	v_cndmask_b32_e32 v9, v2, v9, vcc_lo
	v_lshlrev_b32_e32 v9, 2, v9
	s_waitcnt lgkmcnt(2)
	v_add_f32_e32 v4, v4, v6
	s_waitcnt lgkmcnt(1)
	v_add_f32_e32 v5, v5, v7
	s_waitcnt lgkmcnt(0)
	v_add_f32_e32 v3, v3, v8
	ds_bpermute_b32 v6, v9, v4
	ds_bpermute_b32 v7, v9, v5
	ds_bpermute_b32 v8, v9, v3
	v_xor_b32_e32 v9, 2, v2
	;; [unrolled: 13-line block ×3, first 2 shown]
	v_cmp_gt_i32_e32 vcc_lo, 32, v9
	v_cndmask_b32_e32 v2, v2, v9, vcc_lo
	v_cmp_eq_u32_e32 vcc_lo, 63, v0
	v_lshlrev_b32_e32 v9, 2, v2
	s_waitcnt lgkmcnt(2)
	v_add_f32_e32 v2, v4, v3
	s_waitcnt lgkmcnt(1)
	v_add_f32_e32 v3, v5, v7
	;; [unrolled: 2-line block ×3, first 2 shown]
	ds_bpermute_b32 v5, v9, v2
	ds_bpermute_b32 v6, v9, v3
	;; [unrolled: 1-line block ×3, first 2 shown]
	s_and_b32 exec_lo, exec_lo, vcc_lo
	s_cbranch_execz .LBB34_23
; %bb.19:
	s_load_dwordx2 s[0:1], s[4:5], 0x38
	s_waitcnt lgkmcnt(0)
	v_add_f32_e32 v0, v2, v5
	v_add_f32_e32 v2, v3, v6
	v_add_f32_e32 v4, v4, v7
	v_lshl_add_u32 v3, v1, 1, v1
	v_cmp_eq_f32_e64 s4, s2, 0
	v_mul_f32_e32 v0, s16, v0
	v_mul_f32_e32 v1, s16, v2
	v_mul_f32_e32 v2, s16, v4
	v_ashrrev_i32_e32 v4, 31, v3
	s_and_b32 vcc_lo, exec_lo, s4
	s_cbranch_vccz .LBB34_21
; %bb.20:
	v_lshlrev_b64 v[5:6], 2, v[3:4]
	s_mov_b32 s3, 0
	v_add_co_u32 v5, vcc_lo, s0, v5
	v_add_co_ci_u32_e64 v6, null, s1, v6, vcc_lo
	global_store_dwordx3 v[5:6], v[0:2], off
.LBB34_21:
	s_andn2_b32 vcc_lo, exec_lo, s3
	s_cbranch_vccnz .LBB34_23
; %bb.22:
	v_lshlrev_b64 v[3:4], 2, v[3:4]
	v_add_co_u32 v6, vcc_lo, s0, v3
	v_add_co_ci_u32_e64 v7, null, s1, v4, vcc_lo
	global_load_dwordx3 v[3:5], v[6:7], off
	s_waitcnt vmcnt(0)
	v_fmac_f32_e32 v0, s2, v3
	v_fmac_f32_e32 v1, s2, v4
	;; [unrolled: 1-line block ×3, first 2 shown]
	global_store_dwordx3 v[6:7], v[0:2], off
.LBB34_23:
	s_endpgm
	.section	.rodata,"a",@progbits
	.p2align	6, 0x0
	.amdhsa_kernel _ZN9rocsparseL19gebsrmvn_3xn_kernelILj128ELj8ELj64EfEEvi20rocsparse_direction_NS_24const_host_device_scalarIT2_EEPKiS6_PKS3_S8_S4_PS3_21rocsparse_index_base_b
		.amdhsa_group_segment_fixed_size 0
		.amdhsa_private_segment_fixed_size 0
		.amdhsa_kernarg_size 72
		.amdhsa_user_sgpr_count 6
		.amdhsa_user_sgpr_private_segment_buffer 1
		.amdhsa_user_sgpr_dispatch_ptr 0
		.amdhsa_user_sgpr_queue_ptr 0
		.amdhsa_user_sgpr_kernarg_segment_ptr 1
		.amdhsa_user_sgpr_dispatch_id 0
		.amdhsa_user_sgpr_flat_scratch_init 0
		.amdhsa_user_sgpr_private_segment_size 0
		.amdhsa_wavefront_size32 1
		.amdhsa_uses_dynamic_stack 0
		.amdhsa_system_sgpr_private_segment_wavefront_offset 0
		.amdhsa_system_sgpr_workgroup_id_x 1
		.amdhsa_system_sgpr_workgroup_id_y 0
		.amdhsa_system_sgpr_workgroup_id_z 0
		.amdhsa_system_sgpr_workgroup_info 0
		.amdhsa_system_vgpr_workitem_id 0
		.amdhsa_next_free_vgpr 48
		.amdhsa_next_free_sgpr 20
		.amdhsa_reserve_vcc 1
		.amdhsa_reserve_flat_scratch 0
		.amdhsa_float_round_mode_32 0
		.amdhsa_float_round_mode_16_64 0
		.amdhsa_float_denorm_mode_32 3
		.amdhsa_float_denorm_mode_16_64 3
		.amdhsa_dx10_clamp 1
		.amdhsa_ieee_mode 1
		.amdhsa_fp16_overflow 0
		.amdhsa_workgroup_processor_mode 1
		.amdhsa_memory_ordered 1
		.amdhsa_forward_progress 1
		.amdhsa_shared_vgpr_count 0
		.amdhsa_exception_fp_ieee_invalid_op 0
		.amdhsa_exception_fp_denorm_src 0
		.amdhsa_exception_fp_ieee_div_zero 0
		.amdhsa_exception_fp_ieee_overflow 0
		.amdhsa_exception_fp_ieee_underflow 0
		.amdhsa_exception_fp_ieee_inexact 0
		.amdhsa_exception_int_div_zero 0
	.end_amdhsa_kernel
	.section	.text._ZN9rocsparseL19gebsrmvn_3xn_kernelILj128ELj8ELj64EfEEvi20rocsparse_direction_NS_24const_host_device_scalarIT2_EEPKiS6_PKS3_S8_S4_PS3_21rocsparse_index_base_b,"axG",@progbits,_ZN9rocsparseL19gebsrmvn_3xn_kernelILj128ELj8ELj64EfEEvi20rocsparse_direction_NS_24const_host_device_scalarIT2_EEPKiS6_PKS3_S8_S4_PS3_21rocsparse_index_base_b,comdat
.Lfunc_end34:
	.size	_ZN9rocsparseL19gebsrmvn_3xn_kernelILj128ELj8ELj64EfEEvi20rocsparse_direction_NS_24const_host_device_scalarIT2_EEPKiS6_PKS3_S8_S4_PS3_21rocsparse_index_base_b, .Lfunc_end34-_ZN9rocsparseL19gebsrmvn_3xn_kernelILj128ELj8ELj64EfEEvi20rocsparse_direction_NS_24const_host_device_scalarIT2_EEPKiS6_PKS3_S8_S4_PS3_21rocsparse_index_base_b
                                        ; -- End function
	.set _ZN9rocsparseL19gebsrmvn_3xn_kernelILj128ELj8ELj64EfEEvi20rocsparse_direction_NS_24const_host_device_scalarIT2_EEPKiS6_PKS3_S8_S4_PS3_21rocsparse_index_base_b.num_vgpr, 48
	.set _ZN9rocsparseL19gebsrmvn_3xn_kernelILj128ELj8ELj64EfEEvi20rocsparse_direction_NS_24const_host_device_scalarIT2_EEPKiS6_PKS3_S8_S4_PS3_21rocsparse_index_base_b.num_agpr, 0
	.set _ZN9rocsparseL19gebsrmvn_3xn_kernelILj128ELj8ELj64EfEEvi20rocsparse_direction_NS_24const_host_device_scalarIT2_EEPKiS6_PKS3_S8_S4_PS3_21rocsparse_index_base_b.numbered_sgpr, 20
	.set _ZN9rocsparseL19gebsrmvn_3xn_kernelILj128ELj8ELj64EfEEvi20rocsparse_direction_NS_24const_host_device_scalarIT2_EEPKiS6_PKS3_S8_S4_PS3_21rocsparse_index_base_b.num_named_barrier, 0
	.set _ZN9rocsparseL19gebsrmvn_3xn_kernelILj128ELj8ELj64EfEEvi20rocsparse_direction_NS_24const_host_device_scalarIT2_EEPKiS6_PKS3_S8_S4_PS3_21rocsparse_index_base_b.private_seg_size, 0
	.set _ZN9rocsparseL19gebsrmvn_3xn_kernelILj128ELj8ELj64EfEEvi20rocsparse_direction_NS_24const_host_device_scalarIT2_EEPKiS6_PKS3_S8_S4_PS3_21rocsparse_index_base_b.uses_vcc, 1
	.set _ZN9rocsparseL19gebsrmvn_3xn_kernelILj128ELj8ELj64EfEEvi20rocsparse_direction_NS_24const_host_device_scalarIT2_EEPKiS6_PKS3_S8_S4_PS3_21rocsparse_index_base_b.uses_flat_scratch, 0
	.set _ZN9rocsparseL19gebsrmvn_3xn_kernelILj128ELj8ELj64EfEEvi20rocsparse_direction_NS_24const_host_device_scalarIT2_EEPKiS6_PKS3_S8_S4_PS3_21rocsparse_index_base_b.has_dyn_sized_stack, 0
	.set _ZN9rocsparseL19gebsrmvn_3xn_kernelILj128ELj8ELj64EfEEvi20rocsparse_direction_NS_24const_host_device_scalarIT2_EEPKiS6_PKS3_S8_S4_PS3_21rocsparse_index_base_b.has_recursion, 0
	.set _ZN9rocsparseL19gebsrmvn_3xn_kernelILj128ELj8ELj64EfEEvi20rocsparse_direction_NS_24const_host_device_scalarIT2_EEPKiS6_PKS3_S8_S4_PS3_21rocsparse_index_base_b.has_indirect_call, 0
	.section	.AMDGPU.csdata,"",@progbits
; Kernel info:
; codeLenInByte = 2708
; TotalNumSgprs: 22
; NumVgprs: 48
; ScratchSize: 0
; MemoryBound: 0
; FloatMode: 240
; IeeeMode: 1
; LDSByteSize: 0 bytes/workgroup (compile time only)
; SGPRBlocks: 0
; VGPRBlocks: 5
; NumSGPRsForWavesPerEU: 22
; NumVGPRsForWavesPerEU: 48
; Occupancy: 16
; WaveLimiterHint : 1
; COMPUTE_PGM_RSRC2:SCRATCH_EN: 0
; COMPUTE_PGM_RSRC2:USER_SGPR: 6
; COMPUTE_PGM_RSRC2:TRAP_HANDLER: 0
; COMPUTE_PGM_RSRC2:TGID_X_EN: 1
; COMPUTE_PGM_RSRC2:TGID_Y_EN: 0
; COMPUTE_PGM_RSRC2:TGID_Z_EN: 0
; COMPUTE_PGM_RSRC2:TIDIG_COMP_CNT: 0
	.section	.text._ZN9rocsparseL23gebsrmvn_general_kernelILj48ELj16EfEEvi20rocsparse_direction_NS_24const_host_device_scalarIT1_EEPKiS6_PKS3_iiS8_S4_PS3_21rocsparse_index_base_b,"axG",@progbits,_ZN9rocsparseL23gebsrmvn_general_kernelILj48ELj16EfEEvi20rocsparse_direction_NS_24const_host_device_scalarIT1_EEPKiS6_PKS3_iiS8_S4_PS3_21rocsparse_index_base_b,comdat
	.globl	_ZN9rocsparseL23gebsrmvn_general_kernelILj48ELj16EfEEvi20rocsparse_direction_NS_24const_host_device_scalarIT1_EEPKiS6_PKS3_iiS8_S4_PS3_21rocsparse_index_base_b ; -- Begin function _ZN9rocsparseL23gebsrmvn_general_kernelILj48ELj16EfEEvi20rocsparse_direction_NS_24const_host_device_scalarIT1_EEPKiS6_PKS3_iiS8_S4_PS3_21rocsparse_index_base_b
	.p2align	8
	.type	_ZN9rocsparseL23gebsrmvn_general_kernelILj48ELj16EfEEvi20rocsparse_direction_NS_24const_host_device_scalarIT1_EEPKiS6_PKS3_iiS8_S4_PS3_21rocsparse_index_base_b,@function
_ZN9rocsparseL23gebsrmvn_general_kernelILj48ELj16EfEEvi20rocsparse_direction_NS_24const_host_device_scalarIT1_EEPKiS6_PKS3_iiS8_S4_PS3_21rocsparse_index_base_b: ; @_ZN9rocsparseL23gebsrmvn_general_kernelILj48ELj16EfEEvi20rocsparse_direction_NS_24const_host_device_scalarIT1_EEPKiS6_PKS3_iiS8_S4_PS3_21rocsparse_index_base_b
; %bb.0:
	s_clause 0x2
	s_load_dwordx2 s[8:9], s[4:5], 0x48
	s_load_dwordx2 s[10:11], s[4:5], 0x8
	;; [unrolled: 1-line block ×3, first 2 shown]
	s_waitcnt lgkmcnt(0)
	s_bitcmp1_b32 s9, 0
	s_cselect_b32 s0, -1, 0
	s_and_b32 vcc_lo, exec_lo, s0
	s_xor_b32 s0, s0, -1
	s_cbranch_vccnz .LBB35_2
; %bb.1:
	s_load_dword s10, s[10:11], 0x0
.LBB35_2:
	s_andn2_b32 vcc_lo, exec_lo, s0
	s_cbranch_vccnz .LBB35_4
; %bb.3:
	s_load_dword s12, s[12:13], 0x0
.LBB35_4:
	s_waitcnt lgkmcnt(0)
	v_cmp_eq_f32_e64 s0, s10, 0
	v_cmp_eq_f32_e64 s1, s12, 1.0
	s_and_b32 s0, s0, s1
	s_and_b32 vcc_lo, exec_lo, s0
	s_cbranch_vccnz .LBB35_24
; %bb.5:
	s_load_dwordx2 s[14:15], s[4:5], 0x28
	v_lshrrev_b32_e32 v1, 4, v0
	s_mov_b32 s0, exec_lo
	s_waitcnt lgkmcnt(0)
	v_cmpx_gt_i32_e64 s14, v1
	s_cbranch_execz .LBB35_24
; %bb.6:
	s_load_dwordx4 s[0:3], s[4:5], 0x10
	s_ashr_i32 s7, s6, 31
	v_mbcnt_lo_u32_b32 v4, -1, 0
	s_lshl_b64 s[16:17], s[6:7], 2
	s_load_dword s7, s[4:5], 0x4
	v_and_b32_e32 v0, 15, v0
	v_cmp_eq_f32_e64 s22, s12, 0
	v_xor_b32_e32 v2, 8, v4
	v_xor_b32_e32 v3, 4, v4
	;; [unrolled: 1-line block ×4, first 2 shown]
	s_mov_b32 s9, 0
	v_cmp_gt_i32_e32 vcc_lo, 32, v2
	s_mul_i32 s23, s14, s6
	s_mul_i32 s24, s15, 3
	;; [unrolled: 1-line block ×3, first 2 shown]
	v_cndmask_b32_e32 v7, v4, v2, vcc_lo
	v_cmp_gt_i32_e32 vcc_lo, 32, v3
	s_waitcnt lgkmcnt(0)
	s_add_u32 s0, s0, s16
	s_addc_u32 s1, s1, s17
	v_cndmask_b32_e32 v8, v4, v3, vcc_lo
	s_load_dwordx2 s[20:21], s[0:1], 0x0
	s_clause 0x2
	s_load_dwordx2 s[16:17], s[4:5], 0x20
	s_load_dwordx2 s[18:19], s[4:5], 0x30
	;; [unrolled: 1-line block ×3, first 2 shown]
	v_cmp_gt_i32_e32 vcc_lo, 32, v5
	v_cmp_gt_i32_e64 s0, s15, v0
	v_cmp_eq_u32_e64 s1, 15, v0
	v_cndmask_b32_e32 v9, v4, v5, vcc_lo
	v_cmp_gt_i32_e32 vcc_lo, 32, v6
	v_lshlrev_b32_e32 v5, 2, v8
	s_waitcnt lgkmcnt(0)
	s_sub_i32 s11, s20, s8
	s_sub_i32 s13, s21, s8
	v_mad_u64_u32 v[2:3], null, s14, s11, v[1:2]
	v_cndmask_b32_e32 v3, v4, v6, vcc_lo
	s_cmp_lt_i32 s20, s21
	v_lshlrev_b32_e32 v4, 2, v7
	v_lshlrev_b32_e32 v6, 2, v9
	s_cselect_b32 s20, -1, 0
	v_lshlrev_b32_e32 v7, 2, v3
	v_mul_lo_u32 v8, s15, v2
	s_cmp_lg_u32 s7, 0
	s_cselect_b32 s21, -1, 0
	s_branch .LBB35_8
.LBB35_7:                               ;   in Loop: Header=BB35_8 Depth=1
	s_or_b32 exec_lo, exec_lo, s6
	v_add_nc_u32_e32 v1, 3, v1
	v_add_nc_u32_e32 v8, s24, v8
	v_cmp_le_i32_e32 vcc_lo, s14, v1
	s_or_b32 s9, vcc_lo, s9
	s_andn2_b32 exec_lo, exec_lo, s9
	s_cbranch_execz .LBB35_24
.LBB35_8:                               ; =>This Loop Header: Depth=1
                                        ;     Child Loop BB35_12 Depth 2
                                        ;       Child Loop BB35_15 Depth 3
	v_mov_b32_e32 v9, 0
	s_andn2_b32 vcc_lo, exec_lo, s20
	s_cbranch_vccnz .LBB35_19
; %bb.9:                                ;   in Loop: Header=BB35_8 Depth=1
	v_mov_b32_e32 v9, 0
	v_mov_b32_e32 v10, v8
	s_mov_b32 s6, s11
	s_branch .LBB35_12
.LBB35_10:                              ;   in Loop: Header=BB35_12 Depth=2
	s_inst_prefetch 0x2
	s_or_b32 exec_lo, exec_lo, s27
.LBB35_11:                              ;   in Loop: Header=BB35_12 Depth=2
	s_or_b32 exec_lo, exec_lo, s26
	v_add_nc_u32_e32 v10, s25, v10
	s_add_i32 s6, s6, 1
	s_cmp_ge_i32 s6, s13
	s_cbranch_scc1 .LBB35_19
.LBB35_12:                              ;   Parent Loop BB35_8 Depth=1
                                        ; =>  This Loop Header: Depth=2
                                        ;       Child Loop BB35_15 Depth 3
	s_and_saveexec_b32 s26, s0
	s_cbranch_execz .LBB35_11
; %bb.13:                               ;   in Loop: Header=BB35_12 Depth=2
	s_ashr_i32 s7, s6, 31
	v_mov_b32_e32 v11, v0
	s_lshl_b64 s[28:29], s[6:7], 2
	s_mov_b32 s27, 0
	s_add_u32 s28, s2, s28
	s_addc_u32 s29, s3, s29
	s_load_dword s7, s[28:29], 0x0
	s_waitcnt lgkmcnt(0)
	s_sub_i32 s28, s7, s8
	s_mul_i32 s7, s6, s15
	s_mul_i32 s28, s28, s15
	s_inst_prefetch 0x1
	s_branch .LBB35_15
	.p2align	6
.LBB35_14:                              ;   in Loop: Header=BB35_15 Depth=3
	v_add_nc_u32_e32 v12, s28, v11
	v_ashrrev_i32_e32 v3, 31, v2
	v_add_nc_u32_e32 v11, 16, v11
	v_ashrrev_i32_e32 v13, 31, v12
	v_lshlrev_b64 v[2:3], 2, v[2:3]
	v_lshlrev_b64 v[12:13], 2, v[12:13]
	v_add_co_u32 v2, vcc_lo, s16, v2
	v_add_co_ci_u32_e64 v3, null, s17, v3, vcc_lo
	v_add_co_u32 v12, vcc_lo, s18, v12
	v_add_co_ci_u32_e64 v13, null, s19, v13, vcc_lo
	v_cmp_le_i32_e32 vcc_lo, s15, v11
	global_load_dword v2, v[2:3], off
	global_load_dword v3, v[12:13], off
	s_or_b32 s27, vcc_lo, s27
	s_waitcnt vmcnt(0)
	v_fmac_f32_e32 v9, v2, v3
	s_andn2_b32 exec_lo, exec_lo, s27
	s_cbranch_execz .LBB35_10
.LBB35_15:                              ;   Parent Loop BB35_8 Depth=1
                                        ;     Parent Loop BB35_12 Depth=2
                                        ; =>    This Inner Loop Header: Depth=3
	s_and_b32 vcc_lo, exec_lo, s21
	s_cbranch_vccz .LBB35_17
; %bb.16:                               ;   in Loop: Header=BB35_15 Depth=3
	v_add_nc_u32_e32 v2, s7, v11
	v_mad_u64_u32 v[2:3], null, v2, s14, v[1:2]
	s_cbranch_execnz .LBB35_14
	s_branch .LBB35_18
	.p2align	6
.LBB35_17:                              ;   in Loop: Header=BB35_15 Depth=3
                                        ; implicit-def: $vgpr2
.LBB35_18:                              ;   in Loop: Header=BB35_15 Depth=3
	v_add_nc_u32_e32 v2, v10, v11
	s_branch .LBB35_14
.LBB35_19:                              ;   in Loop: Header=BB35_8 Depth=1
	ds_bpermute_b32 v2, v4, v9
	s_waitcnt lgkmcnt(0)
	v_add_f32_e32 v2, v9, v2
	ds_bpermute_b32 v3, v5, v2
	s_waitcnt lgkmcnt(0)
	v_add_f32_e32 v2, v2, v3
	;; [unrolled: 3-line block ×3, first 2 shown]
	ds_bpermute_b32 v3, v7, v2
	s_and_saveexec_b32 s6, s1
	s_cbranch_execz .LBB35_7
; %bb.20:                               ;   in Loop: Header=BB35_8 Depth=1
	s_waitcnt lgkmcnt(0)
	v_add_f32_e32 v3, v2, v3
	v_add_nc_u32_e32 v2, s23, v1
	s_and_b32 vcc_lo, exec_lo, s22
	v_mul_f32_e32 v9, s10, v3
	v_ashrrev_i32_e32 v3, 31, v2
	s_cbranch_vccz .LBB35_22
; %bb.21:                               ;   in Loop: Header=BB35_8 Depth=1
	v_lshlrev_b64 v[10:11], 2, v[2:3]
	v_add_co_u32 v10, vcc_lo, s4, v10
	v_add_co_ci_u32_e64 v11, null, s5, v11, vcc_lo
	global_store_dword v[10:11], v9, off
	s_cbranch_execnz .LBB35_7
	s_branch .LBB35_23
.LBB35_22:                              ;   in Loop: Header=BB35_8 Depth=1
.LBB35_23:                              ;   in Loop: Header=BB35_8 Depth=1
	v_lshlrev_b64 v[2:3], 2, v[2:3]
	v_add_co_u32 v2, vcc_lo, s4, v2
	v_add_co_ci_u32_e64 v3, null, s5, v3, vcc_lo
	global_load_dword v10, v[2:3], off
	s_waitcnt vmcnt(0)
	v_fmac_f32_e32 v9, s12, v10
	global_store_dword v[2:3], v9, off
	s_branch .LBB35_7
.LBB35_24:
	s_endpgm
	.section	.rodata,"a",@progbits
	.p2align	6, 0x0
	.amdhsa_kernel _ZN9rocsparseL23gebsrmvn_general_kernelILj48ELj16EfEEvi20rocsparse_direction_NS_24const_host_device_scalarIT1_EEPKiS6_PKS3_iiS8_S4_PS3_21rocsparse_index_base_b
		.amdhsa_group_segment_fixed_size 0
		.amdhsa_private_segment_fixed_size 0
		.amdhsa_kernarg_size 80
		.amdhsa_user_sgpr_count 6
		.amdhsa_user_sgpr_private_segment_buffer 1
		.amdhsa_user_sgpr_dispatch_ptr 0
		.amdhsa_user_sgpr_queue_ptr 0
		.amdhsa_user_sgpr_kernarg_segment_ptr 1
		.amdhsa_user_sgpr_dispatch_id 0
		.amdhsa_user_sgpr_flat_scratch_init 0
		.amdhsa_user_sgpr_private_segment_size 0
		.amdhsa_wavefront_size32 1
		.amdhsa_uses_dynamic_stack 0
		.amdhsa_system_sgpr_private_segment_wavefront_offset 0
		.amdhsa_system_sgpr_workgroup_id_x 1
		.amdhsa_system_sgpr_workgroup_id_y 0
		.amdhsa_system_sgpr_workgroup_id_z 0
		.amdhsa_system_sgpr_workgroup_info 0
		.amdhsa_system_vgpr_workitem_id 0
		.amdhsa_next_free_vgpr 14
		.amdhsa_next_free_sgpr 30
		.amdhsa_reserve_vcc 1
		.amdhsa_reserve_flat_scratch 0
		.amdhsa_float_round_mode_32 0
		.amdhsa_float_round_mode_16_64 0
		.amdhsa_float_denorm_mode_32 3
		.amdhsa_float_denorm_mode_16_64 3
		.amdhsa_dx10_clamp 1
		.amdhsa_ieee_mode 1
		.amdhsa_fp16_overflow 0
		.amdhsa_workgroup_processor_mode 1
		.amdhsa_memory_ordered 1
		.amdhsa_forward_progress 1
		.amdhsa_shared_vgpr_count 0
		.amdhsa_exception_fp_ieee_invalid_op 0
		.amdhsa_exception_fp_denorm_src 0
		.amdhsa_exception_fp_ieee_div_zero 0
		.amdhsa_exception_fp_ieee_overflow 0
		.amdhsa_exception_fp_ieee_underflow 0
		.amdhsa_exception_fp_ieee_inexact 0
		.amdhsa_exception_int_div_zero 0
	.end_amdhsa_kernel
	.section	.text._ZN9rocsparseL23gebsrmvn_general_kernelILj48ELj16EfEEvi20rocsparse_direction_NS_24const_host_device_scalarIT1_EEPKiS6_PKS3_iiS8_S4_PS3_21rocsparse_index_base_b,"axG",@progbits,_ZN9rocsparseL23gebsrmvn_general_kernelILj48ELj16EfEEvi20rocsparse_direction_NS_24const_host_device_scalarIT1_EEPKiS6_PKS3_iiS8_S4_PS3_21rocsparse_index_base_b,comdat
.Lfunc_end35:
	.size	_ZN9rocsparseL23gebsrmvn_general_kernelILj48ELj16EfEEvi20rocsparse_direction_NS_24const_host_device_scalarIT1_EEPKiS6_PKS3_iiS8_S4_PS3_21rocsparse_index_base_b, .Lfunc_end35-_ZN9rocsparseL23gebsrmvn_general_kernelILj48ELj16EfEEvi20rocsparse_direction_NS_24const_host_device_scalarIT1_EEPKiS6_PKS3_iiS8_S4_PS3_21rocsparse_index_base_b
                                        ; -- End function
	.set _ZN9rocsparseL23gebsrmvn_general_kernelILj48ELj16EfEEvi20rocsparse_direction_NS_24const_host_device_scalarIT1_EEPKiS6_PKS3_iiS8_S4_PS3_21rocsparse_index_base_b.num_vgpr, 14
	.set _ZN9rocsparseL23gebsrmvn_general_kernelILj48ELj16EfEEvi20rocsparse_direction_NS_24const_host_device_scalarIT1_EEPKiS6_PKS3_iiS8_S4_PS3_21rocsparse_index_base_b.num_agpr, 0
	.set _ZN9rocsparseL23gebsrmvn_general_kernelILj48ELj16EfEEvi20rocsparse_direction_NS_24const_host_device_scalarIT1_EEPKiS6_PKS3_iiS8_S4_PS3_21rocsparse_index_base_b.numbered_sgpr, 30
	.set _ZN9rocsparseL23gebsrmvn_general_kernelILj48ELj16EfEEvi20rocsparse_direction_NS_24const_host_device_scalarIT1_EEPKiS6_PKS3_iiS8_S4_PS3_21rocsparse_index_base_b.num_named_barrier, 0
	.set _ZN9rocsparseL23gebsrmvn_general_kernelILj48ELj16EfEEvi20rocsparse_direction_NS_24const_host_device_scalarIT1_EEPKiS6_PKS3_iiS8_S4_PS3_21rocsparse_index_base_b.private_seg_size, 0
	.set _ZN9rocsparseL23gebsrmvn_general_kernelILj48ELj16EfEEvi20rocsparse_direction_NS_24const_host_device_scalarIT1_EEPKiS6_PKS3_iiS8_S4_PS3_21rocsparse_index_base_b.uses_vcc, 1
	.set _ZN9rocsparseL23gebsrmvn_general_kernelILj48ELj16EfEEvi20rocsparse_direction_NS_24const_host_device_scalarIT1_EEPKiS6_PKS3_iiS8_S4_PS3_21rocsparse_index_base_b.uses_flat_scratch, 0
	.set _ZN9rocsparseL23gebsrmvn_general_kernelILj48ELj16EfEEvi20rocsparse_direction_NS_24const_host_device_scalarIT1_EEPKiS6_PKS3_iiS8_S4_PS3_21rocsparse_index_base_b.has_dyn_sized_stack, 0
	.set _ZN9rocsparseL23gebsrmvn_general_kernelILj48ELj16EfEEvi20rocsparse_direction_NS_24const_host_device_scalarIT1_EEPKiS6_PKS3_iiS8_S4_PS3_21rocsparse_index_base_b.has_recursion, 0
	.set _ZN9rocsparseL23gebsrmvn_general_kernelILj48ELj16EfEEvi20rocsparse_direction_NS_24const_host_device_scalarIT1_EEPKiS6_PKS3_iiS8_S4_PS3_21rocsparse_index_base_b.has_indirect_call, 0
	.section	.AMDGPU.csdata,"",@progbits
; Kernel info:
; codeLenInByte = 964
; TotalNumSgprs: 32
; NumVgprs: 14
; ScratchSize: 0
; MemoryBound: 0
; FloatMode: 240
; IeeeMode: 1
; LDSByteSize: 0 bytes/workgroup (compile time only)
; SGPRBlocks: 0
; VGPRBlocks: 1
; NumSGPRsForWavesPerEU: 32
; NumVGPRsForWavesPerEU: 14
; Occupancy: 16
; WaveLimiterHint : 1
; COMPUTE_PGM_RSRC2:SCRATCH_EN: 0
; COMPUTE_PGM_RSRC2:USER_SGPR: 6
; COMPUTE_PGM_RSRC2:TRAP_HANDLER: 0
; COMPUTE_PGM_RSRC2:TGID_X_EN: 1
; COMPUTE_PGM_RSRC2:TGID_Y_EN: 0
; COMPUTE_PGM_RSRC2:TGID_Z_EN: 0
; COMPUTE_PGM_RSRC2:TIDIG_COMP_CNT: 0
	.section	.text._ZN9rocsparseL23gebsrmvn_general_kernelILj96ELj32EfEEvi20rocsparse_direction_NS_24const_host_device_scalarIT1_EEPKiS6_PKS3_iiS8_S4_PS3_21rocsparse_index_base_b,"axG",@progbits,_ZN9rocsparseL23gebsrmvn_general_kernelILj96ELj32EfEEvi20rocsparse_direction_NS_24const_host_device_scalarIT1_EEPKiS6_PKS3_iiS8_S4_PS3_21rocsparse_index_base_b,comdat
	.globl	_ZN9rocsparseL23gebsrmvn_general_kernelILj96ELj32EfEEvi20rocsparse_direction_NS_24const_host_device_scalarIT1_EEPKiS6_PKS3_iiS8_S4_PS3_21rocsparse_index_base_b ; -- Begin function _ZN9rocsparseL23gebsrmvn_general_kernelILj96ELj32EfEEvi20rocsparse_direction_NS_24const_host_device_scalarIT1_EEPKiS6_PKS3_iiS8_S4_PS3_21rocsparse_index_base_b
	.p2align	8
	.type	_ZN9rocsparseL23gebsrmvn_general_kernelILj96ELj32EfEEvi20rocsparse_direction_NS_24const_host_device_scalarIT1_EEPKiS6_PKS3_iiS8_S4_PS3_21rocsparse_index_base_b,@function
_ZN9rocsparseL23gebsrmvn_general_kernelILj96ELj32EfEEvi20rocsparse_direction_NS_24const_host_device_scalarIT1_EEPKiS6_PKS3_iiS8_S4_PS3_21rocsparse_index_base_b: ; @_ZN9rocsparseL23gebsrmvn_general_kernelILj96ELj32EfEEvi20rocsparse_direction_NS_24const_host_device_scalarIT1_EEPKiS6_PKS3_iiS8_S4_PS3_21rocsparse_index_base_b
; %bb.0:
	s_clause 0x2
	s_load_dwordx2 s[8:9], s[4:5], 0x48
	s_load_dwordx2 s[10:11], s[4:5], 0x8
	;; [unrolled: 1-line block ×3, first 2 shown]
	s_waitcnt lgkmcnt(0)
	s_bitcmp1_b32 s9, 0
	s_cselect_b32 s0, -1, 0
	s_and_b32 vcc_lo, exec_lo, s0
	s_xor_b32 s0, s0, -1
	s_cbranch_vccnz .LBB36_2
; %bb.1:
	s_load_dword s10, s[10:11], 0x0
.LBB36_2:
	s_andn2_b32 vcc_lo, exec_lo, s0
	s_cbranch_vccnz .LBB36_4
; %bb.3:
	s_load_dword s12, s[12:13], 0x0
.LBB36_4:
	s_waitcnt lgkmcnt(0)
	v_cmp_eq_f32_e64 s0, s10, 0
	v_cmp_eq_f32_e64 s1, s12, 1.0
	s_and_b32 s0, s0, s1
	s_and_b32 vcc_lo, exec_lo, s0
	s_cbranch_vccnz .LBB36_24
; %bb.5:
	s_load_dwordx2 s[14:15], s[4:5], 0x28
	v_lshrrev_b32_e32 v1, 5, v0
	s_mov_b32 s0, exec_lo
	s_waitcnt lgkmcnt(0)
	v_cmpx_gt_i32_e64 s14, v1
	s_cbranch_execz .LBB36_24
; %bb.6:
	s_load_dwordx4 s[0:3], s[4:5], 0x10
	s_ashr_i32 s7, s6, 31
	v_mbcnt_lo_u32_b32 v4, -1, 0
	s_lshl_b64 s[16:17], s[6:7], 2
	s_load_dword s7, s[4:5], 0x4
	v_and_b32_e32 v0, 31, v0
	v_cmp_eq_f32_e64 s22, s12, 0
	v_xor_b32_e32 v2, 16, v4
	v_xor_b32_e32 v3, 8, v4
	v_xor_b32_e32 v5, 4, v4
	v_xor_b32_e32 v6, 2, v4
	v_xor_b32_e32 v7, 1, v4
	v_cmp_gt_i32_e32 vcc_lo, 32, v2
	s_mov_b32 s9, 0
	s_mul_i32 s23, s14, s6
	s_mul_i32 s24, s15, 3
	;; [unrolled: 1-line block ×3, first 2 shown]
	v_cndmask_b32_e32 v8, v4, v2, vcc_lo
	v_cmp_gt_i32_e32 vcc_lo, 32, v3
	s_waitcnt lgkmcnt(0)
	s_add_u32 s0, s0, s16
	s_addc_u32 s1, s1, s17
	v_cndmask_b32_e32 v9, v4, v3, vcc_lo
	s_load_dwordx2 s[20:21], s[0:1], 0x0
	v_cmp_gt_i32_e32 vcc_lo, 32, v5
	s_clause 0x2
	s_load_dwordx2 s[16:17], s[4:5], 0x20
	s_load_dwordx2 s[18:19], s[4:5], 0x30
	s_load_dwordx2 s[4:5], s[4:5], 0x40
	v_cmp_gt_i32_e64 s0, s15, v0
	v_cmp_eq_u32_e64 s1, 31, v0
	v_cndmask_b32_e32 v10, v4, v5, vcc_lo
	v_cmp_gt_i32_e32 vcc_lo, 32, v6
	v_lshlrev_b32_e32 v5, 2, v9
	v_cndmask_b32_e32 v11, v4, v6, vcc_lo
	v_cmp_gt_i32_e32 vcc_lo, 32, v7
	v_lshlrev_b32_e32 v6, 2, v10
	s_waitcnt lgkmcnt(0)
	s_sub_i32 s11, s20, s8
	s_sub_i32 s13, s21, s8
	v_mad_u64_u32 v[2:3], null, s14, s11, v[1:2]
	v_cndmask_b32_e32 v3, v4, v7, vcc_lo
	s_cmp_lt_i32 s20, s21
	v_lshlrev_b32_e32 v4, 2, v8
	v_lshlrev_b32_e32 v7, 2, v11
	s_cselect_b32 s20, -1, 0
	v_lshlrev_b32_e32 v8, 2, v3
	v_mul_lo_u32 v9, s15, v2
	s_cmp_lg_u32 s7, 0
	s_cselect_b32 s21, -1, 0
	s_branch .LBB36_8
.LBB36_7:                               ;   in Loop: Header=BB36_8 Depth=1
	s_or_b32 exec_lo, exec_lo, s6
	v_add_nc_u32_e32 v1, 3, v1
	v_add_nc_u32_e32 v9, s24, v9
	v_cmp_le_i32_e32 vcc_lo, s14, v1
	s_or_b32 s9, vcc_lo, s9
	s_andn2_b32 exec_lo, exec_lo, s9
	s_cbranch_execz .LBB36_24
.LBB36_8:                               ; =>This Loop Header: Depth=1
                                        ;     Child Loop BB36_12 Depth 2
                                        ;       Child Loop BB36_15 Depth 3
	v_mov_b32_e32 v10, 0
	s_andn2_b32 vcc_lo, exec_lo, s20
	s_cbranch_vccnz .LBB36_19
; %bb.9:                                ;   in Loop: Header=BB36_8 Depth=1
	v_mov_b32_e32 v10, 0
	v_mov_b32_e32 v11, v9
	s_mov_b32 s6, s11
	s_branch .LBB36_12
.LBB36_10:                              ;   in Loop: Header=BB36_12 Depth=2
	s_inst_prefetch 0x2
	s_or_b32 exec_lo, exec_lo, s27
.LBB36_11:                              ;   in Loop: Header=BB36_12 Depth=2
	s_or_b32 exec_lo, exec_lo, s26
	v_add_nc_u32_e32 v11, s25, v11
	s_add_i32 s6, s6, 1
	s_cmp_ge_i32 s6, s13
	s_cbranch_scc1 .LBB36_19
.LBB36_12:                              ;   Parent Loop BB36_8 Depth=1
                                        ; =>  This Loop Header: Depth=2
                                        ;       Child Loop BB36_15 Depth 3
	s_and_saveexec_b32 s26, s0
	s_cbranch_execz .LBB36_11
; %bb.13:                               ;   in Loop: Header=BB36_12 Depth=2
	s_ashr_i32 s7, s6, 31
	v_mov_b32_e32 v12, v0
	s_lshl_b64 s[28:29], s[6:7], 2
	s_mov_b32 s27, 0
	s_add_u32 s28, s2, s28
	s_addc_u32 s29, s3, s29
	s_load_dword s7, s[28:29], 0x0
	s_waitcnt lgkmcnt(0)
	s_sub_i32 s28, s7, s8
	s_mul_i32 s7, s6, s15
	s_mul_i32 s28, s28, s15
	s_inst_prefetch 0x1
	s_branch .LBB36_15
	.p2align	6
.LBB36_14:                              ;   in Loop: Header=BB36_15 Depth=3
	v_add_nc_u32_e32 v13, s28, v12
	v_ashrrev_i32_e32 v3, 31, v2
	v_add_nc_u32_e32 v12, 32, v12
	v_ashrrev_i32_e32 v14, 31, v13
	v_lshlrev_b64 v[2:3], 2, v[2:3]
	v_lshlrev_b64 v[13:14], 2, v[13:14]
	v_add_co_u32 v2, vcc_lo, s16, v2
	v_add_co_ci_u32_e64 v3, null, s17, v3, vcc_lo
	v_add_co_u32 v13, vcc_lo, s18, v13
	v_add_co_ci_u32_e64 v14, null, s19, v14, vcc_lo
	v_cmp_le_i32_e32 vcc_lo, s15, v12
	global_load_dword v2, v[2:3], off
	global_load_dword v3, v[13:14], off
	s_or_b32 s27, vcc_lo, s27
	s_waitcnt vmcnt(0)
	v_fmac_f32_e32 v10, v2, v3
	s_andn2_b32 exec_lo, exec_lo, s27
	s_cbranch_execz .LBB36_10
.LBB36_15:                              ;   Parent Loop BB36_8 Depth=1
                                        ;     Parent Loop BB36_12 Depth=2
                                        ; =>    This Inner Loop Header: Depth=3
	s_and_b32 vcc_lo, exec_lo, s21
	s_cbranch_vccz .LBB36_17
; %bb.16:                               ;   in Loop: Header=BB36_15 Depth=3
	v_add_nc_u32_e32 v2, s7, v12
	v_mad_u64_u32 v[2:3], null, v2, s14, v[1:2]
	s_cbranch_execnz .LBB36_14
	s_branch .LBB36_18
	.p2align	6
.LBB36_17:                              ;   in Loop: Header=BB36_15 Depth=3
                                        ; implicit-def: $vgpr2
.LBB36_18:                              ;   in Loop: Header=BB36_15 Depth=3
	v_add_nc_u32_e32 v2, v11, v12
	s_branch .LBB36_14
.LBB36_19:                              ;   in Loop: Header=BB36_8 Depth=1
	ds_bpermute_b32 v2, v4, v10
	s_waitcnt lgkmcnt(0)
	v_add_f32_e32 v2, v10, v2
	ds_bpermute_b32 v3, v5, v2
	s_waitcnt lgkmcnt(0)
	v_add_f32_e32 v2, v2, v3
	;; [unrolled: 3-line block ×4, first 2 shown]
	ds_bpermute_b32 v3, v8, v2
	s_and_saveexec_b32 s6, s1
	s_cbranch_execz .LBB36_7
; %bb.20:                               ;   in Loop: Header=BB36_8 Depth=1
	s_waitcnt lgkmcnt(0)
	v_add_f32_e32 v3, v2, v3
	v_add_nc_u32_e32 v2, s23, v1
	s_and_b32 vcc_lo, exec_lo, s22
	v_mul_f32_e32 v10, s10, v3
	v_ashrrev_i32_e32 v3, 31, v2
	s_cbranch_vccz .LBB36_22
; %bb.21:                               ;   in Loop: Header=BB36_8 Depth=1
	v_lshlrev_b64 v[11:12], 2, v[2:3]
	v_add_co_u32 v11, vcc_lo, s4, v11
	v_add_co_ci_u32_e64 v12, null, s5, v12, vcc_lo
	global_store_dword v[11:12], v10, off
	s_cbranch_execnz .LBB36_7
	s_branch .LBB36_23
.LBB36_22:                              ;   in Loop: Header=BB36_8 Depth=1
.LBB36_23:                              ;   in Loop: Header=BB36_8 Depth=1
	v_lshlrev_b64 v[2:3], 2, v[2:3]
	v_add_co_u32 v2, vcc_lo, s4, v2
	v_add_co_ci_u32_e64 v3, null, s5, v3, vcc_lo
	global_load_dword v11, v[2:3], off
	s_waitcnt vmcnt(0)
	v_fmac_f32_e32 v10, s12, v11
	global_store_dword v[2:3], v10, off
	s_branch .LBB36_7
.LBB36_24:
	s_endpgm
	.section	.rodata,"a",@progbits
	.p2align	6, 0x0
	.amdhsa_kernel _ZN9rocsparseL23gebsrmvn_general_kernelILj96ELj32EfEEvi20rocsparse_direction_NS_24const_host_device_scalarIT1_EEPKiS6_PKS3_iiS8_S4_PS3_21rocsparse_index_base_b
		.amdhsa_group_segment_fixed_size 0
		.amdhsa_private_segment_fixed_size 0
		.amdhsa_kernarg_size 80
		.amdhsa_user_sgpr_count 6
		.amdhsa_user_sgpr_private_segment_buffer 1
		.amdhsa_user_sgpr_dispatch_ptr 0
		.amdhsa_user_sgpr_queue_ptr 0
		.amdhsa_user_sgpr_kernarg_segment_ptr 1
		.amdhsa_user_sgpr_dispatch_id 0
		.amdhsa_user_sgpr_flat_scratch_init 0
		.amdhsa_user_sgpr_private_segment_size 0
		.amdhsa_wavefront_size32 1
		.amdhsa_uses_dynamic_stack 0
		.amdhsa_system_sgpr_private_segment_wavefront_offset 0
		.amdhsa_system_sgpr_workgroup_id_x 1
		.amdhsa_system_sgpr_workgroup_id_y 0
		.amdhsa_system_sgpr_workgroup_id_z 0
		.amdhsa_system_sgpr_workgroup_info 0
		.amdhsa_system_vgpr_workitem_id 0
		.amdhsa_next_free_vgpr 15
		.amdhsa_next_free_sgpr 30
		.amdhsa_reserve_vcc 1
		.amdhsa_reserve_flat_scratch 0
		.amdhsa_float_round_mode_32 0
		.amdhsa_float_round_mode_16_64 0
		.amdhsa_float_denorm_mode_32 3
		.amdhsa_float_denorm_mode_16_64 3
		.amdhsa_dx10_clamp 1
		.amdhsa_ieee_mode 1
		.amdhsa_fp16_overflow 0
		.amdhsa_workgroup_processor_mode 1
		.amdhsa_memory_ordered 1
		.amdhsa_forward_progress 1
		.amdhsa_shared_vgpr_count 0
		.amdhsa_exception_fp_ieee_invalid_op 0
		.amdhsa_exception_fp_denorm_src 0
		.amdhsa_exception_fp_ieee_div_zero 0
		.amdhsa_exception_fp_ieee_overflow 0
		.amdhsa_exception_fp_ieee_underflow 0
		.amdhsa_exception_fp_ieee_inexact 0
		.amdhsa_exception_int_div_zero 0
	.end_amdhsa_kernel
	.section	.text._ZN9rocsparseL23gebsrmvn_general_kernelILj96ELj32EfEEvi20rocsparse_direction_NS_24const_host_device_scalarIT1_EEPKiS6_PKS3_iiS8_S4_PS3_21rocsparse_index_base_b,"axG",@progbits,_ZN9rocsparseL23gebsrmvn_general_kernelILj96ELj32EfEEvi20rocsparse_direction_NS_24const_host_device_scalarIT1_EEPKiS6_PKS3_iiS8_S4_PS3_21rocsparse_index_base_b,comdat
.Lfunc_end36:
	.size	_ZN9rocsparseL23gebsrmvn_general_kernelILj96ELj32EfEEvi20rocsparse_direction_NS_24const_host_device_scalarIT1_EEPKiS6_PKS3_iiS8_S4_PS3_21rocsparse_index_base_b, .Lfunc_end36-_ZN9rocsparseL23gebsrmvn_general_kernelILj96ELj32EfEEvi20rocsparse_direction_NS_24const_host_device_scalarIT1_EEPKiS6_PKS3_iiS8_S4_PS3_21rocsparse_index_base_b
                                        ; -- End function
	.set _ZN9rocsparseL23gebsrmvn_general_kernelILj96ELj32EfEEvi20rocsparse_direction_NS_24const_host_device_scalarIT1_EEPKiS6_PKS3_iiS8_S4_PS3_21rocsparse_index_base_b.num_vgpr, 15
	.set _ZN9rocsparseL23gebsrmvn_general_kernelILj96ELj32EfEEvi20rocsparse_direction_NS_24const_host_device_scalarIT1_EEPKiS6_PKS3_iiS8_S4_PS3_21rocsparse_index_base_b.num_agpr, 0
	.set _ZN9rocsparseL23gebsrmvn_general_kernelILj96ELj32EfEEvi20rocsparse_direction_NS_24const_host_device_scalarIT1_EEPKiS6_PKS3_iiS8_S4_PS3_21rocsparse_index_base_b.numbered_sgpr, 30
	.set _ZN9rocsparseL23gebsrmvn_general_kernelILj96ELj32EfEEvi20rocsparse_direction_NS_24const_host_device_scalarIT1_EEPKiS6_PKS3_iiS8_S4_PS3_21rocsparse_index_base_b.num_named_barrier, 0
	.set _ZN9rocsparseL23gebsrmvn_general_kernelILj96ELj32EfEEvi20rocsparse_direction_NS_24const_host_device_scalarIT1_EEPKiS6_PKS3_iiS8_S4_PS3_21rocsparse_index_base_b.private_seg_size, 0
	.set _ZN9rocsparseL23gebsrmvn_general_kernelILj96ELj32EfEEvi20rocsparse_direction_NS_24const_host_device_scalarIT1_EEPKiS6_PKS3_iiS8_S4_PS3_21rocsparse_index_base_b.uses_vcc, 1
	.set _ZN9rocsparseL23gebsrmvn_general_kernelILj96ELj32EfEEvi20rocsparse_direction_NS_24const_host_device_scalarIT1_EEPKiS6_PKS3_iiS8_S4_PS3_21rocsparse_index_base_b.uses_flat_scratch, 0
	.set _ZN9rocsparseL23gebsrmvn_general_kernelILj96ELj32EfEEvi20rocsparse_direction_NS_24const_host_device_scalarIT1_EEPKiS6_PKS3_iiS8_S4_PS3_21rocsparse_index_base_b.has_dyn_sized_stack, 0
	.set _ZN9rocsparseL23gebsrmvn_general_kernelILj96ELj32EfEEvi20rocsparse_direction_NS_24const_host_device_scalarIT1_EEPKiS6_PKS3_iiS8_S4_PS3_21rocsparse_index_base_b.has_recursion, 0
	.set _ZN9rocsparseL23gebsrmvn_general_kernelILj96ELj32EfEEvi20rocsparse_direction_NS_24const_host_device_scalarIT1_EEPKiS6_PKS3_iiS8_S4_PS3_21rocsparse_index_base_b.has_indirect_call, 0
	.section	.AMDGPU.csdata,"",@progbits
; Kernel info:
; codeLenInByte = 980
; TotalNumSgprs: 32
; NumVgprs: 15
; ScratchSize: 0
; MemoryBound: 0
; FloatMode: 240
; IeeeMode: 1
; LDSByteSize: 0 bytes/workgroup (compile time only)
; SGPRBlocks: 0
; VGPRBlocks: 1
; NumSGPRsForWavesPerEU: 32
; NumVGPRsForWavesPerEU: 15
; Occupancy: 16
; WaveLimiterHint : 1
; COMPUTE_PGM_RSRC2:SCRATCH_EN: 0
; COMPUTE_PGM_RSRC2:USER_SGPR: 6
; COMPUTE_PGM_RSRC2:TRAP_HANDLER: 0
; COMPUTE_PGM_RSRC2:TGID_X_EN: 1
; COMPUTE_PGM_RSRC2:TGID_Y_EN: 0
; COMPUTE_PGM_RSRC2:TGID_Z_EN: 0
; COMPUTE_PGM_RSRC2:TIDIG_COMP_CNT: 0
	.section	.text._ZN9rocsparseL19gebsrmvn_3xn_kernelILj128ELj1ELj4EdEEvi20rocsparse_direction_NS_24const_host_device_scalarIT2_EEPKiS6_PKS3_S8_S4_PS3_21rocsparse_index_base_b,"axG",@progbits,_ZN9rocsparseL19gebsrmvn_3xn_kernelILj128ELj1ELj4EdEEvi20rocsparse_direction_NS_24const_host_device_scalarIT2_EEPKiS6_PKS3_S8_S4_PS3_21rocsparse_index_base_b,comdat
	.globl	_ZN9rocsparseL19gebsrmvn_3xn_kernelILj128ELj1ELj4EdEEvi20rocsparse_direction_NS_24const_host_device_scalarIT2_EEPKiS6_PKS3_S8_S4_PS3_21rocsparse_index_base_b ; -- Begin function _ZN9rocsparseL19gebsrmvn_3xn_kernelILj128ELj1ELj4EdEEvi20rocsparse_direction_NS_24const_host_device_scalarIT2_EEPKiS6_PKS3_S8_S4_PS3_21rocsparse_index_base_b
	.p2align	8
	.type	_ZN9rocsparseL19gebsrmvn_3xn_kernelILj128ELj1ELj4EdEEvi20rocsparse_direction_NS_24const_host_device_scalarIT2_EEPKiS6_PKS3_S8_S4_PS3_21rocsparse_index_base_b,@function
_ZN9rocsparseL19gebsrmvn_3xn_kernelILj128ELj1ELj4EdEEvi20rocsparse_direction_NS_24const_host_device_scalarIT2_EEPKiS6_PKS3_S8_S4_PS3_21rocsparse_index_base_b: ; @_ZN9rocsparseL19gebsrmvn_3xn_kernelILj128ELj1ELj4EdEEvi20rocsparse_direction_NS_24const_host_device_scalarIT2_EEPKiS6_PKS3_S8_S4_PS3_21rocsparse_index_base_b
; %bb.0:
	s_clause 0x2
	s_load_dwordx2 s[2:3], s[4:5], 0x40
	s_load_dwordx2 s[8:9], s[4:5], 0x8
	;; [unrolled: 1-line block ×3, first 2 shown]
	s_waitcnt lgkmcnt(0)
	s_bitcmp1_b32 s3, 0
	v_mov_b32_e32 v1, s8
	v_mov_b32_e32 v2, s9
	s_cselect_b32 s3, -1, 0
	s_and_b32 vcc_lo, exec_lo, s3
	s_xor_b32 s3, s3, -1
	s_cbranch_vccnz .LBB37_2
; %bb.1:
	v_mov_b32_e32 v1, s8
	v_mov_b32_e32 v2, s9
	flat_load_dwordx2 v[1:2], v[1:2]
.LBB37_2:
	v_mov_b32_e32 v4, s1
	v_mov_b32_e32 v3, s0
	s_andn2_b32 vcc_lo, exec_lo, s3
	s_cbranch_vccnz .LBB37_4
; %bb.3:
	v_mov_b32_e32 v4, s1
	v_mov_b32_e32 v3, s0
	flat_load_dwordx2 v[3:4], v[3:4]
.LBB37_4:
	s_waitcnt vmcnt(0) lgkmcnt(0)
	v_cmp_neq_f64_e32 vcc_lo, 0, v[1:2]
	v_cmp_neq_f64_e64 s0, 1.0, v[3:4]
	s_or_b32 s0, vcc_lo, s0
	s_and_saveexec_b32 s1, s0
	s_cbranch_execz .LBB37_23
; %bb.5:
	s_load_dwordx2 s[0:1], s[4:5], 0x0
	v_lshrrev_b32_e32 v5, 2, v0
	v_lshl_or_b32 v5, s6, 5, v5
	s_waitcnt lgkmcnt(0)
	v_cmp_gt_i32_e32 vcc_lo, s0, v5
	s_and_b32 exec_lo, exec_lo, vcc_lo
	s_cbranch_execz .LBB37_23
; %bb.6:
	s_load_dwordx8 s[8:15], s[4:5], 0x10
	v_ashrrev_i32_e32 v6, 31, v5
	v_and_b32_e32 v0, 3, v0
	s_cmp_lg_u32 s1, 0
	v_lshlrev_b64 v[6:7], 2, v[5:6]
	s_waitcnt lgkmcnt(0)
	v_add_co_u32 v6, vcc_lo, s8, v6
	v_add_co_ci_u32_e64 v7, null, s9, v7, vcc_lo
	global_load_dwordx2 v[6:7], v[6:7], off
	s_waitcnt vmcnt(0)
	v_subrev_nc_u32_e32 v6, s2, v6
	v_subrev_nc_u32_e32 v17, s2, v7
	v_add_nc_u32_e32 v12, v6, v0
	v_cmp_lt_i32_e64 s0, v12, v17
	s_cbranch_scc0 .LBB37_12
; %bb.7:
	v_mov_b32_e32 v6, 0
	v_mov_b32_e32 v8, 0
	;; [unrolled: 1-line block ×6, first 2 shown]
	s_and_saveexec_b32 s1, s0
	s_cbranch_execz .LBB37_11
; %bb.8:
	v_mov_b32_e32 v6, 0
	v_mov_b32_e32 v8, 0
	;; [unrolled: 1-line block ×3, first 2 shown]
	v_lshl_add_u32 v13, v12, 1, v12
	v_mov_b32_e32 v7, 0
	v_mov_b32_e32 v14, 0
	v_mov_b32_e32 v9, 0
	v_mov_b32_e32 v11, 0
	v_mov_b32_e32 v15, v12
	s_mov_b32 s3, 0
.LBB37_9:                               ; =>This Inner Loop Header: Depth=1
	v_ashrrev_i32_e32 v16, 31, v15
	v_lshlrev_b64 v[22:23], 3, v[13:14]
	v_add_nc_u32_e32 v20, 2, v13
	v_mov_b32_e32 v21, v14
	v_mov_b32_e32 v24, v14
	v_lshlrev_b64 v[18:19], 2, v[15:16]
	v_add_nc_u32_e32 v15, 4, v15
	v_lshlrev_b64 v[20:21], 3, v[20:21]
	v_add_co_u32 v18, vcc_lo, s10, v18
	v_add_co_ci_u32_e64 v19, null, s11, v19, vcc_lo
	v_add_co_u32 v22, vcc_lo, s12, v22
	v_add_co_ci_u32_e64 v23, null, s13, v23, vcc_lo
	global_load_dword v16, v[18:19], off
	v_add_nc_u32_e32 v18, 1, v13
	v_mov_b32_e32 v19, v14
	global_load_dwordx2 v[25:26], v[22:23], off
	v_add_nc_u32_e32 v13, 12, v13
	v_lshlrev_b64 v[18:19], 3, v[18:19]
	v_add_co_u32 v18, vcc_lo, s12, v18
	v_add_co_ci_u32_e64 v19, null, s13, v19, vcc_lo
	v_add_co_u32 v20, vcc_lo, s12, v20
	v_add_co_ci_u32_e64 v21, null, s13, v21, vcc_lo
	s_waitcnt vmcnt(1)
	v_subrev_nc_u32_e32 v23, s2, v16
	v_lshlrev_b64 v[22:23], 3, v[23:24]
	v_add_co_u32 v22, vcc_lo, s14, v22
	v_add_co_ci_u32_e64 v23, null, s15, v23, vcc_lo
	s_clause 0x1
	global_load_dwordx2 v[18:19], v[18:19], off
	global_load_dwordx2 v[20:21], v[20:21], off
	;; [unrolled: 1-line block ×3, first 2 shown]
	v_cmp_ge_i32_e32 vcc_lo, v15, v17
	s_or_b32 s3, vcc_lo, s3
	s_waitcnt vmcnt(0)
	v_fma_f64 v[6:7], v[25:26], v[22:23], v[6:7]
	v_fma_f64 v[10:11], v[18:19], v[22:23], v[10:11]
	;; [unrolled: 1-line block ×3, first 2 shown]
	s_andn2_b32 exec_lo, exec_lo, s3
	s_cbranch_execnz .LBB37_9
; %bb.10:
	s_or_b32 exec_lo, exec_lo, s3
.LBB37_11:
	s_or_b32 exec_lo, exec_lo, s1
	s_cbranch_execz .LBB37_13
	s_branch .LBB37_18
.LBB37_12:
                                        ; implicit-def: $vgpr6_vgpr7
                                        ; implicit-def: $vgpr8_vgpr9
                                        ; implicit-def: $vgpr10_vgpr11
.LBB37_13:
	v_mov_b32_e32 v6, 0
	v_mov_b32_e32 v8, 0
	;; [unrolled: 1-line block ×6, first 2 shown]
	s_and_saveexec_b32 s1, s0
	s_cbranch_execz .LBB37_17
; %bb.14:
	v_mov_b32_e32 v6, 0
	v_mov_b32_e32 v8, 0
	;; [unrolled: 1-line block ×3, first 2 shown]
	v_lshl_add_u32 v14, v12, 1, v12
	v_mov_b32_e32 v7, 0
	v_mov_b32_e32 v9, 0
	;; [unrolled: 1-line block ×4, first 2 shown]
	s_mov_b32 s0, 0
.LBB37_15:                              ; =>This Inner Loop Header: Depth=1
	v_ashrrev_i32_e32 v13, 31, v12
	v_lshlrev_b64 v[22:23], 3, v[14:15]
	v_add_nc_u32_e32 v20, 2, v14
	v_mov_b32_e32 v21, v15
	v_mov_b32_e32 v24, v15
	v_lshlrev_b64 v[18:19], 2, v[12:13]
	v_add_nc_u32_e32 v12, 4, v12
	v_lshlrev_b64 v[20:21], 3, v[20:21]
	v_add_co_u32 v18, vcc_lo, s10, v18
	v_add_co_ci_u32_e64 v19, null, s11, v19, vcc_lo
	v_add_co_u32 v22, vcc_lo, s12, v22
	v_add_co_ci_u32_e64 v23, null, s13, v23, vcc_lo
	global_load_dword v13, v[18:19], off
	v_add_nc_u32_e32 v18, 1, v14
	v_mov_b32_e32 v19, v15
	global_load_dwordx2 v[25:26], v[22:23], off
	v_add_nc_u32_e32 v14, 12, v14
	v_lshlrev_b64 v[18:19], 3, v[18:19]
	v_add_co_u32 v18, vcc_lo, s12, v18
	v_add_co_ci_u32_e64 v19, null, s13, v19, vcc_lo
	v_add_co_u32 v20, vcc_lo, s12, v20
	v_add_co_ci_u32_e64 v21, null, s13, v21, vcc_lo
	s_waitcnt vmcnt(1)
	v_subrev_nc_u32_e32 v23, s2, v13
	v_lshlrev_b64 v[22:23], 3, v[23:24]
	v_add_co_u32 v22, vcc_lo, s14, v22
	v_add_co_ci_u32_e64 v23, null, s15, v23, vcc_lo
	s_clause 0x1
	global_load_dwordx2 v[18:19], v[18:19], off
	global_load_dwordx2 v[20:21], v[20:21], off
	;; [unrolled: 1-line block ×3, first 2 shown]
	v_cmp_ge_i32_e32 vcc_lo, v12, v17
	s_or_b32 s0, vcc_lo, s0
	s_waitcnt vmcnt(0)
	v_fma_f64 v[6:7], v[25:26], v[22:23], v[6:7]
	v_fma_f64 v[10:11], v[18:19], v[22:23], v[10:11]
	;; [unrolled: 1-line block ×3, first 2 shown]
	s_andn2_b32 exec_lo, exec_lo, s0
	s_cbranch_execnz .LBB37_15
; %bb.16:
	s_or_b32 exec_lo, exec_lo, s0
.LBB37_17:
	s_or_b32 exec_lo, exec_lo, s1
.LBB37_18:
	v_mbcnt_lo_u32_b32 v20, -1, 0
	v_xor_b32_e32 v12, 2, v20
	v_cmp_gt_i32_e32 vcc_lo, 32, v12
	v_cndmask_b32_e32 v12, v20, v12, vcc_lo
	v_lshlrev_b32_e32 v14, 2, v12
	ds_bpermute_b32 v12, v14, v6
	ds_bpermute_b32 v13, v14, v7
	;; [unrolled: 1-line block ×6, first 2 shown]
	s_waitcnt lgkmcnt(4)
	v_add_f64 v[14:15], v[6:7], v[12:13]
	s_waitcnt lgkmcnt(2)
	v_add_f64 v[6:7], v[10:11], v[16:17]
	;; [unrolled: 2-line block ×3, first 2 shown]
	v_xor_b32_e32 v8, 1, v20
	v_cmp_gt_i32_e32 vcc_lo, 32, v8
	v_cndmask_b32_e32 v8, v20, v8, vcc_lo
	v_cmp_eq_u32_e32 vcc_lo, 3, v0
	v_lshlrev_b32_e32 v17, 2, v8
	ds_bpermute_b32 v10, v17, v14
	ds_bpermute_b32 v11, v17, v15
	;; [unrolled: 1-line block ×6, first 2 shown]
	s_and_b32 exec_lo, exec_lo, vcc_lo
	s_cbranch_execz .LBB37_23
; %bb.19:
	s_waitcnt lgkmcnt(4)
	v_add_f64 v[10:11], v[14:15], v[10:11]
	s_waitcnt lgkmcnt(2)
	v_add_f64 v[8:9], v[6:7], v[8:9]
	;; [unrolled: 2-line block ×3, first 2 shown]
	s_load_dwordx2 s[0:1], s[4:5], 0x38
	s_mov_b32 s2, exec_lo
	v_cmpx_eq_f64_e32 0, v[3:4]
	s_xor_b32 s2, exec_lo, s2
	s_cbranch_execz .LBB37_21
; %bb.20:
	v_lshl_add_u32 v0, v5, 1, v5
	v_mul_f64 v[10:11], v[1:2], v[10:11]
	v_mul_f64 v[12:13], v[1:2], v[8:9]
	;; [unrolled: 1-line block ×3, first 2 shown]
                                        ; implicit-def: $vgpr5
                                        ; implicit-def: $vgpr8_vgpr9
                                        ; implicit-def: $vgpr6_vgpr7
	v_ashrrev_i32_e32 v1, 31, v0
	v_lshlrev_b64 v[0:1], 3, v[0:1]
	s_waitcnt lgkmcnt(0)
	v_add_co_u32 v0, vcc_lo, s0, v0
	v_add_co_ci_u32_e64 v1, null, s1, v1, vcc_lo
	global_store_dwordx4 v[0:1], v[10:13], off
	global_store_dwordx2 v[0:1], v[2:3], off offset:16
                                        ; implicit-def: $vgpr1_vgpr2
                                        ; implicit-def: $vgpr10_vgpr11
                                        ; implicit-def: $vgpr3_vgpr4
.LBB37_21:
	s_andn2_saveexec_b32 s2, s2
	s_cbranch_execz .LBB37_23
; %bb.22:
	v_lshl_add_u32 v12, v5, 1, v5
	v_mul_f64 v[10:11], v[1:2], v[10:11]
	v_mul_f64 v[8:9], v[1:2], v[8:9]
	;; [unrolled: 1-line block ×3, first 2 shown]
	v_ashrrev_i32_e32 v13, 31, v12
	v_lshlrev_b64 v[12:13], 3, v[12:13]
	s_waitcnt lgkmcnt(0)
	v_add_co_u32 v16, vcc_lo, s0, v12
	v_add_co_ci_u32_e64 v17, null, s1, v13, vcc_lo
	s_clause 0x1
	global_load_dwordx4 v[12:15], v[16:17], off
	global_load_dwordx2 v[18:19], v[16:17], off offset:16
	s_waitcnt vmcnt(1)
	v_fma_f64 v[5:6], v[3:4], v[12:13], v[10:11]
	v_fma_f64 v[7:8], v[3:4], v[14:15], v[8:9]
	s_waitcnt vmcnt(0)
	v_fma_f64 v[0:1], v[3:4], v[18:19], v[0:1]
	global_store_dwordx4 v[16:17], v[5:8], off
	global_store_dwordx2 v[16:17], v[0:1], off offset:16
.LBB37_23:
	s_endpgm
	.section	.rodata,"a",@progbits
	.p2align	6, 0x0
	.amdhsa_kernel _ZN9rocsparseL19gebsrmvn_3xn_kernelILj128ELj1ELj4EdEEvi20rocsparse_direction_NS_24const_host_device_scalarIT2_EEPKiS6_PKS3_S8_S4_PS3_21rocsparse_index_base_b
		.amdhsa_group_segment_fixed_size 0
		.amdhsa_private_segment_fixed_size 0
		.amdhsa_kernarg_size 72
		.amdhsa_user_sgpr_count 6
		.amdhsa_user_sgpr_private_segment_buffer 1
		.amdhsa_user_sgpr_dispatch_ptr 0
		.amdhsa_user_sgpr_queue_ptr 0
		.amdhsa_user_sgpr_kernarg_segment_ptr 1
		.amdhsa_user_sgpr_dispatch_id 0
		.amdhsa_user_sgpr_flat_scratch_init 0
		.amdhsa_user_sgpr_private_segment_size 0
		.amdhsa_wavefront_size32 1
		.amdhsa_uses_dynamic_stack 0
		.amdhsa_system_sgpr_private_segment_wavefront_offset 0
		.amdhsa_system_sgpr_workgroup_id_x 1
		.amdhsa_system_sgpr_workgroup_id_y 0
		.amdhsa_system_sgpr_workgroup_id_z 0
		.amdhsa_system_sgpr_workgroup_info 0
		.amdhsa_system_vgpr_workitem_id 0
		.amdhsa_next_free_vgpr 27
		.amdhsa_next_free_sgpr 16
		.amdhsa_reserve_vcc 1
		.amdhsa_reserve_flat_scratch 0
		.amdhsa_float_round_mode_32 0
		.amdhsa_float_round_mode_16_64 0
		.amdhsa_float_denorm_mode_32 3
		.amdhsa_float_denorm_mode_16_64 3
		.amdhsa_dx10_clamp 1
		.amdhsa_ieee_mode 1
		.amdhsa_fp16_overflow 0
		.amdhsa_workgroup_processor_mode 1
		.amdhsa_memory_ordered 1
		.amdhsa_forward_progress 1
		.amdhsa_shared_vgpr_count 0
		.amdhsa_exception_fp_ieee_invalid_op 0
		.amdhsa_exception_fp_denorm_src 0
		.amdhsa_exception_fp_ieee_div_zero 0
		.amdhsa_exception_fp_ieee_overflow 0
		.amdhsa_exception_fp_ieee_underflow 0
		.amdhsa_exception_fp_ieee_inexact 0
		.amdhsa_exception_int_div_zero 0
	.end_amdhsa_kernel
	.section	.text._ZN9rocsparseL19gebsrmvn_3xn_kernelILj128ELj1ELj4EdEEvi20rocsparse_direction_NS_24const_host_device_scalarIT2_EEPKiS6_PKS3_S8_S4_PS3_21rocsparse_index_base_b,"axG",@progbits,_ZN9rocsparseL19gebsrmvn_3xn_kernelILj128ELj1ELj4EdEEvi20rocsparse_direction_NS_24const_host_device_scalarIT2_EEPKiS6_PKS3_S8_S4_PS3_21rocsparse_index_base_b,comdat
.Lfunc_end37:
	.size	_ZN9rocsparseL19gebsrmvn_3xn_kernelILj128ELj1ELj4EdEEvi20rocsparse_direction_NS_24const_host_device_scalarIT2_EEPKiS6_PKS3_S8_S4_PS3_21rocsparse_index_base_b, .Lfunc_end37-_ZN9rocsparseL19gebsrmvn_3xn_kernelILj128ELj1ELj4EdEEvi20rocsparse_direction_NS_24const_host_device_scalarIT2_EEPKiS6_PKS3_S8_S4_PS3_21rocsparse_index_base_b
                                        ; -- End function
	.set _ZN9rocsparseL19gebsrmvn_3xn_kernelILj128ELj1ELj4EdEEvi20rocsparse_direction_NS_24const_host_device_scalarIT2_EEPKiS6_PKS3_S8_S4_PS3_21rocsparse_index_base_b.num_vgpr, 27
	.set _ZN9rocsparseL19gebsrmvn_3xn_kernelILj128ELj1ELj4EdEEvi20rocsparse_direction_NS_24const_host_device_scalarIT2_EEPKiS6_PKS3_S8_S4_PS3_21rocsparse_index_base_b.num_agpr, 0
	.set _ZN9rocsparseL19gebsrmvn_3xn_kernelILj128ELj1ELj4EdEEvi20rocsparse_direction_NS_24const_host_device_scalarIT2_EEPKiS6_PKS3_S8_S4_PS3_21rocsparse_index_base_b.numbered_sgpr, 16
	.set _ZN9rocsparseL19gebsrmvn_3xn_kernelILj128ELj1ELj4EdEEvi20rocsparse_direction_NS_24const_host_device_scalarIT2_EEPKiS6_PKS3_S8_S4_PS3_21rocsparse_index_base_b.num_named_barrier, 0
	.set _ZN9rocsparseL19gebsrmvn_3xn_kernelILj128ELj1ELj4EdEEvi20rocsparse_direction_NS_24const_host_device_scalarIT2_EEPKiS6_PKS3_S8_S4_PS3_21rocsparse_index_base_b.private_seg_size, 0
	.set _ZN9rocsparseL19gebsrmvn_3xn_kernelILj128ELj1ELj4EdEEvi20rocsparse_direction_NS_24const_host_device_scalarIT2_EEPKiS6_PKS3_S8_S4_PS3_21rocsparse_index_base_b.uses_vcc, 1
	.set _ZN9rocsparseL19gebsrmvn_3xn_kernelILj128ELj1ELj4EdEEvi20rocsparse_direction_NS_24const_host_device_scalarIT2_EEPKiS6_PKS3_S8_S4_PS3_21rocsparse_index_base_b.uses_flat_scratch, 0
	.set _ZN9rocsparseL19gebsrmvn_3xn_kernelILj128ELj1ELj4EdEEvi20rocsparse_direction_NS_24const_host_device_scalarIT2_EEPKiS6_PKS3_S8_S4_PS3_21rocsparse_index_base_b.has_dyn_sized_stack, 0
	.set _ZN9rocsparseL19gebsrmvn_3xn_kernelILj128ELj1ELj4EdEEvi20rocsparse_direction_NS_24const_host_device_scalarIT2_EEPKiS6_PKS3_S8_S4_PS3_21rocsparse_index_base_b.has_recursion, 0
	.set _ZN9rocsparseL19gebsrmvn_3xn_kernelILj128ELj1ELj4EdEEvi20rocsparse_direction_NS_24const_host_device_scalarIT2_EEPKiS6_PKS3_S8_S4_PS3_21rocsparse_index_base_b.has_indirect_call, 0
	.section	.AMDGPU.csdata,"",@progbits
; Kernel info:
; codeLenInByte = 1392
; TotalNumSgprs: 18
; NumVgprs: 27
; ScratchSize: 0
; MemoryBound: 0
; FloatMode: 240
; IeeeMode: 1
; LDSByteSize: 0 bytes/workgroup (compile time only)
; SGPRBlocks: 0
; VGPRBlocks: 3
; NumSGPRsForWavesPerEU: 18
; NumVGPRsForWavesPerEU: 27
; Occupancy: 16
; WaveLimiterHint : 1
; COMPUTE_PGM_RSRC2:SCRATCH_EN: 0
; COMPUTE_PGM_RSRC2:USER_SGPR: 6
; COMPUTE_PGM_RSRC2:TRAP_HANDLER: 0
; COMPUTE_PGM_RSRC2:TGID_X_EN: 1
; COMPUTE_PGM_RSRC2:TGID_Y_EN: 0
; COMPUTE_PGM_RSRC2:TGID_Z_EN: 0
; COMPUTE_PGM_RSRC2:TIDIG_COMP_CNT: 0
	.section	.text._ZN9rocsparseL19gebsrmvn_3xn_kernelILj128ELj1ELj8EdEEvi20rocsparse_direction_NS_24const_host_device_scalarIT2_EEPKiS6_PKS3_S8_S4_PS3_21rocsparse_index_base_b,"axG",@progbits,_ZN9rocsparseL19gebsrmvn_3xn_kernelILj128ELj1ELj8EdEEvi20rocsparse_direction_NS_24const_host_device_scalarIT2_EEPKiS6_PKS3_S8_S4_PS3_21rocsparse_index_base_b,comdat
	.globl	_ZN9rocsparseL19gebsrmvn_3xn_kernelILj128ELj1ELj8EdEEvi20rocsparse_direction_NS_24const_host_device_scalarIT2_EEPKiS6_PKS3_S8_S4_PS3_21rocsparse_index_base_b ; -- Begin function _ZN9rocsparseL19gebsrmvn_3xn_kernelILj128ELj1ELj8EdEEvi20rocsparse_direction_NS_24const_host_device_scalarIT2_EEPKiS6_PKS3_S8_S4_PS3_21rocsparse_index_base_b
	.p2align	8
	.type	_ZN9rocsparseL19gebsrmvn_3xn_kernelILj128ELj1ELj8EdEEvi20rocsparse_direction_NS_24const_host_device_scalarIT2_EEPKiS6_PKS3_S8_S4_PS3_21rocsparse_index_base_b,@function
_ZN9rocsparseL19gebsrmvn_3xn_kernelILj128ELj1ELj8EdEEvi20rocsparse_direction_NS_24const_host_device_scalarIT2_EEPKiS6_PKS3_S8_S4_PS3_21rocsparse_index_base_b: ; @_ZN9rocsparseL19gebsrmvn_3xn_kernelILj128ELj1ELj8EdEEvi20rocsparse_direction_NS_24const_host_device_scalarIT2_EEPKiS6_PKS3_S8_S4_PS3_21rocsparse_index_base_b
; %bb.0:
	s_clause 0x2
	s_load_dwordx2 s[2:3], s[4:5], 0x40
	s_load_dwordx2 s[8:9], s[4:5], 0x8
	;; [unrolled: 1-line block ×3, first 2 shown]
	s_waitcnt lgkmcnt(0)
	s_bitcmp1_b32 s3, 0
	v_mov_b32_e32 v1, s8
	v_mov_b32_e32 v2, s9
	s_cselect_b32 s3, -1, 0
	s_and_b32 vcc_lo, exec_lo, s3
	s_xor_b32 s3, s3, -1
	s_cbranch_vccnz .LBB38_2
; %bb.1:
	v_mov_b32_e32 v1, s8
	v_mov_b32_e32 v2, s9
	flat_load_dwordx2 v[1:2], v[1:2]
.LBB38_2:
	v_mov_b32_e32 v4, s1
	v_mov_b32_e32 v3, s0
	s_andn2_b32 vcc_lo, exec_lo, s3
	s_cbranch_vccnz .LBB38_4
; %bb.3:
	v_mov_b32_e32 v4, s1
	v_mov_b32_e32 v3, s0
	flat_load_dwordx2 v[3:4], v[3:4]
.LBB38_4:
	s_waitcnt vmcnt(0) lgkmcnt(0)
	v_cmp_neq_f64_e32 vcc_lo, 0, v[1:2]
	v_cmp_neq_f64_e64 s0, 1.0, v[3:4]
	s_or_b32 s0, vcc_lo, s0
	s_and_saveexec_b32 s1, s0
	s_cbranch_execz .LBB38_23
; %bb.5:
	s_load_dwordx2 s[0:1], s[4:5], 0x0
	v_lshrrev_b32_e32 v5, 3, v0
	v_lshl_or_b32 v5, s6, 4, v5
	s_waitcnt lgkmcnt(0)
	v_cmp_gt_i32_e32 vcc_lo, s0, v5
	s_and_b32 exec_lo, exec_lo, vcc_lo
	s_cbranch_execz .LBB38_23
; %bb.6:
	s_load_dwordx8 s[8:15], s[4:5], 0x10
	v_ashrrev_i32_e32 v6, 31, v5
	v_and_b32_e32 v0, 7, v0
	s_cmp_lg_u32 s1, 0
	v_lshlrev_b64 v[6:7], 2, v[5:6]
	s_waitcnt lgkmcnt(0)
	v_add_co_u32 v6, vcc_lo, s8, v6
	v_add_co_ci_u32_e64 v7, null, s9, v7, vcc_lo
	global_load_dwordx2 v[6:7], v[6:7], off
	s_waitcnt vmcnt(0)
	v_subrev_nc_u32_e32 v6, s2, v6
	v_subrev_nc_u32_e32 v17, s2, v7
	v_add_nc_u32_e32 v12, v6, v0
	v_cmp_lt_i32_e64 s0, v12, v17
	s_cbranch_scc0 .LBB38_12
; %bb.7:
	v_mov_b32_e32 v6, 0
	v_mov_b32_e32 v8, 0
	;; [unrolled: 1-line block ×6, first 2 shown]
	s_and_saveexec_b32 s1, s0
	s_cbranch_execz .LBB38_11
; %bb.8:
	v_mov_b32_e32 v6, 0
	v_mov_b32_e32 v8, 0
	;; [unrolled: 1-line block ×3, first 2 shown]
	v_lshl_add_u32 v13, v12, 1, v12
	v_mov_b32_e32 v7, 0
	v_mov_b32_e32 v14, 0
	;; [unrolled: 1-line block ×5, first 2 shown]
	s_mov_b32 s3, 0
.LBB38_9:                               ; =>This Inner Loop Header: Depth=1
	v_ashrrev_i32_e32 v16, 31, v15
	v_lshlrev_b64 v[22:23], 3, v[13:14]
	v_add_nc_u32_e32 v20, 2, v13
	v_mov_b32_e32 v21, v14
	v_mov_b32_e32 v24, v14
	v_lshlrev_b64 v[18:19], 2, v[15:16]
	v_add_nc_u32_e32 v15, 8, v15
	v_lshlrev_b64 v[20:21], 3, v[20:21]
	v_add_co_u32 v18, vcc_lo, s10, v18
	v_add_co_ci_u32_e64 v19, null, s11, v19, vcc_lo
	v_add_co_u32 v22, vcc_lo, s12, v22
	v_add_co_ci_u32_e64 v23, null, s13, v23, vcc_lo
	global_load_dword v16, v[18:19], off
	v_add_nc_u32_e32 v18, 1, v13
	v_mov_b32_e32 v19, v14
	global_load_dwordx2 v[25:26], v[22:23], off
	v_add_nc_u32_e32 v13, 24, v13
	v_lshlrev_b64 v[18:19], 3, v[18:19]
	v_add_co_u32 v18, vcc_lo, s12, v18
	v_add_co_ci_u32_e64 v19, null, s13, v19, vcc_lo
	v_add_co_u32 v20, vcc_lo, s12, v20
	v_add_co_ci_u32_e64 v21, null, s13, v21, vcc_lo
	s_waitcnt vmcnt(1)
	v_subrev_nc_u32_e32 v23, s2, v16
	v_lshlrev_b64 v[22:23], 3, v[23:24]
	v_add_co_u32 v22, vcc_lo, s14, v22
	v_add_co_ci_u32_e64 v23, null, s15, v23, vcc_lo
	s_clause 0x1
	global_load_dwordx2 v[18:19], v[18:19], off
	global_load_dwordx2 v[20:21], v[20:21], off
	;; [unrolled: 1-line block ×3, first 2 shown]
	v_cmp_ge_i32_e32 vcc_lo, v15, v17
	s_or_b32 s3, vcc_lo, s3
	s_waitcnt vmcnt(0)
	v_fma_f64 v[6:7], v[25:26], v[22:23], v[6:7]
	v_fma_f64 v[10:11], v[18:19], v[22:23], v[10:11]
	;; [unrolled: 1-line block ×3, first 2 shown]
	s_andn2_b32 exec_lo, exec_lo, s3
	s_cbranch_execnz .LBB38_9
; %bb.10:
	s_or_b32 exec_lo, exec_lo, s3
.LBB38_11:
	s_or_b32 exec_lo, exec_lo, s1
	s_cbranch_execz .LBB38_13
	s_branch .LBB38_18
.LBB38_12:
                                        ; implicit-def: $vgpr6_vgpr7
                                        ; implicit-def: $vgpr8_vgpr9
                                        ; implicit-def: $vgpr10_vgpr11
.LBB38_13:
	v_mov_b32_e32 v6, 0
	v_mov_b32_e32 v8, 0
	;; [unrolled: 1-line block ×6, first 2 shown]
	s_and_saveexec_b32 s1, s0
	s_cbranch_execz .LBB38_17
; %bb.14:
	v_mov_b32_e32 v6, 0
	v_mov_b32_e32 v8, 0
	v_mov_b32_e32 v10, 0
	v_lshl_add_u32 v14, v12, 1, v12
	v_mov_b32_e32 v7, 0
	v_mov_b32_e32 v9, 0
	v_mov_b32_e32 v11, 0
	v_mov_b32_e32 v15, 0
	s_mov_b32 s0, 0
.LBB38_15:                              ; =>This Inner Loop Header: Depth=1
	v_ashrrev_i32_e32 v13, 31, v12
	v_lshlrev_b64 v[22:23], 3, v[14:15]
	v_add_nc_u32_e32 v20, 2, v14
	v_mov_b32_e32 v21, v15
	v_mov_b32_e32 v24, v15
	v_lshlrev_b64 v[18:19], 2, v[12:13]
	v_add_nc_u32_e32 v12, 8, v12
	v_lshlrev_b64 v[20:21], 3, v[20:21]
	v_add_co_u32 v18, vcc_lo, s10, v18
	v_add_co_ci_u32_e64 v19, null, s11, v19, vcc_lo
	v_add_co_u32 v22, vcc_lo, s12, v22
	v_add_co_ci_u32_e64 v23, null, s13, v23, vcc_lo
	global_load_dword v13, v[18:19], off
	v_add_nc_u32_e32 v18, 1, v14
	v_mov_b32_e32 v19, v15
	global_load_dwordx2 v[25:26], v[22:23], off
	v_add_nc_u32_e32 v14, 24, v14
	v_lshlrev_b64 v[18:19], 3, v[18:19]
	v_add_co_u32 v18, vcc_lo, s12, v18
	v_add_co_ci_u32_e64 v19, null, s13, v19, vcc_lo
	v_add_co_u32 v20, vcc_lo, s12, v20
	v_add_co_ci_u32_e64 v21, null, s13, v21, vcc_lo
	s_waitcnt vmcnt(1)
	v_subrev_nc_u32_e32 v23, s2, v13
	v_lshlrev_b64 v[22:23], 3, v[23:24]
	v_add_co_u32 v22, vcc_lo, s14, v22
	v_add_co_ci_u32_e64 v23, null, s15, v23, vcc_lo
	s_clause 0x1
	global_load_dwordx2 v[18:19], v[18:19], off
	global_load_dwordx2 v[20:21], v[20:21], off
	;; [unrolled: 1-line block ×3, first 2 shown]
	v_cmp_ge_i32_e32 vcc_lo, v12, v17
	s_or_b32 s0, vcc_lo, s0
	s_waitcnt vmcnt(0)
	v_fma_f64 v[6:7], v[25:26], v[22:23], v[6:7]
	v_fma_f64 v[10:11], v[18:19], v[22:23], v[10:11]
	;; [unrolled: 1-line block ×3, first 2 shown]
	s_andn2_b32 exec_lo, exec_lo, s0
	s_cbranch_execnz .LBB38_15
; %bb.16:
	s_or_b32 exec_lo, exec_lo, s0
.LBB38_17:
	s_or_b32 exec_lo, exec_lo, s1
.LBB38_18:
	v_mbcnt_lo_u32_b32 v18, -1, 0
	v_xor_b32_e32 v12, 4, v18
	v_cmp_gt_i32_e32 vcc_lo, 32, v12
	v_cndmask_b32_e32 v12, v18, v12, vcc_lo
	v_lshlrev_b32_e32 v17, 2, v12
	ds_bpermute_b32 v12, v17, v6
	ds_bpermute_b32 v13, v17, v7
	;; [unrolled: 1-line block ×6, first 2 shown]
	s_waitcnt lgkmcnt(4)
	v_add_f64 v[6:7], v[6:7], v[12:13]
	s_waitcnt lgkmcnt(2)
	v_add_f64 v[10:11], v[10:11], v[14:15]
	;; [unrolled: 2-line block ×3, first 2 shown]
	v_xor_b32_e32 v8, 2, v18
	v_cmp_gt_i32_e32 vcc_lo, 32, v8
	v_cndmask_b32_e32 v8, v18, v8, vcc_lo
	v_lshlrev_b32_e32 v17, 2, v8
	ds_bpermute_b32 v8, v17, v6
	ds_bpermute_b32 v9, v17, v7
	;; [unrolled: 1-line block ×6, first 2 shown]
	s_waitcnt lgkmcnt(4)
	v_add_f64 v[8:9], v[6:7], v[8:9]
	s_waitcnt lgkmcnt(2)
	v_add_f64 v[6:7], v[10:11], v[14:15]
	v_xor_b32_e32 v10, 1, v18
	s_waitcnt lgkmcnt(0)
	v_add_f64 v[12:13], v[12:13], v[16:17]
	v_cmp_gt_i32_e32 vcc_lo, 32, v10
	v_cndmask_b32_e32 v10, v18, v10, vcc_lo
	v_cmp_eq_u32_e32 vcc_lo, 7, v0
	v_lshlrev_b32_e32 v15, 2, v10
	ds_bpermute_b32 v10, v15, v8
	ds_bpermute_b32 v11, v15, v9
	;; [unrolled: 1-line block ×6, first 2 shown]
	s_and_b32 exec_lo, exec_lo, vcc_lo
	s_cbranch_execz .LBB38_23
; %bb.19:
	s_waitcnt lgkmcnt(4)
	v_add_f64 v[10:11], v[8:9], v[10:11]
	s_waitcnt lgkmcnt(2)
	v_add_f64 v[8:9], v[6:7], v[16:17]
	;; [unrolled: 2-line block ×3, first 2 shown]
	s_load_dwordx2 s[0:1], s[4:5], 0x38
	s_mov_b32 s2, exec_lo
	v_cmpx_eq_f64_e32 0, v[3:4]
	s_xor_b32 s2, exec_lo, s2
	s_cbranch_execz .LBB38_21
; %bb.20:
	v_lshl_add_u32 v0, v5, 1, v5
	v_mul_f64 v[10:11], v[1:2], v[10:11]
	v_mul_f64 v[12:13], v[1:2], v[8:9]
	;; [unrolled: 1-line block ×3, first 2 shown]
                                        ; implicit-def: $vgpr5
                                        ; implicit-def: $vgpr8_vgpr9
                                        ; implicit-def: $vgpr6_vgpr7
	v_ashrrev_i32_e32 v1, 31, v0
	v_lshlrev_b64 v[0:1], 3, v[0:1]
	s_waitcnt lgkmcnt(0)
	v_add_co_u32 v0, vcc_lo, s0, v0
	v_add_co_ci_u32_e64 v1, null, s1, v1, vcc_lo
	global_store_dwordx4 v[0:1], v[10:13], off
	global_store_dwordx2 v[0:1], v[2:3], off offset:16
                                        ; implicit-def: $vgpr1_vgpr2
                                        ; implicit-def: $vgpr10_vgpr11
                                        ; implicit-def: $vgpr3_vgpr4
.LBB38_21:
	s_andn2_saveexec_b32 s2, s2
	s_cbranch_execz .LBB38_23
; %bb.22:
	v_lshl_add_u32 v12, v5, 1, v5
	v_mul_f64 v[10:11], v[1:2], v[10:11]
	v_mul_f64 v[8:9], v[1:2], v[8:9]
	;; [unrolled: 1-line block ×3, first 2 shown]
	v_ashrrev_i32_e32 v13, 31, v12
	v_lshlrev_b64 v[12:13], 3, v[12:13]
	s_waitcnt lgkmcnt(0)
	v_add_co_u32 v16, vcc_lo, s0, v12
	v_add_co_ci_u32_e64 v17, null, s1, v13, vcc_lo
	s_clause 0x1
	global_load_dwordx4 v[12:15], v[16:17], off
	global_load_dwordx2 v[18:19], v[16:17], off offset:16
	s_waitcnt vmcnt(1)
	v_fma_f64 v[5:6], v[3:4], v[12:13], v[10:11]
	v_fma_f64 v[7:8], v[3:4], v[14:15], v[8:9]
	s_waitcnt vmcnt(0)
	v_fma_f64 v[0:1], v[3:4], v[18:19], v[0:1]
	global_store_dwordx4 v[16:17], v[5:8], off
	global_store_dwordx2 v[16:17], v[0:1], off offset:16
.LBB38_23:
	s_endpgm
	.section	.rodata,"a",@progbits
	.p2align	6, 0x0
	.amdhsa_kernel _ZN9rocsparseL19gebsrmvn_3xn_kernelILj128ELj1ELj8EdEEvi20rocsparse_direction_NS_24const_host_device_scalarIT2_EEPKiS6_PKS3_S8_S4_PS3_21rocsparse_index_base_b
		.amdhsa_group_segment_fixed_size 0
		.amdhsa_private_segment_fixed_size 0
		.amdhsa_kernarg_size 72
		.amdhsa_user_sgpr_count 6
		.amdhsa_user_sgpr_private_segment_buffer 1
		.amdhsa_user_sgpr_dispatch_ptr 0
		.amdhsa_user_sgpr_queue_ptr 0
		.amdhsa_user_sgpr_kernarg_segment_ptr 1
		.amdhsa_user_sgpr_dispatch_id 0
		.amdhsa_user_sgpr_flat_scratch_init 0
		.amdhsa_user_sgpr_private_segment_size 0
		.amdhsa_wavefront_size32 1
		.amdhsa_uses_dynamic_stack 0
		.amdhsa_system_sgpr_private_segment_wavefront_offset 0
		.amdhsa_system_sgpr_workgroup_id_x 1
		.amdhsa_system_sgpr_workgroup_id_y 0
		.amdhsa_system_sgpr_workgroup_id_z 0
		.amdhsa_system_sgpr_workgroup_info 0
		.amdhsa_system_vgpr_workitem_id 0
		.amdhsa_next_free_vgpr 27
		.amdhsa_next_free_sgpr 16
		.amdhsa_reserve_vcc 1
		.amdhsa_reserve_flat_scratch 0
		.amdhsa_float_round_mode_32 0
		.amdhsa_float_round_mode_16_64 0
		.amdhsa_float_denorm_mode_32 3
		.amdhsa_float_denorm_mode_16_64 3
		.amdhsa_dx10_clamp 1
		.amdhsa_ieee_mode 1
		.amdhsa_fp16_overflow 0
		.amdhsa_workgroup_processor_mode 1
		.amdhsa_memory_ordered 1
		.amdhsa_forward_progress 1
		.amdhsa_shared_vgpr_count 0
		.amdhsa_exception_fp_ieee_invalid_op 0
		.amdhsa_exception_fp_denorm_src 0
		.amdhsa_exception_fp_ieee_div_zero 0
		.amdhsa_exception_fp_ieee_overflow 0
		.amdhsa_exception_fp_ieee_underflow 0
		.amdhsa_exception_fp_ieee_inexact 0
		.amdhsa_exception_int_div_zero 0
	.end_amdhsa_kernel
	.section	.text._ZN9rocsparseL19gebsrmvn_3xn_kernelILj128ELj1ELj8EdEEvi20rocsparse_direction_NS_24const_host_device_scalarIT2_EEPKiS6_PKS3_S8_S4_PS3_21rocsparse_index_base_b,"axG",@progbits,_ZN9rocsparseL19gebsrmvn_3xn_kernelILj128ELj1ELj8EdEEvi20rocsparse_direction_NS_24const_host_device_scalarIT2_EEPKiS6_PKS3_S8_S4_PS3_21rocsparse_index_base_b,comdat
.Lfunc_end38:
	.size	_ZN9rocsparseL19gebsrmvn_3xn_kernelILj128ELj1ELj8EdEEvi20rocsparse_direction_NS_24const_host_device_scalarIT2_EEPKiS6_PKS3_S8_S4_PS3_21rocsparse_index_base_b, .Lfunc_end38-_ZN9rocsparseL19gebsrmvn_3xn_kernelILj128ELj1ELj8EdEEvi20rocsparse_direction_NS_24const_host_device_scalarIT2_EEPKiS6_PKS3_S8_S4_PS3_21rocsparse_index_base_b
                                        ; -- End function
	.set _ZN9rocsparseL19gebsrmvn_3xn_kernelILj128ELj1ELj8EdEEvi20rocsparse_direction_NS_24const_host_device_scalarIT2_EEPKiS6_PKS3_S8_S4_PS3_21rocsparse_index_base_b.num_vgpr, 27
	.set _ZN9rocsparseL19gebsrmvn_3xn_kernelILj128ELj1ELj8EdEEvi20rocsparse_direction_NS_24const_host_device_scalarIT2_EEPKiS6_PKS3_S8_S4_PS3_21rocsparse_index_base_b.num_agpr, 0
	.set _ZN9rocsparseL19gebsrmvn_3xn_kernelILj128ELj1ELj8EdEEvi20rocsparse_direction_NS_24const_host_device_scalarIT2_EEPKiS6_PKS3_S8_S4_PS3_21rocsparse_index_base_b.numbered_sgpr, 16
	.set _ZN9rocsparseL19gebsrmvn_3xn_kernelILj128ELj1ELj8EdEEvi20rocsparse_direction_NS_24const_host_device_scalarIT2_EEPKiS6_PKS3_S8_S4_PS3_21rocsparse_index_base_b.num_named_barrier, 0
	.set _ZN9rocsparseL19gebsrmvn_3xn_kernelILj128ELj1ELj8EdEEvi20rocsparse_direction_NS_24const_host_device_scalarIT2_EEPKiS6_PKS3_S8_S4_PS3_21rocsparse_index_base_b.private_seg_size, 0
	.set _ZN9rocsparseL19gebsrmvn_3xn_kernelILj128ELj1ELj8EdEEvi20rocsparse_direction_NS_24const_host_device_scalarIT2_EEPKiS6_PKS3_S8_S4_PS3_21rocsparse_index_base_b.uses_vcc, 1
	.set _ZN9rocsparseL19gebsrmvn_3xn_kernelILj128ELj1ELj8EdEEvi20rocsparse_direction_NS_24const_host_device_scalarIT2_EEPKiS6_PKS3_S8_S4_PS3_21rocsparse_index_base_b.uses_flat_scratch, 0
	.set _ZN9rocsparseL19gebsrmvn_3xn_kernelILj128ELj1ELj8EdEEvi20rocsparse_direction_NS_24const_host_device_scalarIT2_EEPKiS6_PKS3_S8_S4_PS3_21rocsparse_index_base_b.has_dyn_sized_stack, 0
	.set _ZN9rocsparseL19gebsrmvn_3xn_kernelILj128ELj1ELj8EdEEvi20rocsparse_direction_NS_24const_host_device_scalarIT2_EEPKiS6_PKS3_S8_S4_PS3_21rocsparse_index_base_b.has_recursion, 0
	.set _ZN9rocsparseL19gebsrmvn_3xn_kernelILj128ELj1ELj8EdEEvi20rocsparse_direction_NS_24const_host_device_scalarIT2_EEPKiS6_PKS3_S8_S4_PS3_21rocsparse_index_base_b.has_indirect_call, 0
	.section	.AMDGPU.csdata,"",@progbits
; Kernel info:
; codeLenInByte = 1492
; TotalNumSgprs: 18
; NumVgprs: 27
; ScratchSize: 0
; MemoryBound: 0
; FloatMode: 240
; IeeeMode: 1
; LDSByteSize: 0 bytes/workgroup (compile time only)
; SGPRBlocks: 0
; VGPRBlocks: 3
; NumSGPRsForWavesPerEU: 18
; NumVGPRsForWavesPerEU: 27
; Occupancy: 16
; WaveLimiterHint : 1
; COMPUTE_PGM_RSRC2:SCRATCH_EN: 0
; COMPUTE_PGM_RSRC2:USER_SGPR: 6
; COMPUTE_PGM_RSRC2:TRAP_HANDLER: 0
; COMPUTE_PGM_RSRC2:TGID_X_EN: 1
; COMPUTE_PGM_RSRC2:TGID_Y_EN: 0
; COMPUTE_PGM_RSRC2:TGID_Z_EN: 0
; COMPUTE_PGM_RSRC2:TIDIG_COMP_CNT: 0
	.section	.text._ZN9rocsparseL19gebsrmvn_3xn_kernelILj128ELj1ELj16EdEEvi20rocsparse_direction_NS_24const_host_device_scalarIT2_EEPKiS6_PKS3_S8_S4_PS3_21rocsparse_index_base_b,"axG",@progbits,_ZN9rocsparseL19gebsrmvn_3xn_kernelILj128ELj1ELj16EdEEvi20rocsparse_direction_NS_24const_host_device_scalarIT2_EEPKiS6_PKS3_S8_S4_PS3_21rocsparse_index_base_b,comdat
	.globl	_ZN9rocsparseL19gebsrmvn_3xn_kernelILj128ELj1ELj16EdEEvi20rocsparse_direction_NS_24const_host_device_scalarIT2_EEPKiS6_PKS3_S8_S4_PS3_21rocsparse_index_base_b ; -- Begin function _ZN9rocsparseL19gebsrmvn_3xn_kernelILj128ELj1ELj16EdEEvi20rocsparse_direction_NS_24const_host_device_scalarIT2_EEPKiS6_PKS3_S8_S4_PS3_21rocsparse_index_base_b
	.p2align	8
	.type	_ZN9rocsparseL19gebsrmvn_3xn_kernelILj128ELj1ELj16EdEEvi20rocsparse_direction_NS_24const_host_device_scalarIT2_EEPKiS6_PKS3_S8_S4_PS3_21rocsparse_index_base_b,@function
_ZN9rocsparseL19gebsrmvn_3xn_kernelILj128ELj1ELj16EdEEvi20rocsparse_direction_NS_24const_host_device_scalarIT2_EEPKiS6_PKS3_S8_S4_PS3_21rocsparse_index_base_b: ; @_ZN9rocsparseL19gebsrmvn_3xn_kernelILj128ELj1ELj16EdEEvi20rocsparse_direction_NS_24const_host_device_scalarIT2_EEPKiS6_PKS3_S8_S4_PS3_21rocsparse_index_base_b
; %bb.0:
	s_clause 0x2
	s_load_dwordx2 s[2:3], s[4:5], 0x40
	s_load_dwordx2 s[8:9], s[4:5], 0x8
	;; [unrolled: 1-line block ×3, first 2 shown]
	s_waitcnt lgkmcnt(0)
	s_bitcmp1_b32 s3, 0
	v_mov_b32_e32 v1, s8
	v_mov_b32_e32 v2, s9
	s_cselect_b32 s3, -1, 0
	s_and_b32 vcc_lo, exec_lo, s3
	s_xor_b32 s3, s3, -1
	s_cbranch_vccnz .LBB39_2
; %bb.1:
	v_mov_b32_e32 v1, s8
	v_mov_b32_e32 v2, s9
	flat_load_dwordx2 v[1:2], v[1:2]
.LBB39_2:
	v_mov_b32_e32 v4, s1
	v_mov_b32_e32 v3, s0
	s_andn2_b32 vcc_lo, exec_lo, s3
	s_cbranch_vccnz .LBB39_4
; %bb.3:
	v_mov_b32_e32 v4, s1
	v_mov_b32_e32 v3, s0
	flat_load_dwordx2 v[3:4], v[3:4]
.LBB39_4:
	s_waitcnt vmcnt(0) lgkmcnt(0)
	v_cmp_neq_f64_e32 vcc_lo, 0, v[1:2]
	v_cmp_neq_f64_e64 s0, 1.0, v[3:4]
	s_or_b32 s0, vcc_lo, s0
	s_and_saveexec_b32 s1, s0
	s_cbranch_execz .LBB39_23
; %bb.5:
	s_load_dwordx2 s[0:1], s[4:5], 0x0
	v_lshrrev_b32_e32 v5, 4, v0
	v_lshl_or_b32 v5, s6, 3, v5
	s_waitcnt lgkmcnt(0)
	v_cmp_gt_i32_e32 vcc_lo, s0, v5
	s_and_b32 exec_lo, exec_lo, vcc_lo
	s_cbranch_execz .LBB39_23
; %bb.6:
	s_load_dwordx8 s[8:15], s[4:5], 0x10
	v_ashrrev_i32_e32 v6, 31, v5
	v_and_b32_e32 v0, 15, v0
	s_cmp_lg_u32 s1, 0
	v_lshlrev_b64 v[6:7], 2, v[5:6]
	s_waitcnt lgkmcnt(0)
	v_add_co_u32 v6, vcc_lo, s8, v6
	v_add_co_ci_u32_e64 v7, null, s9, v7, vcc_lo
	global_load_dwordx2 v[6:7], v[6:7], off
	s_waitcnt vmcnt(0)
	v_subrev_nc_u32_e32 v6, s2, v6
	v_subrev_nc_u32_e32 v17, s2, v7
	v_add_nc_u32_e32 v12, v6, v0
	v_cmp_lt_i32_e64 s0, v12, v17
	s_cbranch_scc0 .LBB39_12
; %bb.7:
	v_mov_b32_e32 v6, 0
	v_mov_b32_e32 v8, 0
	;; [unrolled: 1-line block ×6, first 2 shown]
	s_and_saveexec_b32 s1, s0
	s_cbranch_execz .LBB39_11
; %bb.8:
	v_mov_b32_e32 v6, 0
	v_mov_b32_e32 v8, 0
	;; [unrolled: 1-line block ×3, first 2 shown]
	v_lshl_add_u32 v13, v12, 1, v12
	v_mov_b32_e32 v7, 0
	v_mov_b32_e32 v14, 0
	;; [unrolled: 1-line block ×5, first 2 shown]
	s_mov_b32 s3, 0
.LBB39_9:                               ; =>This Inner Loop Header: Depth=1
	v_ashrrev_i32_e32 v16, 31, v15
	v_lshlrev_b64 v[22:23], 3, v[13:14]
	v_add_nc_u32_e32 v20, 2, v13
	v_mov_b32_e32 v21, v14
	v_mov_b32_e32 v24, v14
	v_lshlrev_b64 v[18:19], 2, v[15:16]
	v_add_nc_u32_e32 v15, 16, v15
	v_lshlrev_b64 v[20:21], 3, v[20:21]
	v_add_co_u32 v18, vcc_lo, s10, v18
	v_add_co_ci_u32_e64 v19, null, s11, v19, vcc_lo
	v_add_co_u32 v22, vcc_lo, s12, v22
	v_add_co_ci_u32_e64 v23, null, s13, v23, vcc_lo
	global_load_dword v16, v[18:19], off
	v_add_nc_u32_e32 v18, 1, v13
	v_mov_b32_e32 v19, v14
	global_load_dwordx2 v[25:26], v[22:23], off
	v_add_nc_u32_e32 v13, 48, v13
	v_lshlrev_b64 v[18:19], 3, v[18:19]
	v_add_co_u32 v18, vcc_lo, s12, v18
	v_add_co_ci_u32_e64 v19, null, s13, v19, vcc_lo
	v_add_co_u32 v20, vcc_lo, s12, v20
	v_add_co_ci_u32_e64 v21, null, s13, v21, vcc_lo
	s_waitcnt vmcnt(1)
	v_subrev_nc_u32_e32 v23, s2, v16
	v_lshlrev_b64 v[22:23], 3, v[23:24]
	v_add_co_u32 v22, vcc_lo, s14, v22
	v_add_co_ci_u32_e64 v23, null, s15, v23, vcc_lo
	s_clause 0x1
	global_load_dwordx2 v[18:19], v[18:19], off
	global_load_dwordx2 v[20:21], v[20:21], off
	;; [unrolled: 1-line block ×3, first 2 shown]
	v_cmp_ge_i32_e32 vcc_lo, v15, v17
	s_or_b32 s3, vcc_lo, s3
	s_waitcnt vmcnt(0)
	v_fma_f64 v[6:7], v[25:26], v[22:23], v[6:7]
	v_fma_f64 v[10:11], v[18:19], v[22:23], v[10:11]
	;; [unrolled: 1-line block ×3, first 2 shown]
	s_andn2_b32 exec_lo, exec_lo, s3
	s_cbranch_execnz .LBB39_9
; %bb.10:
	s_or_b32 exec_lo, exec_lo, s3
.LBB39_11:
	s_or_b32 exec_lo, exec_lo, s1
	s_cbranch_execz .LBB39_13
	s_branch .LBB39_18
.LBB39_12:
                                        ; implicit-def: $vgpr6_vgpr7
                                        ; implicit-def: $vgpr8_vgpr9
                                        ; implicit-def: $vgpr10_vgpr11
.LBB39_13:
	v_mov_b32_e32 v6, 0
	v_mov_b32_e32 v8, 0
	;; [unrolled: 1-line block ×6, first 2 shown]
	s_and_saveexec_b32 s1, s0
	s_cbranch_execz .LBB39_17
; %bb.14:
	v_mov_b32_e32 v6, 0
	v_mov_b32_e32 v8, 0
	;; [unrolled: 1-line block ×3, first 2 shown]
	v_lshl_add_u32 v14, v12, 1, v12
	v_mov_b32_e32 v7, 0
	v_mov_b32_e32 v9, 0
	;; [unrolled: 1-line block ×4, first 2 shown]
	s_mov_b32 s0, 0
.LBB39_15:                              ; =>This Inner Loop Header: Depth=1
	v_ashrrev_i32_e32 v13, 31, v12
	v_lshlrev_b64 v[22:23], 3, v[14:15]
	v_add_nc_u32_e32 v20, 2, v14
	v_mov_b32_e32 v21, v15
	v_mov_b32_e32 v24, v15
	v_lshlrev_b64 v[18:19], 2, v[12:13]
	v_add_nc_u32_e32 v12, 16, v12
	v_lshlrev_b64 v[20:21], 3, v[20:21]
	v_add_co_u32 v18, vcc_lo, s10, v18
	v_add_co_ci_u32_e64 v19, null, s11, v19, vcc_lo
	v_add_co_u32 v22, vcc_lo, s12, v22
	v_add_co_ci_u32_e64 v23, null, s13, v23, vcc_lo
	global_load_dword v13, v[18:19], off
	v_add_nc_u32_e32 v18, 1, v14
	v_mov_b32_e32 v19, v15
	global_load_dwordx2 v[25:26], v[22:23], off
	v_add_nc_u32_e32 v14, 48, v14
	v_lshlrev_b64 v[18:19], 3, v[18:19]
	v_add_co_u32 v18, vcc_lo, s12, v18
	v_add_co_ci_u32_e64 v19, null, s13, v19, vcc_lo
	v_add_co_u32 v20, vcc_lo, s12, v20
	v_add_co_ci_u32_e64 v21, null, s13, v21, vcc_lo
	s_waitcnt vmcnt(1)
	v_subrev_nc_u32_e32 v23, s2, v13
	v_lshlrev_b64 v[22:23], 3, v[23:24]
	v_add_co_u32 v22, vcc_lo, s14, v22
	v_add_co_ci_u32_e64 v23, null, s15, v23, vcc_lo
	s_clause 0x1
	global_load_dwordx2 v[18:19], v[18:19], off
	global_load_dwordx2 v[20:21], v[20:21], off
	;; [unrolled: 1-line block ×3, first 2 shown]
	v_cmp_ge_i32_e32 vcc_lo, v12, v17
	s_or_b32 s0, vcc_lo, s0
	s_waitcnt vmcnt(0)
	v_fma_f64 v[6:7], v[25:26], v[22:23], v[6:7]
	v_fma_f64 v[10:11], v[18:19], v[22:23], v[10:11]
	;; [unrolled: 1-line block ×3, first 2 shown]
	s_andn2_b32 exec_lo, exec_lo, s0
	s_cbranch_execnz .LBB39_15
; %bb.16:
	s_or_b32 exec_lo, exec_lo, s0
.LBB39_17:
	s_or_b32 exec_lo, exec_lo, s1
.LBB39_18:
	v_mbcnt_lo_u32_b32 v18, -1, 0
	v_xor_b32_e32 v12, 8, v18
	v_cmp_gt_i32_e32 vcc_lo, 32, v12
	v_cndmask_b32_e32 v12, v18, v12, vcc_lo
	v_lshlrev_b32_e32 v17, 2, v12
	ds_bpermute_b32 v12, v17, v6
	ds_bpermute_b32 v13, v17, v7
	;; [unrolled: 1-line block ×6, first 2 shown]
	s_waitcnt lgkmcnt(4)
	v_add_f64 v[6:7], v[6:7], v[12:13]
	v_xor_b32_e32 v12, 4, v18
	s_waitcnt lgkmcnt(2)
	v_add_f64 v[10:11], v[10:11], v[14:15]
	s_waitcnt lgkmcnt(0)
	v_add_f64 v[8:9], v[8:9], v[16:17]
	v_cmp_gt_i32_e32 vcc_lo, 32, v12
	v_cndmask_b32_e32 v12, v18, v12, vcc_lo
	v_lshlrev_b32_e32 v17, 2, v12
	ds_bpermute_b32 v12, v17, v6
	ds_bpermute_b32 v13, v17, v7
	;; [unrolled: 1-line block ×6, first 2 shown]
	s_waitcnt lgkmcnt(4)
	v_add_f64 v[6:7], v[6:7], v[12:13]
	s_waitcnt lgkmcnt(2)
	v_add_f64 v[10:11], v[10:11], v[14:15]
	;; [unrolled: 2-line block ×3, first 2 shown]
	v_xor_b32_e32 v8, 2, v18
	v_cmp_gt_i32_e32 vcc_lo, 32, v8
	v_cndmask_b32_e32 v8, v18, v8, vcc_lo
	v_lshlrev_b32_e32 v17, 2, v8
	ds_bpermute_b32 v8, v17, v6
	ds_bpermute_b32 v9, v17, v7
	;; [unrolled: 1-line block ×6, first 2 shown]
	s_waitcnt lgkmcnt(4)
	v_add_f64 v[8:9], v[6:7], v[8:9]
	s_waitcnt lgkmcnt(2)
	v_add_f64 v[6:7], v[10:11], v[14:15]
	v_xor_b32_e32 v10, 1, v18
	s_waitcnt lgkmcnt(0)
	v_add_f64 v[12:13], v[12:13], v[16:17]
	v_cmp_gt_i32_e32 vcc_lo, 32, v10
	v_cndmask_b32_e32 v10, v18, v10, vcc_lo
	v_cmp_eq_u32_e32 vcc_lo, 15, v0
	v_lshlrev_b32_e32 v15, 2, v10
	ds_bpermute_b32 v10, v15, v8
	ds_bpermute_b32 v11, v15, v9
	;; [unrolled: 1-line block ×6, first 2 shown]
	s_and_b32 exec_lo, exec_lo, vcc_lo
	s_cbranch_execz .LBB39_23
; %bb.19:
	s_waitcnt lgkmcnt(4)
	v_add_f64 v[10:11], v[8:9], v[10:11]
	s_waitcnt lgkmcnt(2)
	v_add_f64 v[8:9], v[6:7], v[16:17]
	;; [unrolled: 2-line block ×3, first 2 shown]
	s_load_dwordx2 s[0:1], s[4:5], 0x38
	s_mov_b32 s2, exec_lo
	v_cmpx_eq_f64_e32 0, v[3:4]
	s_xor_b32 s2, exec_lo, s2
	s_cbranch_execz .LBB39_21
; %bb.20:
	v_lshl_add_u32 v0, v5, 1, v5
	v_mul_f64 v[10:11], v[1:2], v[10:11]
	v_mul_f64 v[12:13], v[1:2], v[8:9]
	;; [unrolled: 1-line block ×3, first 2 shown]
                                        ; implicit-def: $vgpr5
                                        ; implicit-def: $vgpr8_vgpr9
                                        ; implicit-def: $vgpr6_vgpr7
	v_ashrrev_i32_e32 v1, 31, v0
	v_lshlrev_b64 v[0:1], 3, v[0:1]
	s_waitcnt lgkmcnt(0)
	v_add_co_u32 v0, vcc_lo, s0, v0
	v_add_co_ci_u32_e64 v1, null, s1, v1, vcc_lo
	global_store_dwordx4 v[0:1], v[10:13], off
	global_store_dwordx2 v[0:1], v[2:3], off offset:16
                                        ; implicit-def: $vgpr1_vgpr2
                                        ; implicit-def: $vgpr10_vgpr11
                                        ; implicit-def: $vgpr3_vgpr4
.LBB39_21:
	s_andn2_saveexec_b32 s2, s2
	s_cbranch_execz .LBB39_23
; %bb.22:
	v_lshl_add_u32 v12, v5, 1, v5
	v_mul_f64 v[10:11], v[1:2], v[10:11]
	v_mul_f64 v[8:9], v[1:2], v[8:9]
	;; [unrolled: 1-line block ×3, first 2 shown]
	v_ashrrev_i32_e32 v13, 31, v12
	v_lshlrev_b64 v[12:13], 3, v[12:13]
	s_waitcnt lgkmcnt(0)
	v_add_co_u32 v16, vcc_lo, s0, v12
	v_add_co_ci_u32_e64 v17, null, s1, v13, vcc_lo
	s_clause 0x1
	global_load_dwordx4 v[12:15], v[16:17], off
	global_load_dwordx2 v[18:19], v[16:17], off offset:16
	s_waitcnt vmcnt(1)
	v_fma_f64 v[5:6], v[3:4], v[12:13], v[10:11]
	v_fma_f64 v[7:8], v[3:4], v[14:15], v[8:9]
	s_waitcnt vmcnt(0)
	v_fma_f64 v[0:1], v[3:4], v[18:19], v[0:1]
	global_store_dwordx4 v[16:17], v[5:8], off
	global_store_dwordx2 v[16:17], v[0:1], off offset:16
.LBB39_23:
	s_endpgm
	.section	.rodata,"a",@progbits
	.p2align	6, 0x0
	.amdhsa_kernel _ZN9rocsparseL19gebsrmvn_3xn_kernelILj128ELj1ELj16EdEEvi20rocsparse_direction_NS_24const_host_device_scalarIT2_EEPKiS6_PKS3_S8_S4_PS3_21rocsparse_index_base_b
		.amdhsa_group_segment_fixed_size 0
		.amdhsa_private_segment_fixed_size 0
		.amdhsa_kernarg_size 72
		.amdhsa_user_sgpr_count 6
		.amdhsa_user_sgpr_private_segment_buffer 1
		.amdhsa_user_sgpr_dispatch_ptr 0
		.amdhsa_user_sgpr_queue_ptr 0
		.amdhsa_user_sgpr_kernarg_segment_ptr 1
		.amdhsa_user_sgpr_dispatch_id 0
		.amdhsa_user_sgpr_flat_scratch_init 0
		.amdhsa_user_sgpr_private_segment_size 0
		.amdhsa_wavefront_size32 1
		.amdhsa_uses_dynamic_stack 0
		.amdhsa_system_sgpr_private_segment_wavefront_offset 0
		.amdhsa_system_sgpr_workgroup_id_x 1
		.amdhsa_system_sgpr_workgroup_id_y 0
		.amdhsa_system_sgpr_workgroup_id_z 0
		.amdhsa_system_sgpr_workgroup_info 0
		.amdhsa_system_vgpr_workitem_id 0
		.amdhsa_next_free_vgpr 27
		.amdhsa_next_free_sgpr 16
		.amdhsa_reserve_vcc 1
		.amdhsa_reserve_flat_scratch 0
		.amdhsa_float_round_mode_32 0
		.amdhsa_float_round_mode_16_64 0
		.amdhsa_float_denorm_mode_32 3
		.amdhsa_float_denorm_mode_16_64 3
		.amdhsa_dx10_clamp 1
		.amdhsa_ieee_mode 1
		.amdhsa_fp16_overflow 0
		.amdhsa_workgroup_processor_mode 1
		.amdhsa_memory_ordered 1
		.amdhsa_forward_progress 1
		.amdhsa_shared_vgpr_count 0
		.amdhsa_exception_fp_ieee_invalid_op 0
		.amdhsa_exception_fp_denorm_src 0
		.amdhsa_exception_fp_ieee_div_zero 0
		.amdhsa_exception_fp_ieee_overflow 0
		.amdhsa_exception_fp_ieee_underflow 0
		.amdhsa_exception_fp_ieee_inexact 0
		.amdhsa_exception_int_div_zero 0
	.end_amdhsa_kernel
	.section	.text._ZN9rocsparseL19gebsrmvn_3xn_kernelILj128ELj1ELj16EdEEvi20rocsparse_direction_NS_24const_host_device_scalarIT2_EEPKiS6_PKS3_S8_S4_PS3_21rocsparse_index_base_b,"axG",@progbits,_ZN9rocsparseL19gebsrmvn_3xn_kernelILj128ELj1ELj16EdEEvi20rocsparse_direction_NS_24const_host_device_scalarIT2_EEPKiS6_PKS3_S8_S4_PS3_21rocsparse_index_base_b,comdat
.Lfunc_end39:
	.size	_ZN9rocsparseL19gebsrmvn_3xn_kernelILj128ELj1ELj16EdEEvi20rocsparse_direction_NS_24const_host_device_scalarIT2_EEPKiS6_PKS3_S8_S4_PS3_21rocsparse_index_base_b, .Lfunc_end39-_ZN9rocsparseL19gebsrmvn_3xn_kernelILj128ELj1ELj16EdEEvi20rocsparse_direction_NS_24const_host_device_scalarIT2_EEPKiS6_PKS3_S8_S4_PS3_21rocsparse_index_base_b
                                        ; -- End function
	.set _ZN9rocsparseL19gebsrmvn_3xn_kernelILj128ELj1ELj16EdEEvi20rocsparse_direction_NS_24const_host_device_scalarIT2_EEPKiS6_PKS3_S8_S4_PS3_21rocsparse_index_base_b.num_vgpr, 27
	.set _ZN9rocsparseL19gebsrmvn_3xn_kernelILj128ELj1ELj16EdEEvi20rocsparse_direction_NS_24const_host_device_scalarIT2_EEPKiS6_PKS3_S8_S4_PS3_21rocsparse_index_base_b.num_agpr, 0
	.set _ZN9rocsparseL19gebsrmvn_3xn_kernelILj128ELj1ELj16EdEEvi20rocsparse_direction_NS_24const_host_device_scalarIT2_EEPKiS6_PKS3_S8_S4_PS3_21rocsparse_index_base_b.numbered_sgpr, 16
	.set _ZN9rocsparseL19gebsrmvn_3xn_kernelILj128ELj1ELj16EdEEvi20rocsparse_direction_NS_24const_host_device_scalarIT2_EEPKiS6_PKS3_S8_S4_PS3_21rocsparse_index_base_b.num_named_barrier, 0
	.set _ZN9rocsparseL19gebsrmvn_3xn_kernelILj128ELj1ELj16EdEEvi20rocsparse_direction_NS_24const_host_device_scalarIT2_EEPKiS6_PKS3_S8_S4_PS3_21rocsparse_index_base_b.private_seg_size, 0
	.set _ZN9rocsparseL19gebsrmvn_3xn_kernelILj128ELj1ELj16EdEEvi20rocsparse_direction_NS_24const_host_device_scalarIT2_EEPKiS6_PKS3_S8_S4_PS3_21rocsparse_index_base_b.uses_vcc, 1
	.set _ZN9rocsparseL19gebsrmvn_3xn_kernelILj128ELj1ELj16EdEEvi20rocsparse_direction_NS_24const_host_device_scalarIT2_EEPKiS6_PKS3_S8_S4_PS3_21rocsparse_index_base_b.uses_flat_scratch, 0
	.set _ZN9rocsparseL19gebsrmvn_3xn_kernelILj128ELj1ELj16EdEEvi20rocsparse_direction_NS_24const_host_device_scalarIT2_EEPKiS6_PKS3_S8_S4_PS3_21rocsparse_index_base_b.has_dyn_sized_stack, 0
	.set _ZN9rocsparseL19gebsrmvn_3xn_kernelILj128ELj1ELj16EdEEvi20rocsparse_direction_NS_24const_host_device_scalarIT2_EEPKiS6_PKS3_S8_S4_PS3_21rocsparse_index_base_b.has_recursion, 0
	.set _ZN9rocsparseL19gebsrmvn_3xn_kernelILj128ELj1ELj16EdEEvi20rocsparse_direction_NS_24const_host_device_scalarIT2_EEPKiS6_PKS3_S8_S4_PS3_21rocsparse_index_base_b.has_indirect_call, 0
	.section	.AMDGPU.csdata,"",@progbits
; Kernel info:
; codeLenInByte = 1592
; TotalNumSgprs: 18
; NumVgprs: 27
; ScratchSize: 0
; MemoryBound: 0
; FloatMode: 240
; IeeeMode: 1
; LDSByteSize: 0 bytes/workgroup (compile time only)
; SGPRBlocks: 0
; VGPRBlocks: 3
; NumSGPRsForWavesPerEU: 18
; NumVGPRsForWavesPerEU: 27
; Occupancy: 16
; WaveLimiterHint : 1
; COMPUTE_PGM_RSRC2:SCRATCH_EN: 0
; COMPUTE_PGM_RSRC2:USER_SGPR: 6
; COMPUTE_PGM_RSRC2:TRAP_HANDLER: 0
; COMPUTE_PGM_RSRC2:TGID_X_EN: 1
; COMPUTE_PGM_RSRC2:TGID_Y_EN: 0
; COMPUTE_PGM_RSRC2:TGID_Z_EN: 0
; COMPUTE_PGM_RSRC2:TIDIG_COMP_CNT: 0
	.section	.text._ZN9rocsparseL19gebsrmvn_3xn_kernelILj128ELj1ELj32EdEEvi20rocsparse_direction_NS_24const_host_device_scalarIT2_EEPKiS6_PKS3_S8_S4_PS3_21rocsparse_index_base_b,"axG",@progbits,_ZN9rocsparseL19gebsrmvn_3xn_kernelILj128ELj1ELj32EdEEvi20rocsparse_direction_NS_24const_host_device_scalarIT2_EEPKiS6_PKS3_S8_S4_PS3_21rocsparse_index_base_b,comdat
	.globl	_ZN9rocsparseL19gebsrmvn_3xn_kernelILj128ELj1ELj32EdEEvi20rocsparse_direction_NS_24const_host_device_scalarIT2_EEPKiS6_PKS3_S8_S4_PS3_21rocsparse_index_base_b ; -- Begin function _ZN9rocsparseL19gebsrmvn_3xn_kernelILj128ELj1ELj32EdEEvi20rocsparse_direction_NS_24const_host_device_scalarIT2_EEPKiS6_PKS3_S8_S4_PS3_21rocsparse_index_base_b
	.p2align	8
	.type	_ZN9rocsparseL19gebsrmvn_3xn_kernelILj128ELj1ELj32EdEEvi20rocsparse_direction_NS_24const_host_device_scalarIT2_EEPKiS6_PKS3_S8_S4_PS3_21rocsparse_index_base_b,@function
_ZN9rocsparseL19gebsrmvn_3xn_kernelILj128ELj1ELj32EdEEvi20rocsparse_direction_NS_24const_host_device_scalarIT2_EEPKiS6_PKS3_S8_S4_PS3_21rocsparse_index_base_b: ; @_ZN9rocsparseL19gebsrmvn_3xn_kernelILj128ELj1ELj32EdEEvi20rocsparse_direction_NS_24const_host_device_scalarIT2_EEPKiS6_PKS3_S8_S4_PS3_21rocsparse_index_base_b
; %bb.0:
	s_clause 0x2
	s_load_dwordx2 s[2:3], s[4:5], 0x40
	s_load_dwordx2 s[8:9], s[4:5], 0x8
	;; [unrolled: 1-line block ×3, first 2 shown]
	s_waitcnt lgkmcnt(0)
	s_bitcmp1_b32 s3, 0
	v_mov_b32_e32 v1, s8
	v_mov_b32_e32 v2, s9
	s_cselect_b32 s3, -1, 0
	s_and_b32 vcc_lo, exec_lo, s3
	s_xor_b32 s3, s3, -1
	s_cbranch_vccnz .LBB40_2
; %bb.1:
	v_mov_b32_e32 v1, s8
	v_mov_b32_e32 v2, s9
	flat_load_dwordx2 v[1:2], v[1:2]
.LBB40_2:
	v_mov_b32_e32 v4, s1
	v_mov_b32_e32 v3, s0
	s_andn2_b32 vcc_lo, exec_lo, s3
	s_cbranch_vccnz .LBB40_4
; %bb.3:
	v_mov_b32_e32 v4, s1
	v_mov_b32_e32 v3, s0
	flat_load_dwordx2 v[3:4], v[3:4]
.LBB40_4:
	s_waitcnt vmcnt(0) lgkmcnt(0)
	v_cmp_neq_f64_e32 vcc_lo, 0, v[1:2]
	v_cmp_neq_f64_e64 s0, 1.0, v[3:4]
	s_or_b32 s0, vcc_lo, s0
	s_and_saveexec_b32 s1, s0
	s_cbranch_execz .LBB40_23
; %bb.5:
	s_load_dwordx2 s[0:1], s[4:5], 0x0
	v_lshrrev_b32_e32 v5, 5, v0
	v_lshl_or_b32 v5, s6, 2, v5
	s_waitcnt lgkmcnt(0)
	v_cmp_gt_i32_e32 vcc_lo, s0, v5
	s_and_b32 exec_lo, exec_lo, vcc_lo
	s_cbranch_execz .LBB40_23
; %bb.6:
	s_load_dwordx8 s[8:15], s[4:5], 0x10
	v_ashrrev_i32_e32 v6, 31, v5
	v_and_b32_e32 v0, 31, v0
	s_cmp_lg_u32 s1, 0
	v_lshlrev_b64 v[6:7], 2, v[5:6]
	s_waitcnt lgkmcnt(0)
	v_add_co_u32 v6, vcc_lo, s8, v6
	v_add_co_ci_u32_e64 v7, null, s9, v7, vcc_lo
	global_load_dwordx2 v[6:7], v[6:7], off
	s_waitcnt vmcnt(0)
	v_subrev_nc_u32_e32 v6, s2, v6
	v_subrev_nc_u32_e32 v17, s2, v7
	v_add_nc_u32_e32 v12, v6, v0
	v_cmp_lt_i32_e64 s0, v12, v17
	s_cbranch_scc0 .LBB40_12
; %bb.7:
	v_mov_b32_e32 v6, 0
	v_mov_b32_e32 v8, 0
	;; [unrolled: 1-line block ×6, first 2 shown]
	s_and_saveexec_b32 s1, s0
	s_cbranch_execz .LBB40_11
; %bb.8:
	v_mov_b32_e32 v6, 0
	v_mov_b32_e32 v8, 0
	;; [unrolled: 1-line block ×3, first 2 shown]
	v_lshl_add_u32 v13, v12, 1, v12
	v_mov_b32_e32 v7, 0
	v_mov_b32_e32 v14, 0
	;; [unrolled: 1-line block ×5, first 2 shown]
	s_mov_b32 s3, 0
.LBB40_9:                               ; =>This Inner Loop Header: Depth=1
	v_ashrrev_i32_e32 v16, 31, v15
	v_lshlrev_b64 v[22:23], 3, v[13:14]
	v_add_nc_u32_e32 v20, 2, v13
	v_mov_b32_e32 v21, v14
	v_mov_b32_e32 v24, v14
	v_lshlrev_b64 v[18:19], 2, v[15:16]
	v_add_nc_u32_e32 v15, 32, v15
	v_lshlrev_b64 v[20:21], 3, v[20:21]
	v_add_co_u32 v18, vcc_lo, s10, v18
	v_add_co_ci_u32_e64 v19, null, s11, v19, vcc_lo
	v_add_co_u32 v22, vcc_lo, s12, v22
	v_add_co_ci_u32_e64 v23, null, s13, v23, vcc_lo
	global_load_dword v16, v[18:19], off
	v_add_nc_u32_e32 v18, 1, v13
	v_mov_b32_e32 v19, v14
	global_load_dwordx2 v[25:26], v[22:23], off
	v_add_nc_u32_e32 v13, 0x60, v13
	v_lshlrev_b64 v[18:19], 3, v[18:19]
	v_add_co_u32 v18, vcc_lo, s12, v18
	v_add_co_ci_u32_e64 v19, null, s13, v19, vcc_lo
	v_add_co_u32 v20, vcc_lo, s12, v20
	v_add_co_ci_u32_e64 v21, null, s13, v21, vcc_lo
	s_waitcnt vmcnt(1)
	v_subrev_nc_u32_e32 v23, s2, v16
	v_lshlrev_b64 v[22:23], 3, v[23:24]
	v_add_co_u32 v22, vcc_lo, s14, v22
	v_add_co_ci_u32_e64 v23, null, s15, v23, vcc_lo
	s_clause 0x1
	global_load_dwordx2 v[18:19], v[18:19], off
	global_load_dwordx2 v[20:21], v[20:21], off
	;; [unrolled: 1-line block ×3, first 2 shown]
	v_cmp_ge_i32_e32 vcc_lo, v15, v17
	s_or_b32 s3, vcc_lo, s3
	s_waitcnt vmcnt(0)
	v_fma_f64 v[6:7], v[25:26], v[22:23], v[6:7]
	v_fma_f64 v[10:11], v[18:19], v[22:23], v[10:11]
	;; [unrolled: 1-line block ×3, first 2 shown]
	s_andn2_b32 exec_lo, exec_lo, s3
	s_cbranch_execnz .LBB40_9
; %bb.10:
	s_or_b32 exec_lo, exec_lo, s3
.LBB40_11:
	s_or_b32 exec_lo, exec_lo, s1
	s_cbranch_execz .LBB40_13
	s_branch .LBB40_18
.LBB40_12:
                                        ; implicit-def: $vgpr6_vgpr7
                                        ; implicit-def: $vgpr8_vgpr9
                                        ; implicit-def: $vgpr10_vgpr11
.LBB40_13:
	v_mov_b32_e32 v6, 0
	v_mov_b32_e32 v8, 0
	;; [unrolled: 1-line block ×6, first 2 shown]
	s_and_saveexec_b32 s1, s0
	s_cbranch_execz .LBB40_17
; %bb.14:
	v_mov_b32_e32 v6, 0
	v_mov_b32_e32 v8, 0
	;; [unrolled: 1-line block ×3, first 2 shown]
	v_lshl_add_u32 v14, v12, 1, v12
	v_mov_b32_e32 v7, 0
	v_mov_b32_e32 v9, 0
	;; [unrolled: 1-line block ×4, first 2 shown]
	s_mov_b32 s0, 0
.LBB40_15:                              ; =>This Inner Loop Header: Depth=1
	v_ashrrev_i32_e32 v13, 31, v12
	v_lshlrev_b64 v[22:23], 3, v[14:15]
	v_add_nc_u32_e32 v20, 2, v14
	v_mov_b32_e32 v21, v15
	v_mov_b32_e32 v24, v15
	v_lshlrev_b64 v[18:19], 2, v[12:13]
	v_add_nc_u32_e32 v12, 32, v12
	v_lshlrev_b64 v[20:21], 3, v[20:21]
	v_add_co_u32 v18, vcc_lo, s10, v18
	v_add_co_ci_u32_e64 v19, null, s11, v19, vcc_lo
	v_add_co_u32 v22, vcc_lo, s12, v22
	v_add_co_ci_u32_e64 v23, null, s13, v23, vcc_lo
	global_load_dword v13, v[18:19], off
	v_add_nc_u32_e32 v18, 1, v14
	v_mov_b32_e32 v19, v15
	global_load_dwordx2 v[25:26], v[22:23], off
	v_add_nc_u32_e32 v14, 0x60, v14
	v_lshlrev_b64 v[18:19], 3, v[18:19]
	v_add_co_u32 v18, vcc_lo, s12, v18
	v_add_co_ci_u32_e64 v19, null, s13, v19, vcc_lo
	v_add_co_u32 v20, vcc_lo, s12, v20
	v_add_co_ci_u32_e64 v21, null, s13, v21, vcc_lo
	s_waitcnt vmcnt(1)
	v_subrev_nc_u32_e32 v23, s2, v13
	v_lshlrev_b64 v[22:23], 3, v[23:24]
	v_add_co_u32 v22, vcc_lo, s14, v22
	v_add_co_ci_u32_e64 v23, null, s15, v23, vcc_lo
	s_clause 0x1
	global_load_dwordx2 v[18:19], v[18:19], off
	global_load_dwordx2 v[20:21], v[20:21], off
	;; [unrolled: 1-line block ×3, first 2 shown]
	v_cmp_ge_i32_e32 vcc_lo, v12, v17
	s_or_b32 s0, vcc_lo, s0
	s_waitcnt vmcnt(0)
	v_fma_f64 v[6:7], v[25:26], v[22:23], v[6:7]
	v_fma_f64 v[10:11], v[18:19], v[22:23], v[10:11]
	;; [unrolled: 1-line block ×3, first 2 shown]
	s_andn2_b32 exec_lo, exec_lo, s0
	s_cbranch_execnz .LBB40_15
; %bb.16:
	s_or_b32 exec_lo, exec_lo, s0
.LBB40_17:
	s_or_b32 exec_lo, exec_lo, s1
.LBB40_18:
	v_mbcnt_lo_u32_b32 v18, -1, 0
	v_xor_b32_e32 v12, 16, v18
	v_cmp_gt_i32_e32 vcc_lo, 32, v12
	v_cndmask_b32_e32 v12, v18, v12, vcc_lo
	v_lshlrev_b32_e32 v17, 2, v12
	ds_bpermute_b32 v12, v17, v6
	ds_bpermute_b32 v13, v17, v7
	;; [unrolled: 1-line block ×6, first 2 shown]
	s_waitcnt lgkmcnt(4)
	v_add_f64 v[6:7], v[6:7], v[12:13]
	v_xor_b32_e32 v12, 8, v18
	s_waitcnt lgkmcnt(2)
	v_add_f64 v[10:11], v[10:11], v[14:15]
	s_waitcnt lgkmcnt(0)
	v_add_f64 v[8:9], v[8:9], v[16:17]
	v_cmp_gt_i32_e32 vcc_lo, 32, v12
	v_cndmask_b32_e32 v12, v18, v12, vcc_lo
	v_lshlrev_b32_e32 v17, 2, v12
	ds_bpermute_b32 v12, v17, v6
	ds_bpermute_b32 v13, v17, v7
	;; [unrolled: 1-line block ×6, first 2 shown]
	s_waitcnt lgkmcnt(4)
	v_add_f64 v[6:7], v[6:7], v[12:13]
	v_xor_b32_e32 v12, 4, v18
	s_waitcnt lgkmcnt(2)
	v_add_f64 v[10:11], v[10:11], v[14:15]
	s_waitcnt lgkmcnt(0)
	v_add_f64 v[8:9], v[8:9], v[16:17]
	v_cmp_gt_i32_e32 vcc_lo, 32, v12
	v_cndmask_b32_e32 v12, v18, v12, vcc_lo
	v_lshlrev_b32_e32 v17, 2, v12
	ds_bpermute_b32 v12, v17, v6
	ds_bpermute_b32 v13, v17, v7
	;; [unrolled: 1-line block ×6, first 2 shown]
	s_waitcnt lgkmcnt(4)
	v_add_f64 v[6:7], v[6:7], v[12:13]
	s_waitcnt lgkmcnt(2)
	v_add_f64 v[10:11], v[10:11], v[14:15]
	;; [unrolled: 2-line block ×3, first 2 shown]
	v_xor_b32_e32 v8, 2, v18
	v_cmp_gt_i32_e32 vcc_lo, 32, v8
	v_cndmask_b32_e32 v8, v18, v8, vcc_lo
	v_lshlrev_b32_e32 v17, 2, v8
	ds_bpermute_b32 v8, v17, v6
	ds_bpermute_b32 v9, v17, v7
	;; [unrolled: 1-line block ×6, first 2 shown]
	s_waitcnt lgkmcnt(4)
	v_add_f64 v[8:9], v[6:7], v[8:9]
	s_waitcnt lgkmcnt(2)
	v_add_f64 v[6:7], v[10:11], v[14:15]
	v_xor_b32_e32 v10, 1, v18
	s_waitcnt lgkmcnt(0)
	v_add_f64 v[12:13], v[12:13], v[16:17]
	v_cmp_gt_i32_e32 vcc_lo, 32, v10
	v_cndmask_b32_e32 v10, v18, v10, vcc_lo
	v_cmp_eq_u32_e32 vcc_lo, 31, v0
	v_lshlrev_b32_e32 v15, 2, v10
	ds_bpermute_b32 v10, v15, v8
	ds_bpermute_b32 v11, v15, v9
	;; [unrolled: 1-line block ×6, first 2 shown]
	s_and_b32 exec_lo, exec_lo, vcc_lo
	s_cbranch_execz .LBB40_23
; %bb.19:
	s_waitcnt lgkmcnt(4)
	v_add_f64 v[10:11], v[8:9], v[10:11]
	s_waitcnt lgkmcnt(2)
	v_add_f64 v[8:9], v[6:7], v[16:17]
	;; [unrolled: 2-line block ×3, first 2 shown]
	s_load_dwordx2 s[0:1], s[4:5], 0x38
	s_mov_b32 s2, exec_lo
	v_cmpx_eq_f64_e32 0, v[3:4]
	s_xor_b32 s2, exec_lo, s2
	s_cbranch_execz .LBB40_21
; %bb.20:
	v_lshl_add_u32 v0, v5, 1, v5
	v_mul_f64 v[10:11], v[1:2], v[10:11]
	v_mul_f64 v[12:13], v[1:2], v[8:9]
	;; [unrolled: 1-line block ×3, first 2 shown]
                                        ; implicit-def: $vgpr5
                                        ; implicit-def: $vgpr8_vgpr9
                                        ; implicit-def: $vgpr6_vgpr7
	v_ashrrev_i32_e32 v1, 31, v0
	v_lshlrev_b64 v[0:1], 3, v[0:1]
	s_waitcnt lgkmcnt(0)
	v_add_co_u32 v0, vcc_lo, s0, v0
	v_add_co_ci_u32_e64 v1, null, s1, v1, vcc_lo
	global_store_dwordx4 v[0:1], v[10:13], off
	global_store_dwordx2 v[0:1], v[2:3], off offset:16
                                        ; implicit-def: $vgpr1_vgpr2
                                        ; implicit-def: $vgpr10_vgpr11
                                        ; implicit-def: $vgpr3_vgpr4
.LBB40_21:
	s_andn2_saveexec_b32 s2, s2
	s_cbranch_execz .LBB40_23
; %bb.22:
	v_lshl_add_u32 v12, v5, 1, v5
	v_mul_f64 v[10:11], v[1:2], v[10:11]
	v_mul_f64 v[8:9], v[1:2], v[8:9]
	;; [unrolled: 1-line block ×3, first 2 shown]
	v_ashrrev_i32_e32 v13, 31, v12
	v_lshlrev_b64 v[12:13], 3, v[12:13]
	s_waitcnt lgkmcnt(0)
	v_add_co_u32 v16, vcc_lo, s0, v12
	v_add_co_ci_u32_e64 v17, null, s1, v13, vcc_lo
	s_clause 0x1
	global_load_dwordx4 v[12:15], v[16:17], off
	global_load_dwordx2 v[18:19], v[16:17], off offset:16
	s_waitcnt vmcnt(1)
	v_fma_f64 v[5:6], v[3:4], v[12:13], v[10:11]
	v_fma_f64 v[7:8], v[3:4], v[14:15], v[8:9]
	s_waitcnt vmcnt(0)
	v_fma_f64 v[0:1], v[3:4], v[18:19], v[0:1]
	global_store_dwordx4 v[16:17], v[5:8], off
	global_store_dwordx2 v[16:17], v[0:1], off offset:16
.LBB40_23:
	s_endpgm
	.section	.rodata,"a",@progbits
	.p2align	6, 0x0
	.amdhsa_kernel _ZN9rocsparseL19gebsrmvn_3xn_kernelILj128ELj1ELj32EdEEvi20rocsparse_direction_NS_24const_host_device_scalarIT2_EEPKiS6_PKS3_S8_S4_PS3_21rocsparse_index_base_b
		.amdhsa_group_segment_fixed_size 0
		.amdhsa_private_segment_fixed_size 0
		.amdhsa_kernarg_size 72
		.amdhsa_user_sgpr_count 6
		.amdhsa_user_sgpr_private_segment_buffer 1
		.amdhsa_user_sgpr_dispatch_ptr 0
		.amdhsa_user_sgpr_queue_ptr 0
		.amdhsa_user_sgpr_kernarg_segment_ptr 1
		.amdhsa_user_sgpr_dispatch_id 0
		.amdhsa_user_sgpr_flat_scratch_init 0
		.amdhsa_user_sgpr_private_segment_size 0
		.amdhsa_wavefront_size32 1
		.amdhsa_uses_dynamic_stack 0
		.amdhsa_system_sgpr_private_segment_wavefront_offset 0
		.amdhsa_system_sgpr_workgroup_id_x 1
		.amdhsa_system_sgpr_workgroup_id_y 0
		.amdhsa_system_sgpr_workgroup_id_z 0
		.amdhsa_system_sgpr_workgroup_info 0
		.amdhsa_system_vgpr_workitem_id 0
		.amdhsa_next_free_vgpr 27
		.amdhsa_next_free_sgpr 16
		.amdhsa_reserve_vcc 1
		.amdhsa_reserve_flat_scratch 0
		.amdhsa_float_round_mode_32 0
		.amdhsa_float_round_mode_16_64 0
		.amdhsa_float_denorm_mode_32 3
		.amdhsa_float_denorm_mode_16_64 3
		.amdhsa_dx10_clamp 1
		.amdhsa_ieee_mode 1
		.amdhsa_fp16_overflow 0
		.amdhsa_workgroup_processor_mode 1
		.amdhsa_memory_ordered 1
		.amdhsa_forward_progress 1
		.amdhsa_shared_vgpr_count 0
		.amdhsa_exception_fp_ieee_invalid_op 0
		.amdhsa_exception_fp_denorm_src 0
		.amdhsa_exception_fp_ieee_div_zero 0
		.amdhsa_exception_fp_ieee_overflow 0
		.amdhsa_exception_fp_ieee_underflow 0
		.amdhsa_exception_fp_ieee_inexact 0
		.amdhsa_exception_int_div_zero 0
	.end_amdhsa_kernel
	.section	.text._ZN9rocsparseL19gebsrmvn_3xn_kernelILj128ELj1ELj32EdEEvi20rocsparse_direction_NS_24const_host_device_scalarIT2_EEPKiS6_PKS3_S8_S4_PS3_21rocsparse_index_base_b,"axG",@progbits,_ZN9rocsparseL19gebsrmvn_3xn_kernelILj128ELj1ELj32EdEEvi20rocsparse_direction_NS_24const_host_device_scalarIT2_EEPKiS6_PKS3_S8_S4_PS3_21rocsparse_index_base_b,comdat
.Lfunc_end40:
	.size	_ZN9rocsparseL19gebsrmvn_3xn_kernelILj128ELj1ELj32EdEEvi20rocsparse_direction_NS_24const_host_device_scalarIT2_EEPKiS6_PKS3_S8_S4_PS3_21rocsparse_index_base_b, .Lfunc_end40-_ZN9rocsparseL19gebsrmvn_3xn_kernelILj128ELj1ELj32EdEEvi20rocsparse_direction_NS_24const_host_device_scalarIT2_EEPKiS6_PKS3_S8_S4_PS3_21rocsparse_index_base_b
                                        ; -- End function
	.set _ZN9rocsparseL19gebsrmvn_3xn_kernelILj128ELj1ELj32EdEEvi20rocsparse_direction_NS_24const_host_device_scalarIT2_EEPKiS6_PKS3_S8_S4_PS3_21rocsparse_index_base_b.num_vgpr, 27
	.set _ZN9rocsparseL19gebsrmvn_3xn_kernelILj128ELj1ELj32EdEEvi20rocsparse_direction_NS_24const_host_device_scalarIT2_EEPKiS6_PKS3_S8_S4_PS3_21rocsparse_index_base_b.num_agpr, 0
	.set _ZN9rocsparseL19gebsrmvn_3xn_kernelILj128ELj1ELj32EdEEvi20rocsparse_direction_NS_24const_host_device_scalarIT2_EEPKiS6_PKS3_S8_S4_PS3_21rocsparse_index_base_b.numbered_sgpr, 16
	.set _ZN9rocsparseL19gebsrmvn_3xn_kernelILj128ELj1ELj32EdEEvi20rocsparse_direction_NS_24const_host_device_scalarIT2_EEPKiS6_PKS3_S8_S4_PS3_21rocsparse_index_base_b.num_named_barrier, 0
	.set _ZN9rocsparseL19gebsrmvn_3xn_kernelILj128ELj1ELj32EdEEvi20rocsparse_direction_NS_24const_host_device_scalarIT2_EEPKiS6_PKS3_S8_S4_PS3_21rocsparse_index_base_b.private_seg_size, 0
	.set _ZN9rocsparseL19gebsrmvn_3xn_kernelILj128ELj1ELj32EdEEvi20rocsparse_direction_NS_24const_host_device_scalarIT2_EEPKiS6_PKS3_S8_S4_PS3_21rocsparse_index_base_b.uses_vcc, 1
	.set _ZN9rocsparseL19gebsrmvn_3xn_kernelILj128ELj1ELj32EdEEvi20rocsparse_direction_NS_24const_host_device_scalarIT2_EEPKiS6_PKS3_S8_S4_PS3_21rocsparse_index_base_b.uses_flat_scratch, 0
	.set _ZN9rocsparseL19gebsrmvn_3xn_kernelILj128ELj1ELj32EdEEvi20rocsparse_direction_NS_24const_host_device_scalarIT2_EEPKiS6_PKS3_S8_S4_PS3_21rocsparse_index_base_b.has_dyn_sized_stack, 0
	.set _ZN9rocsparseL19gebsrmvn_3xn_kernelILj128ELj1ELj32EdEEvi20rocsparse_direction_NS_24const_host_device_scalarIT2_EEPKiS6_PKS3_S8_S4_PS3_21rocsparse_index_base_b.has_recursion, 0
	.set _ZN9rocsparseL19gebsrmvn_3xn_kernelILj128ELj1ELj32EdEEvi20rocsparse_direction_NS_24const_host_device_scalarIT2_EEPKiS6_PKS3_S8_S4_PS3_21rocsparse_index_base_b.has_indirect_call, 0
	.section	.AMDGPU.csdata,"",@progbits
; Kernel info:
; codeLenInByte = 1700
; TotalNumSgprs: 18
; NumVgprs: 27
; ScratchSize: 0
; MemoryBound: 0
; FloatMode: 240
; IeeeMode: 1
; LDSByteSize: 0 bytes/workgroup (compile time only)
; SGPRBlocks: 0
; VGPRBlocks: 3
; NumSGPRsForWavesPerEU: 18
; NumVGPRsForWavesPerEU: 27
; Occupancy: 16
; WaveLimiterHint : 1
; COMPUTE_PGM_RSRC2:SCRATCH_EN: 0
; COMPUTE_PGM_RSRC2:USER_SGPR: 6
; COMPUTE_PGM_RSRC2:TRAP_HANDLER: 0
; COMPUTE_PGM_RSRC2:TGID_X_EN: 1
; COMPUTE_PGM_RSRC2:TGID_Y_EN: 0
; COMPUTE_PGM_RSRC2:TGID_Z_EN: 0
; COMPUTE_PGM_RSRC2:TIDIG_COMP_CNT: 0
	.section	.text._ZN9rocsparseL19gebsrmvn_3xn_kernelILj128ELj1ELj64EdEEvi20rocsparse_direction_NS_24const_host_device_scalarIT2_EEPKiS6_PKS3_S8_S4_PS3_21rocsparse_index_base_b,"axG",@progbits,_ZN9rocsparseL19gebsrmvn_3xn_kernelILj128ELj1ELj64EdEEvi20rocsparse_direction_NS_24const_host_device_scalarIT2_EEPKiS6_PKS3_S8_S4_PS3_21rocsparse_index_base_b,comdat
	.globl	_ZN9rocsparseL19gebsrmvn_3xn_kernelILj128ELj1ELj64EdEEvi20rocsparse_direction_NS_24const_host_device_scalarIT2_EEPKiS6_PKS3_S8_S4_PS3_21rocsparse_index_base_b ; -- Begin function _ZN9rocsparseL19gebsrmvn_3xn_kernelILj128ELj1ELj64EdEEvi20rocsparse_direction_NS_24const_host_device_scalarIT2_EEPKiS6_PKS3_S8_S4_PS3_21rocsparse_index_base_b
	.p2align	8
	.type	_ZN9rocsparseL19gebsrmvn_3xn_kernelILj128ELj1ELj64EdEEvi20rocsparse_direction_NS_24const_host_device_scalarIT2_EEPKiS6_PKS3_S8_S4_PS3_21rocsparse_index_base_b,@function
_ZN9rocsparseL19gebsrmvn_3xn_kernelILj128ELj1ELj64EdEEvi20rocsparse_direction_NS_24const_host_device_scalarIT2_EEPKiS6_PKS3_S8_S4_PS3_21rocsparse_index_base_b: ; @_ZN9rocsparseL19gebsrmvn_3xn_kernelILj128ELj1ELj64EdEEvi20rocsparse_direction_NS_24const_host_device_scalarIT2_EEPKiS6_PKS3_S8_S4_PS3_21rocsparse_index_base_b
; %bb.0:
	s_clause 0x2
	s_load_dwordx2 s[2:3], s[4:5], 0x40
	s_load_dwordx2 s[8:9], s[4:5], 0x8
	s_load_dwordx2 s[0:1], s[4:5], 0x30
	s_waitcnt lgkmcnt(0)
	s_bitcmp1_b32 s3, 0
	v_mov_b32_e32 v1, s8
	v_mov_b32_e32 v2, s9
	s_cselect_b32 s3, -1, 0
	s_and_b32 vcc_lo, exec_lo, s3
	s_xor_b32 s3, s3, -1
	s_cbranch_vccnz .LBB41_2
; %bb.1:
	v_mov_b32_e32 v1, s8
	v_mov_b32_e32 v2, s9
	flat_load_dwordx2 v[1:2], v[1:2]
.LBB41_2:
	v_mov_b32_e32 v4, s1
	v_mov_b32_e32 v3, s0
	s_andn2_b32 vcc_lo, exec_lo, s3
	s_cbranch_vccnz .LBB41_4
; %bb.3:
	v_mov_b32_e32 v4, s1
	v_mov_b32_e32 v3, s0
	flat_load_dwordx2 v[3:4], v[3:4]
.LBB41_4:
	s_waitcnt vmcnt(0) lgkmcnt(0)
	v_cmp_neq_f64_e32 vcc_lo, 0, v[1:2]
	v_cmp_neq_f64_e64 s0, 1.0, v[3:4]
	s_or_b32 s0, vcc_lo, s0
	s_and_saveexec_b32 s1, s0
	s_cbranch_execz .LBB41_23
; %bb.5:
	s_load_dwordx2 s[0:1], s[4:5], 0x0
	v_lshrrev_b32_e32 v5, 6, v0
	v_lshl_or_b32 v5, s6, 1, v5
	s_waitcnt lgkmcnt(0)
	v_cmp_gt_i32_e32 vcc_lo, s0, v5
	s_and_b32 exec_lo, exec_lo, vcc_lo
	s_cbranch_execz .LBB41_23
; %bb.6:
	s_load_dwordx8 s[8:15], s[4:5], 0x10
	v_ashrrev_i32_e32 v6, 31, v5
	v_and_b32_e32 v0, 63, v0
	s_cmp_lg_u32 s1, 0
	v_lshlrev_b64 v[6:7], 2, v[5:6]
	s_waitcnt lgkmcnt(0)
	v_add_co_u32 v6, vcc_lo, s8, v6
	v_add_co_ci_u32_e64 v7, null, s9, v7, vcc_lo
	global_load_dwordx2 v[6:7], v[6:7], off
	s_waitcnt vmcnt(0)
	v_subrev_nc_u32_e32 v6, s2, v6
	v_subrev_nc_u32_e32 v17, s2, v7
	v_add_nc_u32_e32 v12, v6, v0
	v_cmp_lt_i32_e64 s0, v12, v17
	s_cbranch_scc0 .LBB41_12
; %bb.7:
	v_mov_b32_e32 v6, 0
	v_mov_b32_e32 v8, 0
	;; [unrolled: 1-line block ×6, first 2 shown]
	s_and_saveexec_b32 s1, s0
	s_cbranch_execz .LBB41_11
; %bb.8:
	v_mov_b32_e32 v6, 0
	v_mov_b32_e32 v8, 0
	;; [unrolled: 1-line block ×3, first 2 shown]
	v_lshl_add_u32 v13, v12, 1, v12
	v_mov_b32_e32 v7, 0
	v_mov_b32_e32 v14, 0
	;; [unrolled: 1-line block ×5, first 2 shown]
	s_mov_b32 s3, 0
.LBB41_9:                               ; =>This Inner Loop Header: Depth=1
	v_ashrrev_i32_e32 v16, 31, v15
	v_lshlrev_b64 v[22:23], 3, v[13:14]
	v_add_nc_u32_e32 v20, 2, v13
	v_mov_b32_e32 v21, v14
	v_mov_b32_e32 v24, v14
	v_lshlrev_b64 v[18:19], 2, v[15:16]
	v_add_nc_u32_e32 v15, 64, v15
	v_lshlrev_b64 v[20:21], 3, v[20:21]
	v_add_co_u32 v18, vcc_lo, s10, v18
	v_add_co_ci_u32_e64 v19, null, s11, v19, vcc_lo
	v_add_co_u32 v22, vcc_lo, s12, v22
	v_add_co_ci_u32_e64 v23, null, s13, v23, vcc_lo
	global_load_dword v16, v[18:19], off
	v_add_nc_u32_e32 v18, 1, v13
	v_mov_b32_e32 v19, v14
	global_load_dwordx2 v[25:26], v[22:23], off
	v_add_nc_u32_e32 v13, 0xc0, v13
	v_lshlrev_b64 v[18:19], 3, v[18:19]
	v_add_co_u32 v18, vcc_lo, s12, v18
	v_add_co_ci_u32_e64 v19, null, s13, v19, vcc_lo
	v_add_co_u32 v20, vcc_lo, s12, v20
	v_add_co_ci_u32_e64 v21, null, s13, v21, vcc_lo
	s_waitcnt vmcnt(1)
	v_subrev_nc_u32_e32 v23, s2, v16
	v_lshlrev_b64 v[22:23], 3, v[23:24]
	v_add_co_u32 v22, vcc_lo, s14, v22
	v_add_co_ci_u32_e64 v23, null, s15, v23, vcc_lo
	s_clause 0x1
	global_load_dwordx2 v[18:19], v[18:19], off
	global_load_dwordx2 v[20:21], v[20:21], off
	;; [unrolled: 1-line block ×3, first 2 shown]
	v_cmp_ge_i32_e32 vcc_lo, v15, v17
	s_or_b32 s3, vcc_lo, s3
	s_waitcnt vmcnt(0)
	v_fma_f64 v[6:7], v[25:26], v[22:23], v[6:7]
	v_fma_f64 v[10:11], v[18:19], v[22:23], v[10:11]
	;; [unrolled: 1-line block ×3, first 2 shown]
	s_andn2_b32 exec_lo, exec_lo, s3
	s_cbranch_execnz .LBB41_9
; %bb.10:
	s_or_b32 exec_lo, exec_lo, s3
.LBB41_11:
	s_or_b32 exec_lo, exec_lo, s1
	s_cbranch_execz .LBB41_13
	s_branch .LBB41_18
.LBB41_12:
                                        ; implicit-def: $vgpr6_vgpr7
                                        ; implicit-def: $vgpr8_vgpr9
                                        ; implicit-def: $vgpr10_vgpr11
.LBB41_13:
	v_mov_b32_e32 v6, 0
	v_mov_b32_e32 v8, 0
	;; [unrolled: 1-line block ×6, first 2 shown]
	s_and_saveexec_b32 s1, s0
	s_cbranch_execz .LBB41_17
; %bb.14:
	v_mov_b32_e32 v6, 0
	v_mov_b32_e32 v8, 0
	;; [unrolled: 1-line block ×3, first 2 shown]
	v_lshl_add_u32 v14, v12, 1, v12
	v_mov_b32_e32 v7, 0
	v_mov_b32_e32 v9, 0
	;; [unrolled: 1-line block ×4, first 2 shown]
	s_mov_b32 s0, 0
.LBB41_15:                              ; =>This Inner Loop Header: Depth=1
	v_ashrrev_i32_e32 v13, 31, v12
	v_lshlrev_b64 v[22:23], 3, v[14:15]
	v_add_nc_u32_e32 v20, 2, v14
	v_mov_b32_e32 v21, v15
	v_mov_b32_e32 v24, v15
	v_lshlrev_b64 v[18:19], 2, v[12:13]
	v_add_nc_u32_e32 v12, 64, v12
	v_lshlrev_b64 v[20:21], 3, v[20:21]
	v_add_co_u32 v18, vcc_lo, s10, v18
	v_add_co_ci_u32_e64 v19, null, s11, v19, vcc_lo
	v_add_co_u32 v22, vcc_lo, s12, v22
	v_add_co_ci_u32_e64 v23, null, s13, v23, vcc_lo
	global_load_dword v13, v[18:19], off
	v_add_nc_u32_e32 v18, 1, v14
	v_mov_b32_e32 v19, v15
	global_load_dwordx2 v[25:26], v[22:23], off
	v_add_nc_u32_e32 v14, 0xc0, v14
	v_lshlrev_b64 v[18:19], 3, v[18:19]
	v_add_co_u32 v18, vcc_lo, s12, v18
	v_add_co_ci_u32_e64 v19, null, s13, v19, vcc_lo
	v_add_co_u32 v20, vcc_lo, s12, v20
	v_add_co_ci_u32_e64 v21, null, s13, v21, vcc_lo
	s_waitcnt vmcnt(1)
	v_subrev_nc_u32_e32 v23, s2, v13
	v_lshlrev_b64 v[22:23], 3, v[23:24]
	v_add_co_u32 v22, vcc_lo, s14, v22
	v_add_co_ci_u32_e64 v23, null, s15, v23, vcc_lo
	s_clause 0x1
	global_load_dwordx2 v[18:19], v[18:19], off
	global_load_dwordx2 v[20:21], v[20:21], off
	;; [unrolled: 1-line block ×3, first 2 shown]
	v_cmp_ge_i32_e32 vcc_lo, v12, v17
	s_or_b32 s0, vcc_lo, s0
	s_waitcnt vmcnt(0)
	v_fma_f64 v[6:7], v[25:26], v[22:23], v[6:7]
	v_fma_f64 v[10:11], v[18:19], v[22:23], v[10:11]
	;; [unrolled: 1-line block ×3, first 2 shown]
	s_andn2_b32 exec_lo, exec_lo, s0
	s_cbranch_execnz .LBB41_15
; %bb.16:
	s_or_b32 exec_lo, exec_lo, s0
.LBB41_17:
	s_or_b32 exec_lo, exec_lo, s1
.LBB41_18:
	v_mbcnt_lo_u32_b32 v18, -1, 0
	v_or_b32_e32 v12, 32, v18
	v_cmp_gt_i32_e32 vcc_lo, 32, v12
	v_cndmask_b32_e32 v12, v18, v12, vcc_lo
	v_lshlrev_b32_e32 v17, 2, v12
	ds_bpermute_b32 v12, v17, v6
	ds_bpermute_b32 v13, v17, v7
	ds_bpermute_b32 v14, v17, v10
	ds_bpermute_b32 v15, v17, v11
	ds_bpermute_b32 v16, v17, v8
	ds_bpermute_b32 v17, v17, v9
	s_waitcnt lgkmcnt(4)
	v_add_f64 v[6:7], v[6:7], v[12:13]
	v_xor_b32_e32 v12, 16, v18
	s_waitcnt lgkmcnt(2)
	v_add_f64 v[10:11], v[10:11], v[14:15]
	s_waitcnt lgkmcnt(0)
	v_add_f64 v[8:9], v[8:9], v[16:17]
	v_cmp_gt_i32_e32 vcc_lo, 32, v12
	v_cndmask_b32_e32 v12, v18, v12, vcc_lo
	v_lshlrev_b32_e32 v17, 2, v12
	ds_bpermute_b32 v12, v17, v6
	ds_bpermute_b32 v13, v17, v7
	ds_bpermute_b32 v14, v17, v10
	ds_bpermute_b32 v15, v17, v11
	ds_bpermute_b32 v16, v17, v8
	ds_bpermute_b32 v17, v17, v9
	s_waitcnt lgkmcnt(4)
	v_add_f64 v[6:7], v[6:7], v[12:13]
	v_xor_b32_e32 v12, 8, v18
	s_waitcnt lgkmcnt(2)
	v_add_f64 v[10:11], v[10:11], v[14:15]
	s_waitcnt lgkmcnt(0)
	v_add_f64 v[8:9], v[8:9], v[16:17]
	;; [unrolled: 16-line block ×3, first 2 shown]
	v_cmp_gt_i32_e32 vcc_lo, 32, v12
	v_cndmask_b32_e32 v12, v18, v12, vcc_lo
	v_lshlrev_b32_e32 v17, 2, v12
	ds_bpermute_b32 v12, v17, v6
	ds_bpermute_b32 v13, v17, v7
	;; [unrolled: 1-line block ×6, first 2 shown]
	s_waitcnt lgkmcnt(4)
	v_add_f64 v[6:7], v[6:7], v[12:13]
	s_waitcnt lgkmcnt(2)
	v_add_f64 v[10:11], v[10:11], v[14:15]
	s_waitcnt lgkmcnt(0)
	v_add_f64 v[12:13], v[8:9], v[16:17]
	v_xor_b32_e32 v8, 2, v18
	v_cmp_gt_i32_e32 vcc_lo, 32, v8
	v_cndmask_b32_e32 v8, v18, v8, vcc_lo
	v_lshlrev_b32_e32 v17, 2, v8
	ds_bpermute_b32 v8, v17, v6
	ds_bpermute_b32 v9, v17, v7
	;; [unrolled: 1-line block ×6, first 2 shown]
	s_waitcnt lgkmcnt(4)
	v_add_f64 v[8:9], v[6:7], v[8:9]
	s_waitcnt lgkmcnt(2)
	v_add_f64 v[6:7], v[10:11], v[14:15]
	v_xor_b32_e32 v10, 1, v18
	s_waitcnt lgkmcnt(0)
	v_add_f64 v[12:13], v[12:13], v[16:17]
	v_cmp_gt_i32_e32 vcc_lo, 32, v10
	v_cndmask_b32_e32 v10, v18, v10, vcc_lo
	v_cmp_eq_u32_e32 vcc_lo, 63, v0
	v_lshlrev_b32_e32 v15, 2, v10
	ds_bpermute_b32 v10, v15, v8
	ds_bpermute_b32 v11, v15, v9
	;; [unrolled: 1-line block ×6, first 2 shown]
	s_and_b32 exec_lo, exec_lo, vcc_lo
	s_cbranch_execz .LBB41_23
; %bb.19:
	s_waitcnt lgkmcnt(4)
	v_add_f64 v[10:11], v[8:9], v[10:11]
	s_waitcnt lgkmcnt(2)
	v_add_f64 v[8:9], v[6:7], v[16:17]
	;; [unrolled: 2-line block ×3, first 2 shown]
	s_load_dwordx2 s[0:1], s[4:5], 0x38
	s_mov_b32 s2, exec_lo
	v_cmpx_eq_f64_e32 0, v[3:4]
	s_xor_b32 s2, exec_lo, s2
	s_cbranch_execz .LBB41_21
; %bb.20:
	v_lshl_add_u32 v0, v5, 1, v5
	v_mul_f64 v[10:11], v[1:2], v[10:11]
	v_mul_f64 v[12:13], v[1:2], v[8:9]
	;; [unrolled: 1-line block ×3, first 2 shown]
                                        ; implicit-def: $vgpr5
                                        ; implicit-def: $vgpr8_vgpr9
                                        ; implicit-def: $vgpr6_vgpr7
	v_ashrrev_i32_e32 v1, 31, v0
	v_lshlrev_b64 v[0:1], 3, v[0:1]
	s_waitcnt lgkmcnt(0)
	v_add_co_u32 v0, vcc_lo, s0, v0
	v_add_co_ci_u32_e64 v1, null, s1, v1, vcc_lo
	global_store_dwordx4 v[0:1], v[10:13], off
	global_store_dwordx2 v[0:1], v[2:3], off offset:16
                                        ; implicit-def: $vgpr1_vgpr2
                                        ; implicit-def: $vgpr10_vgpr11
                                        ; implicit-def: $vgpr3_vgpr4
.LBB41_21:
	s_andn2_saveexec_b32 s2, s2
	s_cbranch_execz .LBB41_23
; %bb.22:
	v_lshl_add_u32 v12, v5, 1, v5
	v_mul_f64 v[10:11], v[1:2], v[10:11]
	v_mul_f64 v[8:9], v[1:2], v[8:9]
	;; [unrolled: 1-line block ×3, first 2 shown]
	v_ashrrev_i32_e32 v13, 31, v12
	v_lshlrev_b64 v[12:13], 3, v[12:13]
	s_waitcnt lgkmcnt(0)
	v_add_co_u32 v16, vcc_lo, s0, v12
	v_add_co_ci_u32_e64 v17, null, s1, v13, vcc_lo
	s_clause 0x1
	global_load_dwordx4 v[12:15], v[16:17], off
	global_load_dwordx2 v[18:19], v[16:17], off offset:16
	s_waitcnt vmcnt(1)
	v_fma_f64 v[5:6], v[3:4], v[12:13], v[10:11]
	v_fma_f64 v[7:8], v[3:4], v[14:15], v[8:9]
	s_waitcnt vmcnt(0)
	v_fma_f64 v[0:1], v[3:4], v[18:19], v[0:1]
	global_store_dwordx4 v[16:17], v[5:8], off
	global_store_dwordx2 v[16:17], v[0:1], off offset:16
.LBB41_23:
	s_endpgm
	.section	.rodata,"a",@progbits
	.p2align	6, 0x0
	.amdhsa_kernel _ZN9rocsparseL19gebsrmvn_3xn_kernelILj128ELj1ELj64EdEEvi20rocsparse_direction_NS_24const_host_device_scalarIT2_EEPKiS6_PKS3_S8_S4_PS3_21rocsparse_index_base_b
		.amdhsa_group_segment_fixed_size 0
		.amdhsa_private_segment_fixed_size 0
		.amdhsa_kernarg_size 72
		.amdhsa_user_sgpr_count 6
		.amdhsa_user_sgpr_private_segment_buffer 1
		.amdhsa_user_sgpr_dispatch_ptr 0
		.amdhsa_user_sgpr_queue_ptr 0
		.amdhsa_user_sgpr_kernarg_segment_ptr 1
		.amdhsa_user_sgpr_dispatch_id 0
		.amdhsa_user_sgpr_flat_scratch_init 0
		.amdhsa_user_sgpr_private_segment_size 0
		.amdhsa_wavefront_size32 1
		.amdhsa_uses_dynamic_stack 0
		.amdhsa_system_sgpr_private_segment_wavefront_offset 0
		.amdhsa_system_sgpr_workgroup_id_x 1
		.amdhsa_system_sgpr_workgroup_id_y 0
		.amdhsa_system_sgpr_workgroup_id_z 0
		.amdhsa_system_sgpr_workgroup_info 0
		.amdhsa_system_vgpr_workitem_id 0
		.amdhsa_next_free_vgpr 27
		.amdhsa_next_free_sgpr 16
		.amdhsa_reserve_vcc 1
		.amdhsa_reserve_flat_scratch 0
		.amdhsa_float_round_mode_32 0
		.amdhsa_float_round_mode_16_64 0
		.amdhsa_float_denorm_mode_32 3
		.amdhsa_float_denorm_mode_16_64 3
		.amdhsa_dx10_clamp 1
		.amdhsa_ieee_mode 1
		.amdhsa_fp16_overflow 0
		.amdhsa_workgroup_processor_mode 1
		.amdhsa_memory_ordered 1
		.amdhsa_forward_progress 1
		.amdhsa_shared_vgpr_count 0
		.amdhsa_exception_fp_ieee_invalid_op 0
		.amdhsa_exception_fp_denorm_src 0
		.amdhsa_exception_fp_ieee_div_zero 0
		.amdhsa_exception_fp_ieee_overflow 0
		.amdhsa_exception_fp_ieee_underflow 0
		.amdhsa_exception_fp_ieee_inexact 0
		.amdhsa_exception_int_div_zero 0
	.end_amdhsa_kernel
	.section	.text._ZN9rocsparseL19gebsrmvn_3xn_kernelILj128ELj1ELj64EdEEvi20rocsparse_direction_NS_24const_host_device_scalarIT2_EEPKiS6_PKS3_S8_S4_PS3_21rocsparse_index_base_b,"axG",@progbits,_ZN9rocsparseL19gebsrmvn_3xn_kernelILj128ELj1ELj64EdEEvi20rocsparse_direction_NS_24const_host_device_scalarIT2_EEPKiS6_PKS3_S8_S4_PS3_21rocsparse_index_base_b,comdat
.Lfunc_end41:
	.size	_ZN9rocsparseL19gebsrmvn_3xn_kernelILj128ELj1ELj64EdEEvi20rocsparse_direction_NS_24const_host_device_scalarIT2_EEPKiS6_PKS3_S8_S4_PS3_21rocsparse_index_base_b, .Lfunc_end41-_ZN9rocsparseL19gebsrmvn_3xn_kernelILj128ELj1ELj64EdEEvi20rocsparse_direction_NS_24const_host_device_scalarIT2_EEPKiS6_PKS3_S8_S4_PS3_21rocsparse_index_base_b
                                        ; -- End function
	.set _ZN9rocsparseL19gebsrmvn_3xn_kernelILj128ELj1ELj64EdEEvi20rocsparse_direction_NS_24const_host_device_scalarIT2_EEPKiS6_PKS3_S8_S4_PS3_21rocsparse_index_base_b.num_vgpr, 27
	.set _ZN9rocsparseL19gebsrmvn_3xn_kernelILj128ELj1ELj64EdEEvi20rocsparse_direction_NS_24const_host_device_scalarIT2_EEPKiS6_PKS3_S8_S4_PS3_21rocsparse_index_base_b.num_agpr, 0
	.set _ZN9rocsparseL19gebsrmvn_3xn_kernelILj128ELj1ELj64EdEEvi20rocsparse_direction_NS_24const_host_device_scalarIT2_EEPKiS6_PKS3_S8_S4_PS3_21rocsparse_index_base_b.numbered_sgpr, 16
	.set _ZN9rocsparseL19gebsrmvn_3xn_kernelILj128ELj1ELj64EdEEvi20rocsparse_direction_NS_24const_host_device_scalarIT2_EEPKiS6_PKS3_S8_S4_PS3_21rocsparse_index_base_b.num_named_barrier, 0
	.set _ZN9rocsparseL19gebsrmvn_3xn_kernelILj128ELj1ELj64EdEEvi20rocsparse_direction_NS_24const_host_device_scalarIT2_EEPKiS6_PKS3_S8_S4_PS3_21rocsparse_index_base_b.private_seg_size, 0
	.set _ZN9rocsparseL19gebsrmvn_3xn_kernelILj128ELj1ELj64EdEEvi20rocsparse_direction_NS_24const_host_device_scalarIT2_EEPKiS6_PKS3_S8_S4_PS3_21rocsparse_index_base_b.uses_vcc, 1
	.set _ZN9rocsparseL19gebsrmvn_3xn_kernelILj128ELj1ELj64EdEEvi20rocsparse_direction_NS_24const_host_device_scalarIT2_EEPKiS6_PKS3_S8_S4_PS3_21rocsparse_index_base_b.uses_flat_scratch, 0
	.set _ZN9rocsparseL19gebsrmvn_3xn_kernelILj128ELj1ELj64EdEEvi20rocsparse_direction_NS_24const_host_device_scalarIT2_EEPKiS6_PKS3_S8_S4_PS3_21rocsparse_index_base_b.has_dyn_sized_stack, 0
	.set _ZN9rocsparseL19gebsrmvn_3xn_kernelILj128ELj1ELj64EdEEvi20rocsparse_direction_NS_24const_host_device_scalarIT2_EEPKiS6_PKS3_S8_S4_PS3_21rocsparse_index_base_b.has_recursion, 0
	.set _ZN9rocsparseL19gebsrmvn_3xn_kernelILj128ELj1ELj64EdEEvi20rocsparse_direction_NS_24const_host_device_scalarIT2_EEPKiS6_PKS3_S8_S4_PS3_21rocsparse_index_base_b.has_indirect_call, 0
	.section	.AMDGPU.csdata,"",@progbits
; Kernel info:
; codeLenInByte = 1800
; TotalNumSgprs: 18
; NumVgprs: 27
; ScratchSize: 0
; MemoryBound: 0
; FloatMode: 240
; IeeeMode: 1
; LDSByteSize: 0 bytes/workgroup (compile time only)
; SGPRBlocks: 0
; VGPRBlocks: 3
; NumSGPRsForWavesPerEU: 18
; NumVGPRsForWavesPerEU: 27
; Occupancy: 16
; WaveLimiterHint : 1
; COMPUTE_PGM_RSRC2:SCRATCH_EN: 0
; COMPUTE_PGM_RSRC2:USER_SGPR: 6
; COMPUTE_PGM_RSRC2:TRAP_HANDLER: 0
; COMPUTE_PGM_RSRC2:TGID_X_EN: 1
; COMPUTE_PGM_RSRC2:TGID_Y_EN: 0
; COMPUTE_PGM_RSRC2:TGID_Z_EN: 0
; COMPUTE_PGM_RSRC2:TIDIG_COMP_CNT: 0
	.section	.text._ZN9rocsparseL19gebsrmvn_3xn_kernelILj128ELj2ELj4EdEEvi20rocsparse_direction_NS_24const_host_device_scalarIT2_EEPKiS6_PKS3_S8_S4_PS3_21rocsparse_index_base_b,"axG",@progbits,_ZN9rocsparseL19gebsrmvn_3xn_kernelILj128ELj2ELj4EdEEvi20rocsparse_direction_NS_24const_host_device_scalarIT2_EEPKiS6_PKS3_S8_S4_PS3_21rocsparse_index_base_b,comdat
	.globl	_ZN9rocsparseL19gebsrmvn_3xn_kernelILj128ELj2ELj4EdEEvi20rocsparse_direction_NS_24const_host_device_scalarIT2_EEPKiS6_PKS3_S8_S4_PS3_21rocsparse_index_base_b ; -- Begin function _ZN9rocsparseL19gebsrmvn_3xn_kernelILj128ELj2ELj4EdEEvi20rocsparse_direction_NS_24const_host_device_scalarIT2_EEPKiS6_PKS3_S8_S4_PS3_21rocsparse_index_base_b
	.p2align	8
	.type	_ZN9rocsparseL19gebsrmvn_3xn_kernelILj128ELj2ELj4EdEEvi20rocsparse_direction_NS_24const_host_device_scalarIT2_EEPKiS6_PKS3_S8_S4_PS3_21rocsparse_index_base_b,@function
_ZN9rocsparseL19gebsrmvn_3xn_kernelILj128ELj2ELj4EdEEvi20rocsparse_direction_NS_24const_host_device_scalarIT2_EEPKiS6_PKS3_S8_S4_PS3_21rocsparse_index_base_b: ; @_ZN9rocsparseL19gebsrmvn_3xn_kernelILj128ELj2ELj4EdEEvi20rocsparse_direction_NS_24const_host_device_scalarIT2_EEPKiS6_PKS3_S8_S4_PS3_21rocsparse_index_base_b
; %bb.0:
	s_clause 0x2
	s_load_dwordx2 s[2:3], s[4:5], 0x40
	s_load_dwordx2 s[8:9], s[4:5], 0x8
	;; [unrolled: 1-line block ×3, first 2 shown]
	s_waitcnt lgkmcnt(0)
	s_bitcmp1_b32 s3, 0
	v_mov_b32_e32 v1, s8
	v_mov_b32_e32 v2, s9
	s_cselect_b32 s3, -1, 0
	s_and_b32 vcc_lo, exec_lo, s3
	s_xor_b32 s3, s3, -1
	s_cbranch_vccnz .LBB42_2
; %bb.1:
	v_mov_b32_e32 v1, s8
	v_mov_b32_e32 v2, s9
	flat_load_dwordx2 v[1:2], v[1:2]
.LBB42_2:
	v_mov_b32_e32 v4, s1
	v_mov_b32_e32 v3, s0
	s_andn2_b32 vcc_lo, exec_lo, s3
	s_cbranch_vccnz .LBB42_4
; %bb.3:
	v_mov_b32_e32 v4, s1
	v_mov_b32_e32 v3, s0
	flat_load_dwordx2 v[3:4], v[3:4]
.LBB42_4:
	s_waitcnt vmcnt(0) lgkmcnt(0)
	v_cmp_neq_f64_e32 vcc_lo, 0, v[1:2]
	v_cmp_neq_f64_e64 s0, 1.0, v[3:4]
	s_or_b32 s0, vcc_lo, s0
	s_and_saveexec_b32 s1, s0
	s_cbranch_execz .LBB42_23
; %bb.5:
	s_load_dwordx2 s[0:1], s[4:5], 0x0
	v_lshrrev_b32_e32 v5, 2, v0
	v_lshl_or_b32 v5, s6, 5, v5
	s_waitcnt lgkmcnt(0)
	v_cmp_gt_i32_e32 vcc_lo, s0, v5
	s_and_b32 exec_lo, exec_lo, vcc_lo
	s_cbranch_execz .LBB42_23
; %bb.6:
	s_load_dwordx8 s[8:15], s[4:5], 0x10
	v_ashrrev_i32_e32 v6, 31, v5
	v_and_b32_e32 v0, 3, v0
	s_cmp_lg_u32 s1, 0
	v_lshlrev_b64 v[6:7], 2, v[5:6]
	s_waitcnt lgkmcnt(0)
	v_add_co_u32 v6, vcc_lo, s8, v6
	v_add_co_ci_u32_e64 v7, null, s9, v7, vcc_lo
	global_load_dwordx2 v[6:7], v[6:7], off
	s_waitcnt vmcnt(0)
	v_subrev_nc_u32_e32 v6, s2, v6
	v_subrev_nc_u32_e32 v19, s2, v7
	v_add_nc_u32_e32 v12, v6, v0
	v_cmp_lt_i32_e64 s0, v12, v19
	s_cbranch_scc0 .LBB42_12
; %bb.7:
	v_mov_b32_e32 v6, 0
	v_mov_b32_e32 v8, 0
	v_mov_b32_e32 v10, 0
	v_mov_b32_e32 v7, 0
	v_mov_b32_e32 v9, 0
	v_mov_b32_e32 v11, 0
	s_and_saveexec_b32 s1, s0
	s_cbranch_execz .LBB42_11
; %bb.8:
	v_mad_u64_u32 v[13:14], null, v12, 6, 5
	v_mov_b32_e32 v6, 0
	v_mov_b32_e32 v8, 0
	v_mov_b32_e32 v10, 0
	v_mov_b32_e32 v7, 0
	v_mov_b32_e32 v16, 0
	v_mov_b32_e32 v9, 0
	v_mov_b32_e32 v11, 0
	v_mov_b32_e32 v17, v12
	s_mov_b32 s3, 0
.LBB42_9:                               ; =>This Inner Loop Header: Depth=1
	v_ashrrev_i32_e32 v18, 31, v17
	v_mov_b32_e32 v21, v16
	v_lshlrev_b64 v[14:15], 2, v[17:18]
	v_add_nc_u32_e32 v17, 4, v17
	v_add_co_u32 v14, vcc_lo, s10, v14
	v_add_co_ci_u32_e64 v15, null, s11, v15, vcc_lo
	global_load_dword v18, v[14:15], off
	v_mov_b32_e32 v14, v16
	v_add_nc_u32_e32 v15, -5, v13
	v_lshlrev_b64 v[28:29], 3, v[13:14]
	v_lshlrev_b64 v[22:23], 3, v[15:16]
	v_add_nc_u32_e32 v15, -3, v13
	v_lshlrev_b64 v[24:25], 3, v[15:16]
	v_add_co_u32 v22, vcc_lo, s12, v22
	v_add_co_ci_u32_e64 v23, null, s13, v23, vcc_lo
	v_add_nc_u32_e32 v15, -2, v13
	v_add_co_u32 v24, vcc_lo, s12, v24
	v_add_co_ci_u32_e64 v25, null, s13, v25, vcc_lo
	v_lshlrev_b64 v[32:33], 3, v[15:16]
	v_add_nc_u32_e32 v15, -1, v13
	v_add_nc_u32_e32 v13, 24, v13
	s_waitcnt vmcnt(0)
	v_subrev_nc_u32_e32 v14, s2, v18
	v_lshlrev_b32_e32 v20, 1, v14
	v_lshlrev_b64 v[14:15], 3, v[15:16]
	v_lshlrev_b64 v[20:21], 3, v[20:21]
	v_add_co_u32 v26, vcc_lo, s14, v20
	v_add_co_ci_u32_e64 v27, null, s15, v21, vcc_lo
	v_add_co_u32 v28, vcc_lo, s12, v28
	s_clause 0x1
	global_load_dwordx4 v[20:23], v[22:23], off
	global_load_dwordx2 v[30:31], v[24:25], off
	global_load_dwordx4 v[24:27], v[26:27], off
	v_add_co_ci_u32_e64 v29, null, s13, v29, vcc_lo
	v_add_co_u32 v32, vcc_lo, s12, v32
	v_add_co_ci_u32_e64 v33, null, s13, v33, vcc_lo
	v_add_co_u32 v14, vcc_lo, s12, v14
	v_add_co_ci_u32_e64 v15, null, s13, v15, vcc_lo
	s_clause 0x2
	global_load_dwordx2 v[32:33], v[32:33], off
	global_load_dwordx2 v[14:15], v[14:15], off
	;; [unrolled: 1-line block ×3, first 2 shown]
	v_cmp_ge_i32_e32 vcc_lo, v17, v19
	s_or_b32 s3, vcc_lo, s3
	s_waitcnt vmcnt(3)
	v_fma_f64 v[6:7], v[20:21], v[24:25], v[6:7]
	v_fma_f64 v[10:11], v[22:23], v[24:25], v[10:11]
	;; [unrolled: 1-line block ×3, first 2 shown]
	s_waitcnt vmcnt(2)
	v_fma_f64 v[6:7], v[32:33], v[26:27], v[6:7]
	s_waitcnt vmcnt(1)
	v_fma_f64 v[10:11], v[14:15], v[26:27], v[10:11]
	;; [unrolled: 2-line block ×3, first 2 shown]
	s_andn2_b32 exec_lo, exec_lo, s3
	s_cbranch_execnz .LBB42_9
; %bb.10:
	s_or_b32 exec_lo, exec_lo, s3
.LBB42_11:
	s_or_b32 exec_lo, exec_lo, s1
	s_cbranch_execz .LBB42_13
	s_branch .LBB42_18
.LBB42_12:
                                        ; implicit-def: $vgpr6_vgpr7
                                        ; implicit-def: $vgpr8_vgpr9
                                        ; implicit-def: $vgpr10_vgpr11
.LBB42_13:
	v_mov_b32_e32 v6, 0
	v_mov_b32_e32 v8, 0
	;; [unrolled: 1-line block ×6, first 2 shown]
	s_and_saveexec_b32 s1, s0
	s_cbranch_execz .LBB42_17
; %bb.14:
	v_mad_u64_u32 v[14:15], null, v12, 6, 5
	v_mov_b32_e32 v6, 0
	v_mov_b32_e32 v8, 0
	;; [unrolled: 1-line block ×7, first 2 shown]
	s_mov_b32 s0, 0
.LBB42_15:                              ; =>This Inner Loop Header: Depth=1
	v_ashrrev_i32_e32 v13, 31, v12
	v_add_nc_u32_e32 v20, -3, v14
	v_mov_b32_e32 v21, v17
	v_add_nc_u32_e32 v22, -1, v14
	v_mov_b32_e32 v23, v17
	v_lshlrev_b64 v[15:16], 2, v[12:13]
	v_mov_b32_e32 v25, v17
	v_lshlrev_b64 v[20:21], 3, v[20:21]
	v_add_nc_u32_e32 v12, 4, v12
	v_lshlrev_b64 v[22:23], 3, v[22:23]
	v_add_co_u32 v15, vcc_lo, s10, v15
	v_add_co_ci_u32_e64 v16, null, s11, v16, vcc_lo
	global_load_dword v13, v[15:16], off
	v_add_nc_u32_e32 v16, -5, v14
	v_lshlrev_b64 v[15:16], 3, v[16:17]
	v_add_co_u32 v15, vcc_lo, s12, v15
	v_add_co_ci_u32_e64 v16, null, s13, v16, vcc_lo
	v_add_co_u32 v26, vcc_lo, s12, v20
	v_add_co_ci_u32_e64 v27, null, s13, v21, vcc_lo
	;; [unrolled: 2-line block ×3, first 2 shown]
	global_load_dwordx4 v[20:23], v[15:16], off
	s_waitcnt vmcnt(1)
	v_subrev_nc_u32_e32 v13, s2, v13
	v_lshlrev_b32_e32 v24, 1, v13
	v_lshlrev_b64 v[15:16], 3, v[24:25]
	v_add_co_u32 v15, vcc_lo, s14, v15
	v_add_co_ci_u32_e64 v16, null, s15, v16, vcc_lo
	s_clause 0x1
	global_load_dwordx2 v[30:31], v[26:27], off
	global_load_dwordx2 v[28:29], v[28:29], off
	global_load_dwordx4 v[24:27], v[15:16], off
	v_mov_b32_e32 v15, v17
	v_add_nc_u32_e32 v16, -2, v14
	v_lshlrev_b64 v[32:33], 3, v[14:15]
	v_lshlrev_b64 v[15:16], 3, v[16:17]
	v_add_nc_u32_e32 v14, 24, v14
	v_add_co_u32 v32, vcc_lo, s12, v32
	v_add_co_ci_u32_e64 v33, null, s13, v33, vcc_lo
	v_add_co_u32 v15, vcc_lo, s12, v15
	v_add_co_ci_u32_e64 v16, null, s13, v16, vcc_lo
	s_clause 0x1
	global_load_dwordx2 v[15:16], v[15:16], off
	global_load_dwordx2 v[32:33], v[32:33], off
	v_cmp_ge_i32_e32 vcc_lo, v12, v19
	s_or_b32 s0, vcc_lo, s0
	s_waitcnt vmcnt(2)
	v_fma_f64 v[6:7], v[20:21], v[24:25], v[6:7]
	v_fma_f64 v[10:11], v[30:31], v[24:25], v[10:11]
	;; [unrolled: 1-line block ×4, first 2 shown]
	s_waitcnt vmcnt(1)
	v_fma_f64 v[10:11], v[15:16], v[26:27], v[10:11]
	s_waitcnt vmcnt(0)
	v_fma_f64 v[8:9], v[32:33], v[26:27], v[8:9]
	s_andn2_b32 exec_lo, exec_lo, s0
	s_cbranch_execnz .LBB42_15
; %bb.16:
	s_or_b32 exec_lo, exec_lo, s0
.LBB42_17:
	s_or_b32 exec_lo, exec_lo, s1
.LBB42_18:
	v_mbcnt_lo_u32_b32 v20, -1, 0
	v_xor_b32_e32 v12, 2, v20
	v_cmp_gt_i32_e32 vcc_lo, 32, v12
	v_cndmask_b32_e32 v12, v20, v12, vcc_lo
	v_lshlrev_b32_e32 v14, 2, v12
	ds_bpermute_b32 v12, v14, v6
	ds_bpermute_b32 v13, v14, v7
	;; [unrolled: 1-line block ×6, first 2 shown]
	s_waitcnt lgkmcnt(4)
	v_add_f64 v[14:15], v[6:7], v[12:13]
	s_waitcnt lgkmcnt(2)
	v_add_f64 v[6:7], v[10:11], v[16:17]
	;; [unrolled: 2-line block ×3, first 2 shown]
	v_xor_b32_e32 v8, 1, v20
	v_cmp_gt_i32_e32 vcc_lo, 32, v8
	v_cndmask_b32_e32 v8, v20, v8, vcc_lo
	v_cmp_eq_u32_e32 vcc_lo, 3, v0
	v_lshlrev_b32_e32 v17, 2, v8
	ds_bpermute_b32 v10, v17, v14
	ds_bpermute_b32 v11, v17, v15
	;; [unrolled: 1-line block ×6, first 2 shown]
	s_and_b32 exec_lo, exec_lo, vcc_lo
	s_cbranch_execz .LBB42_23
; %bb.19:
	s_waitcnt lgkmcnt(4)
	v_add_f64 v[10:11], v[14:15], v[10:11]
	s_waitcnt lgkmcnt(2)
	v_add_f64 v[8:9], v[6:7], v[8:9]
	;; [unrolled: 2-line block ×3, first 2 shown]
	s_load_dwordx2 s[0:1], s[4:5], 0x38
	s_mov_b32 s2, exec_lo
	v_cmpx_eq_f64_e32 0, v[3:4]
	s_xor_b32 s2, exec_lo, s2
	s_cbranch_execz .LBB42_21
; %bb.20:
	v_lshl_add_u32 v0, v5, 1, v5
	v_mul_f64 v[10:11], v[1:2], v[10:11]
	v_mul_f64 v[12:13], v[1:2], v[8:9]
	;; [unrolled: 1-line block ×3, first 2 shown]
                                        ; implicit-def: $vgpr5
                                        ; implicit-def: $vgpr8_vgpr9
                                        ; implicit-def: $vgpr6_vgpr7
	v_ashrrev_i32_e32 v1, 31, v0
	v_lshlrev_b64 v[0:1], 3, v[0:1]
	s_waitcnt lgkmcnt(0)
	v_add_co_u32 v0, vcc_lo, s0, v0
	v_add_co_ci_u32_e64 v1, null, s1, v1, vcc_lo
	global_store_dwordx4 v[0:1], v[10:13], off
	global_store_dwordx2 v[0:1], v[2:3], off offset:16
                                        ; implicit-def: $vgpr1_vgpr2
                                        ; implicit-def: $vgpr10_vgpr11
                                        ; implicit-def: $vgpr3_vgpr4
.LBB42_21:
	s_andn2_saveexec_b32 s2, s2
	s_cbranch_execz .LBB42_23
; %bb.22:
	v_lshl_add_u32 v12, v5, 1, v5
	v_mul_f64 v[10:11], v[1:2], v[10:11]
	v_mul_f64 v[8:9], v[1:2], v[8:9]
	;; [unrolled: 1-line block ×3, first 2 shown]
	v_ashrrev_i32_e32 v13, 31, v12
	v_lshlrev_b64 v[12:13], 3, v[12:13]
	s_waitcnt lgkmcnt(0)
	v_add_co_u32 v16, vcc_lo, s0, v12
	v_add_co_ci_u32_e64 v17, null, s1, v13, vcc_lo
	s_clause 0x1
	global_load_dwordx4 v[12:15], v[16:17], off
	global_load_dwordx2 v[18:19], v[16:17], off offset:16
	s_waitcnt vmcnt(1)
	v_fma_f64 v[5:6], v[3:4], v[12:13], v[10:11]
	v_fma_f64 v[7:8], v[3:4], v[14:15], v[8:9]
	s_waitcnt vmcnt(0)
	v_fma_f64 v[0:1], v[3:4], v[18:19], v[0:1]
	global_store_dwordx4 v[16:17], v[5:8], off
	global_store_dwordx2 v[16:17], v[0:1], off offset:16
.LBB42_23:
	s_endpgm
	.section	.rodata,"a",@progbits
	.p2align	6, 0x0
	.amdhsa_kernel _ZN9rocsparseL19gebsrmvn_3xn_kernelILj128ELj2ELj4EdEEvi20rocsparse_direction_NS_24const_host_device_scalarIT2_EEPKiS6_PKS3_S8_S4_PS3_21rocsparse_index_base_b
		.amdhsa_group_segment_fixed_size 0
		.amdhsa_private_segment_fixed_size 0
		.amdhsa_kernarg_size 72
		.amdhsa_user_sgpr_count 6
		.amdhsa_user_sgpr_private_segment_buffer 1
		.amdhsa_user_sgpr_dispatch_ptr 0
		.amdhsa_user_sgpr_queue_ptr 0
		.amdhsa_user_sgpr_kernarg_segment_ptr 1
		.amdhsa_user_sgpr_dispatch_id 0
		.amdhsa_user_sgpr_flat_scratch_init 0
		.amdhsa_user_sgpr_private_segment_size 0
		.amdhsa_wavefront_size32 1
		.amdhsa_uses_dynamic_stack 0
		.amdhsa_system_sgpr_private_segment_wavefront_offset 0
		.amdhsa_system_sgpr_workgroup_id_x 1
		.amdhsa_system_sgpr_workgroup_id_y 0
		.amdhsa_system_sgpr_workgroup_id_z 0
		.amdhsa_system_sgpr_workgroup_info 0
		.amdhsa_system_vgpr_workitem_id 0
		.amdhsa_next_free_vgpr 34
		.amdhsa_next_free_sgpr 16
		.amdhsa_reserve_vcc 1
		.amdhsa_reserve_flat_scratch 0
		.amdhsa_float_round_mode_32 0
		.amdhsa_float_round_mode_16_64 0
		.amdhsa_float_denorm_mode_32 3
		.amdhsa_float_denorm_mode_16_64 3
		.amdhsa_dx10_clamp 1
		.amdhsa_ieee_mode 1
		.amdhsa_fp16_overflow 0
		.amdhsa_workgroup_processor_mode 1
		.amdhsa_memory_ordered 1
		.amdhsa_forward_progress 1
		.amdhsa_shared_vgpr_count 0
		.amdhsa_exception_fp_ieee_invalid_op 0
		.amdhsa_exception_fp_denorm_src 0
		.amdhsa_exception_fp_ieee_div_zero 0
		.amdhsa_exception_fp_ieee_overflow 0
		.amdhsa_exception_fp_ieee_underflow 0
		.amdhsa_exception_fp_ieee_inexact 0
		.amdhsa_exception_int_div_zero 0
	.end_amdhsa_kernel
	.section	.text._ZN9rocsparseL19gebsrmvn_3xn_kernelILj128ELj2ELj4EdEEvi20rocsparse_direction_NS_24const_host_device_scalarIT2_EEPKiS6_PKS3_S8_S4_PS3_21rocsparse_index_base_b,"axG",@progbits,_ZN9rocsparseL19gebsrmvn_3xn_kernelILj128ELj2ELj4EdEEvi20rocsparse_direction_NS_24const_host_device_scalarIT2_EEPKiS6_PKS3_S8_S4_PS3_21rocsparse_index_base_b,comdat
.Lfunc_end42:
	.size	_ZN9rocsparseL19gebsrmvn_3xn_kernelILj128ELj2ELj4EdEEvi20rocsparse_direction_NS_24const_host_device_scalarIT2_EEPKiS6_PKS3_S8_S4_PS3_21rocsparse_index_base_b, .Lfunc_end42-_ZN9rocsparseL19gebsrmvn_3xn_kernelILj128ELj2ELj4EdEEvi20rocsparse_direction_NS_24const_host_device_scalarIT2_EEPKiS6_PKS3_S8_S4_PS3_21rocsparse_index_base_b
                                        ; -- End function
	.set _ZN9rocsparseL19gebsrmvn_3xn_kernelILj128ELj2ELj4EdEEvi20rocsparse_direction_NS_24const_host_device_scalarIT2_EEPKiS6_PKS3_S8_S4_PS3_21rocsparse_index_base_b.num_vgpr, 34
	.set _ZN9rocsparseL19gebsrmvn_3xn_kernelILj128ELj2ELj4EdEEvi20rocsparse_direction_NS_24const_host_device_scalarIT2_EEPKiS6_PKS3_S8_S4_PS3_21rocsparse_index_base_b.num_agpr, 0
	.set _ZN9rocsparseL19gebsrmvn_3xn_kernelILj128ELj2ELj4EdEEvi20rocsparse_direction_NS_24const_host_device_scalarIT2_EEPKiS6_PKS3_S8_S4_PS3_21rocsparse_index_base_b.numbered_sgpr, 16
	.set _ZN9rocsparseL19gebsrmvn_3xn_kernelILj128ELj2ELj4EdEEvi20rocsparse_direction_NS_24const_host_device_scalarIT2_EEPKiS6_PKS3_S8_S4_PS3_21rocsparse_index_base_b.num_named_barrier, 0
	.set _ZN9rocsparseL19gebsrmvn_3xn_kernelILj128ELj2ELj4EdEEvi20rocsparse_direction_NS_24const_host_device_scalarIT2_EEPKiS6_PKS3_S8_S4_PS3_21rocsparse_index_base_b.private_seg_size, 0
	.set _ZN9rocsparseL19gebsrmvn_3xn_kernelILj128ELj2ELj4EdEEvi20rocsparse_direction_NS_24const_host_device_scalarIT2_EEPKiS6_PKS3_S8_S4_PS3_21rocsparse_index_base_b.uses_vcc, 1
	.set _ZN9rocsparseL19gebsrmvn_3xn_kernelILj128ELj2ELj4EdEEvi20rocsparse_direction_NS_24const_host_device_scalarIT2_EEPKiS6_PKS3_S8_S4_PS3_21rocsparse_index_base_b.uses_flat_scratch, 0
	.set _ZN9rocsparseL19gebsrmvn_3xn_kernelILj128ELj2ELj4EdEEvi20rocsparse_direction_NS_24const_host_device_scalarIT2_EEPKiS6_PKS3_S8_S4_PS3_21rocsparse_index_base_b.has_dyn_sized_stack, 0
	.set _ZN9rocsparseL19gebsrmvn_3xn_kernelILj128ELj2ELj4EdEEvi20rocsparse_direction_NS_24const_host_device_scalarIT2_EEPKiS6_PKS3_S8_S4_PS3_21rocsparse_index_base_b.has_recursion, 0
	.set _ZN9rocsparseL19gebsrmvn_3xn_kernelILj128ELj2ELj4EdEEvi20rocsparse_direction_NS_24const_host_device_scalarIT2_EEPKiS6_PKS3_S8_S4_PS3_21rocsparse_index_base_b.has_indirect_call, 0
	.section	.AMDGPU.csdata,"",@progbits
; Kernel info:
; codeLenInByte = 1620
; TotalNumSgprs: 18
; NumVgprs: 34
; ScratchSize: 0
; MemoryBound: 0
; FloatMode: 240
; IeeeMode: 1
; LDSByteSize: 0 bytes/workgroup (compile time only)
; SGPRBlocks: 0
; VGPRBlocks: 4
; NumSGPRsForWavesPerEU: 18
; NumVGPRsForWavesPerEU: 34
; Occupancy: 16
; WaveLimiterHint : 1
; COMPUTE_PGM_RSRC2:SCRATCH_EN: 0
; COMPUTE_PGM_RSRC2:USER_SGPR: 6
; COMPUTE_PGM_RSRC2:TRAP_HANDLER: 0
; COMPUTE_PGM_RSRC2:TGID_X_EN: 1
; COMPUTE_PGM_RSRC2:TGID_Y_EN: 0
; COMPUTE_PGM_RSRC2:TGID_Z_EN: 0
; COMPUTE_PGM_RSRC2:TIDIG_COMP_CNT: 0
	.section	.text._ZN9rocsparseL19gebsrmvn_3xn_kernelILj128ELj2ELj8EdEEvi20rocsparse_direction_NS_24const_host_device_scalarIT2_EEPKiS6_PKS3_S8_S4_PS3_21rocsparse_index_base_b,"axG",@progbits,_ZN9rocsparseL19gebsrmvn_3xn_kernelILj128ELj2ELj8EdEEvi20rocsparse_direction_NS_24const_host_device_scalarIT2_EEPKiS6_PKS3_S8_S4_PS3_21rocsparse_index_base_b,comdat
	.globl	_ZN9rocsparseL19gebsrmvn_3xn_kernelILj128ELj2ELj8EdEEvi20rocsparse_direction_NS_24const_host_device_scalarIT2_EEPKiS6_PKS3_S8_S4_PS3_21rocsparse_index_base_b ; -- Begin function _ZN9rocsparseL19gebsrmvn_3xn_kernelILj128ELj2ELj8EdEEvi20rocsparse_direction_NS_24const_host_device_scalarIT2_EEPKiS6_PKS3_S8_S4_PS3_21rocsparse_index_base_b
	.p2align	8
	.type	_ZN9rocsparseL19gebsrmvn_3xn_kernelILj128ELj2ELj8EdEEvi20rocsparse_direction_NS_24const_host_device_scalarIT2_EEPKiS6_PKS3_S8_S4_PS3_21rocsparse_index_base_b,@function
_ZN9rocsparseL19gebsrmvn_3xn_kernelILj128ELj2ELj8EdEEvi20rocsparse_direction_NS_24const_host_device_scalarIT2_EEPKiS6_PKS3_S8_S4_PS3_21rocsparse_index_base_b: ; @_ZN9rocsparseL19gebsrmvn_3xn_kernelILj128ELj2ELj8EdEEvi20rocsparse_direction_NS_24const_host_device_scalarIT2_EEPKiS6_PKS3_S8_S4_PS3_21rocsparse_index_base_b
; %bb.0:
	s_clause 0x2
	s_load_dwordx2 s[2:3], s[4:5], 0x40
	s_load_dwordx2 s[8:9], s[4:5], 0x8
	;; [unrolled: 1-line block ×3, first 2 shown]
	s_waitcnt lgkmcnt(0)
	s_bitcmp1_b32 s3, 0
	v_mov_b32_e32 v1, s8
	v_mov_b32_e32 v2, s9
	s_cselect_b32 s3, -1, 0
	s_and_b32 vcc_lo, exec_lo, s3
	s_xor_b32 s3, s3, -1
	s_cbranch_vccnz .LBB43_2
; %bb.1:
	v_mov_b32_e32 v1, s8
	v_mov_b32_e32 v2, s9
	flat_load_dwordx2 v[1:2], v[1:2]
.LBB43_2:
	v_mov_b32_e32 v4, s1
	v_mov_b32_e32 v3, s0
	s_andn2_b32 vcc_lo, exec_lo, s3
	s_cbranch_vccnz .LBB43_4
; %bb.3:
	v_mov_b32_e32 v4, s1
	v_mov_b32_e32 v3, s0
	flat_load_dwordx2 v[3:4], v[3:4]
.LBB43_4:
	s_waitcnt vmcnt(0) lgkmcnt(0)
	v_cmp_neq_f64_e32 vcc_lo, 0, v[1:2]
	v_cmp_neq_f64_e64 s0, 1.0, v[3:4]
	s_or_b32 s0, vcc_lo, s0
	s_and_saveexec_b32 s1, s0
	s_cbranch_execz .LBB43_23
; %bb.5:
	s_load_dwordx2 s[0:1], s[4:5], 0x0
	v_lshrrev_b32_e32 v5, 3, v0
	v_lshl_or_b32 v5, s6, 4, v5
	s_waitcnt lgkmcnt(0)
	v_cmp_gt_i32_e32 vcc_lo, s0, v5
	s_and_b32 exec_lo, exec_lo, vcc_lo
	s_cbranch_execz .LBB43_23
; %bb.6:
	s_load_dwordx8 s[8:15], s[4:5], 0x10
	v_ashrrev_i32_e32 v6, 31, v5
	v_and_b32_e32 v0, 7, v0
	s_cmp_lg_u32 s1, 0
	v_lshlrev_b64 v[6:7], 2, v[5:6]
	s_waitcnt lgkmcnt(0)
	v_add_co_u32 v6, vcc_lo, s8, v6
	v_add_co_ci_u32_e64 v7, null, s9, v7, vcc_lo
	global_load_dwordx2 v[6:7], v[6:7], off
	s_waitcnt vmcnt(0)
	v_subrev_nc_u32_e32 v6, s2, v6
	v_subrev_nc_u32_e32 v19, s2, v7
	v_add_nc_u32_e32 v12, v6, v0
	v_cmp_lt_i32_e64 s0, v12, v19
	s_cbranch_scc0 .LBB43_12
; %bb.7:
	v_mov_b32_e32 v6, 0
	v_mov_b32_e32 v8, 0
	;; [unrolled: 1-line block ×6, first 2 shown]
	s_and_saveexec_b32 s1, s0
	s_cbranch_execz .LBB43_11
; %bb.8:
	v_mad_u64_u32 v[13:14], null, v12, 6, 5
	v_mov_b32_e32 v6, 0
	v_mov_b32_e32 v8, 0
	;; [unrolled: 1-line block ×8, first 2 shown]
	s_mov_b32 s3, 0
.LBB43_9:                               ; =>This Inner Loop Header: Depth=1
	v_ashrrev_i32_e32 v18, 31, v17
	v_mov_b32_e32 v21, v16
	v_lshlrev_b64 v[14:15], 2, v[17:18]
	v_add_nc_u32_e32 v17, 8, v17
	v_add_co_u32 v14, vcc_lo, s10, v14
	v_add_co_ci_u32_e64 v15, null, s11, v15, vcc_lo
	global_load_dword v18, v[14:15], off
	v_mov_b32_e32 v14, v16
	v_add_nc_u32_e32 v15, -5, v13
	v_lshlrev_b64 v[28:29], 3, v[13:14]
	v_lshlrev_b64 v[22:23], 3, v[15:16]
	v_add_nc_u32_e32 v15, -3, v13
	v_lshlrev_b64 v[24:25], 3, v[15:16]
	v_add_co_u32 v22, vcc_lo, s12, v22
	v_add_co_ci_u32_e64 v23, null, s13, v23, vcc_lo
	v_add_nc_u32_e32 v15, -2, v13
	v_add_co_u32 v24, vcc_lo, s12, v24
	v_add_co_ci_u32_e64 v25, null, s13, v25, vcc_lo
	v_lshlrev_b64 v[32:33], 3, v[15:16]
	v_add_nc_u32_e32 v15, -1, v13
	v_add_nc_u32_e32 v13, 48, v13
	s_waitcnt vmcnt(0)
	v_subrev_nc_u32_e32 v14, s2, v18
	v_lshlrev_b32_e32 v20, 1, v14
	v_lshlrev_b64 v[14:15], 3, v[15:16]
	v_lshlrev_b64 v[20:21], 3, v[20:21]
	v_add_co_u32 v26, vcc_lo, s14, v20
	v_add_co_ci_u32_e64 v27, null, s15, v21, vcc_lo
	v_add_co_u32 v28, vcc_lo, s12, v28
	s_clause 0x1
	global_load_dwordx4 v[20:23], v[22:23], off
	global_load_dwordx2 v[30:31], v[24:25], off
	global_load_dwordx4 v[24:27], v[26:27], off
	v_add_co_ci_u32_e64 v29, null, s13, v29, vcc_lo
	v_add_co_u32 v32, vcc_lo, s12, v32
	v_add_co_ci_u32_e64 v33, null, s13, v33, vcc_lo
	v_add_co_u32 v14, vcc_lo, s12, v14
	v_add_co_ci_u32_e64 v15, null, s13, v15, vcc_lo
	s_clause 0x2
	global_load_dwordx2 v[32:33], v[32:33], off
	global_load_dwordx2 v[14:15], v[14:15], off
	;; [unrolled: 1-line block ×3, first 2 shown]
	v_cmp_ge_i32_e32 vcc_lo, v17, v19
	s_or_b32 s3, vcc_lo, s3
	s_waitcnt vmcnt(3)
	v_fma_f64 v[6:7], v[20:21], v[24:25], v[6:7]
	v_fma_f64 v[10:11], v[22:23], v[24:25], v[10:11]
	;; [unrolled: 1-line block ×3, first 2 shown]
	s_waitcnt vmcnt(2)
	v_fma_f64 v[6:7], v[32:33], v[26:27], v[6:7]
	s_waitcnt vmcnt(1)
	v_fma_f64 v[10:11], v[14:15], v[26:27], v[10:11]
	;; [unrolled: 2-line block ×3, first 2 shown]
	s_andn2_b32 exec_lo, exec_lo, s3
	s_cbranch_execnz .LBB43_9
; %bb.10:
	s_or_b32 exec_lo, exec_lo, s3
.LBB43_11:
	s_or_b32 exec_lo, exec_lo, s1
	s_cbranch_execz .LBB43_13
	s_branch .LBB43_18
.LBB43_12:
                                        ; implicit-def: $vgpr6_vgpr7
                                        ; implicit-def: $vgpr8_vgpr9
                                        ; implicit-def: $vgpr10_vgpr11
.LBB43_13:
	v_mov_b32_e32 v6, 0
	v_mov_b32_e32 v8, 0
	;; [unrolled: 1-line block ×6, first 2 shown]
	s_and_saveexec_b32 s1, s0
	s_cbranch_execz .LBB43_17
; %bb.14:
	v_mad_u64_u32 v[14:15], null, v12, 6, 5
	v_mov_b32_e32 v6, 0
	v_mov_b32_e32 v8, 0
	;; [unrolled: 1-line block ×7, first 2 shown]
	s_mov_b32 s0, 0
.LBB43_15:                              ; =>This Inner Loop Header: Depth=1
	v_ashrrev_i32_e32 v13, 31, v12
	v_add_nc_u32_e32 v20, -3, v14
	v_mov_b32_e32 v21, v17
	v_add_nc_u32_e32 v22, -1, v14
	v_mov_b32_e32 v23, v17
	v_lshlrev_b64 v[15:16], 2, v[12:13]
	v_mov_b32_e32 v25, v17
	v_lshlrev_b64 v[20:21], 3, v[20:21]
	v_add_nc_u32_e32 v12, 8, v12
	v_lshlrev_b64 v[22:23], 3, v[22:23]
	v_add_co_u32 v15, vcc_lo, s10, v15
	v_add_co_ci_u32_e64 v16, null, s11, v16, vcc_lo
	global_load_dword v13, v[15:16], off
	v_add_nc_u32_e32 v16, -5, v14
	v_lshlrev_b64 v[15:16], 3, v[16:17]
	v_add_co_u32 v15, vcc_lo, s12, v15
	v_add_co_ci_u32_e64 v16, null, s13, v16, vcc_lo
	v_add_co_u32 v26, vcc_lo, s12, v20
	v_add_co_ci_u32_e64 v27, null, s13, v21, vcc_lo
	;; [unrolled: 2-line block ×3, first 2 shown]
	global_load_dwordx4 v[20:23], v[15:16], off
	s_waitcnt vmcnt(1)
	v_subrev_nc_u32_e32 v13, s2, v13
	v_lshlrev_b32_e32 v24, 1, v13
	v_lshlrev_b64 v[15:16], 3, v[24:25]
	v_add_co_u32 v15, vcc_lo, s14, v15
	v_add_co_ci_u32_e64 v16, null, s15, v16, vcc_lo
	s_clause 0x1
	global_load_dwordx2 v[30:31], v[26:27], off
	global_load_dwordx2 v[28:29], v[28:29], off
	global_load_dwordx4 v[24:27], v[15:16], off
	v_mov_b32_e32 v15, v17
	v_add_nc_u32_e32 v16, -2, v14
	v_lshlrev_b64 v[32:33], 3, v[14:15]
	v_lshlrev_b64 v[15:16], 3, v[16:17]
	v_add_nc_u32_e32 v14, 48, v14
	v_add_co_u32 v32, vcc_lo, s12, v32
	v_add_co_ci_u32_e64 v33, null, s13, v33, vcc_lo
	v_add_co_u32 v15, vcc_lo, s12, v15
	v_add_co_ci_u32_e64 v16, null, s13, v16, vcc_lo
	s_clause 0x1
	global_load_dwordx2 v[15:16], v[15:16], off
	global_load_dwordx2 v[32:33], v[32:33], off
	v_cmp_ge_i32_e32 vcc_lo, v12, v19
	s_or_b32 s0, vcc_lo, s0
	s_waitcnt vmcnt(2)
	v_fma_f64 v[6:7], v[20:21], v[24:25], v[6:7]
	v_fma_f64 v[10:11], v[30:31], v[24:25], v[10:11]
	;; [unrolled: 1-line block ×4, first 2 shown]
	s_waitcnt vmcnt(1)
	v_fma_f64 v[10:11], v[15:16], v[26:27], v[10:11]
	s_waitcnt vmcnt(0)
	v_fma_f64 v[8:9], v[32:33], v[26:27], v[8:9]
	s_andn2_b32 exec_lo, exec_lo, s0
	s_cbranch_execnz .LBB43_15
; %bb.16:
	s_or_b32 exec_lo, exec_lo, s0
.LBB43_17:
	s_or_b32 exec_lo, exec_lo, s1
.LBB43_18:
	v_mbcnt_lo_u32_b32 v18, -1, 0
	v_xor_b32_e32 v12, 4, v18
	v_cmp_gt_i32_e32 vcc_lo, 32, v12
	v_cndmask_b32_e32 v12, v18, v12, vcc_lo
	v_lshlrev_b32_e32 v17, 2, v12
	ds_bpermute_b32 v12, v17, v6
	ds_bpermute_b32 v13, v17, v7
	;; [unrolled: 1-line block ×6, first 2 shown]
	s_waitcnt lgkmcnt(4)
	v_add_f64 v[6:7], v[6:7], v[12:13]
	s_waitcnt lgkmcnt(2)
	v_add_f64 v[10:11], v[10:11], v[14:15]
	;; [unrolled: 2-line block ×3, first 2 shown]
	v_xor_b32_e32 v8, 2, v18
	v_cmp_gt_i32_e32 vcc_lo, 32, v8
	v_cndmask_b32_e32 v8, v18, v8, vcc_lo
	v_lshlrev_b32_e32 v17, 2, v8
	ds_bpermute_b32 v8, v17, v6
	ds_bpermute_b32 v9, v17, v7
	;; [unrolled: 1-line block ×6, first 2 shown]
	s_waitcnt lgkmcnt(4)
	v_add_f64 v[8:9], v[6:7], v[8:9]
	s_waitcnt lgkmcnt(2)
	v_add_f64 v[6:7], v[10:11], v[14:15]
	v_xor_b32_e32 v10, 1, v18
	s_waitcnt lgkmcnt(0)
	v_add_f64 v[12:13], v[12:13], v[16:17]
	v_cmp_gt_i32_e32 vcc_lo, 32, v10
	v_cndmask_b32_e32 v10, v18, v10, vcc_lo
	v_cmp_eq_u32_e32 vcc_lo, 7, v0
	v_lshlrev_b32_e32 v15, 2, v10
	ds_bpermute_b32 v10, v15, v8
	ds_bpermute_b32 v11, v15, v9
	;; [unrolled: 1-line block ×6, first 2 shown]
	s_and_b32 exec_lo, exec_lo, vcc_lo
	s_cbranch_execz .LBB43_23
; %bb.19:
	s_waitcnt lgkmcnt(4)
	v_add_f64 v[10:11], v[8:9], v[10:11]
	s_waitcnt lgkmcnt(2)
	v_add_f64 v[8:9], v[6:7], v[16:17]
	;; [unrolled: 2-line block ×3, first 2 shown]
	s_load_dwordx2 s[0:1], s[4:5], 0x38
	s_mov_b32 s2, exec_lo
	v_cmpx_eq_f64_e32 0, v[3:4]
	s_xor_b32 s2, exec_lo, s2
	s_cbranch_execz .LBB43_21
; %bb.20:
	v_lshl_add_u32 v0, v5, 1, v5
	v_mul_f64 v[10:11], v[1:2], v[10:11]
	v_mul_f64 v[12:13], v[1:2], v[8:9]
	;; [unrolled: 1-line block ×3, first 2 shown]
                                        ; implicit-def: $vgpr5
                                        ; implicit-def: $vgpr8_vgpr9
                                        ; implicit-def: $vgpr6_vgpr7
	v_ashrrev_i32_e32 v1, 31, v0
	v_lshlrev_b64 v[0:1], 3, v[0:1]
	s_waitcnt lgkmcnt(0)
	v_add_co_u32 v0, vcc_lo, s0, v0
	v_add_co_ci_u32_e64 v1, null, s1, v1, vcc_lo
	global_store_dwordx4 v[0:1], v[10:13], off
	global_store_dwordx2 v[0:1], v[2:3], off offset:16
                                        ; implicit-def: $vgpr1_vgpr2
                                        ; implicit-def: $vgpr10_vgpr11
                                        ; implicit-def: $vgpr3_vgpr4
.LBB43_21:
	s_andn2_saveexec_b32 s2, s2
	s_cbranch_execz .LBB43_23
; %bb.22:
	v_lshl_add_u32 v12, v5, 1, v5
	v_mul_f64 v[10:11], v[1:2], v[10:11]
	v_mul_f64 v[8:9], v[1:2], v[8:9]
	;; [unrolled: 1-line block ×3, first 2 shown]
	v_ashrrev_i32_e32 v13, 31, v12
	v_lshlrev_b64 v[12:13], 3, v[12:13]
	s_waitcnt lgkmcnt(0)
	v_add_co_u32 v16, vcc_lo, s0, v12
	v_add_co_ci_u32_e64 v17, null, s1, v13, vcc_lo
	s_clause 0x1
	global_load_dwordx4 v[12:15], v[16:17], off
	global_load_dwordx2 v[18:19], v[16:17], off offset:16
	s_waitcnt vmcnt(1)
	v_fma_f64 v[5:6], v[3:4], v[12:13], v[10:11]
	v_fma_f64 v[7:8], v[3:4], v[14:15], v[8:9]
	s_waitcnt vmcnt(0)
	v_fma_f64 v[0:1], v[3:4], v[18:19], v[0:1]
	global_store_dwordx4 v[16:17], v[5:8], off
	global_store_dwordx2 v[16:17], v[0:1], off offset:16
.LBB43_23:
	s_endpgm
	.section	.rodata,"a",@progbits
	.p2align	6, 0x0
	.amdhsa_kernel _ZN9rocsparseL19gebsrmvn_3xn_kernelILj128ELj2ELj8EdEEvi20rocsparse_direction_NS_24const_host_device_scalarIT2_EEPKiS6_PKS3_S8_S4_PS3_21rocsparse_index_base_b
		.amdhsa_group_segment_fixed_size 0
		.amdhsa_private_segment_fixed_size 0
		.amdhsa_kernarg_size 72
		.amdhsa_user_sgpr_count 6
		.amdhsa_user_sgpr_private_segment_buffer 1
		.amdhsa_user_sgpr_dispatch_ptr 0
		.amdhsa_user_sgpr_queue_ptr 0
		.amdhsa_user_sgpr_kernarg_segment_ptr 1
		.amdhsa_user_sgpr_dispatch_id 0
		.amdhsa_user_sgpr_flat_scratch_init 0
		.amdhsa_user_sgpr_private_segment_size 0
		.amdhsa_wavefront_size32 1
		.amdhsa_uses_dynamic_stack 0
		.amdhsa_system_sgpr_private_segment_wavefront_offset 0
		.amdhsa_system_sgpr_workgroup_id_x 1
		.amdhsa_system_sgpr_workgroup_id_y 0
		.amdhsa_system_sgpr_workgroup_id_z 0
		.amdhsa_system_sgpr_workgroup_info 0
		.amdhsa_system_vgpr_workitem_id 0
		.amdhsa_next_free_vgpr 34
		.amdhsa_next_free_sgpr 16
		.amdhsa_reserve_vcc 1
		.amdhsa_reserve_flat_scratch 0
		.amdhsa_float_round_mode_32 0
		.amdhsa_float_round_mode_16_64 0
		.amdhsa_float_denorm_mode_32 3
		.amdhsa_float_denorm_mode_16_64 3
		.amdhsa_dx10_clamp 1
		.amdhsa_ieee_mode 1
		.amdhsa_fp16_overflow 0
		.amdhsa_workgroup_processor_mode 1
		.amdhsa_memory_ordered 1
		.amdhsa_forward_progress 1
		.amdhsa_shared_vgpr_count 0
		.amdhsa_exception_fp_ieee_invalid_op 0
		.amdhsa_exception_fp_denorm_src 0
		.amdhsa_exception_fp_ieee_div_zero 0
		.amdhsa_exception_fp_ieee_overflow 0
		.amdhsa_exception_fp_ieee_underflow 0
		.amdhsa_exception_fp_ieee_inexact 0
		.amdhsa_exception_int_div_zero 0
	.end_amdhsa_kernel
	.section	.text._ZN9rocsparseL19gebsrmvn_3xn_kernelILj128ELj2ELj8EdEEvi20rocsparse_direction_NS_24const_host_device_scalarIT2_EEPKiS6_PKS3_S8_S4_PS3_21rocsparse_index_base_b,"axG",@progbits,_ZN9rocsparseL19gebsrmvn_3xn_kernelILj128ELj2ELj8EdEEvi20rocsparse_direction_NS_24const_host_device_scalarIT2_EEPKiS6_PKS3_S8_S4_PS3_21rocsparse_index_base_b,comdat
.Lfunc_end43:
	.size	_ZN9rocsparseL19gebsrmvn_3xn_kernelILj128ELj2ELj8EdEEvi20rocsparse_direction_NS_24const_host_device_scalarIT2_EEPKiS6_PKS3_S8_S4_PS3_21rocsparse_index_base_b, .Lfunc_end43-_ZN9rocsparseL19gebsrmvn_3xn_kernelILj128ELj2ELj8EdEEvi20rocsparse_direction_NS_24const_host_device_scalarIT2_EEPKiS6_PKS3_S8_S4_PS3_21rocsparse_index_base_b
                                        ; -- End function
	.set _ZN9rocsparseL19gebsrmvn_3xn_kernelILj128ELj2ELj8EdEEvi20rocsparse_direction_NS_24const_host_device_scalarIT2_EEPKiS6_PKS3_S8_S4_PS3_21rocsparse_index_base_b.num_vgpr, 34
	.set _ZN9rocsparseL19gebsrmvn_3xn_kernelILj128ELj2ELj8EdEEvi20rocsparse_direction_NS_24const_host_device_scalarIT2_EEPKiS6_PKS3_S8_S4_PS3_21rocsparse_index_base_b.num_agpr, 0
	.set _ZN9rocsparseL19gebsrmvn_3xn_kernelILj128ELj2ELj8EdEEvi20rocsparse_direction_NS_24const_host_device_scalarIT2_EEPKiS6_PKS3_S8_S4_PS3_21rocsparse_index_base_b.numbered_sgpr, 16
	.set _ZN9rocsparseL19gebsrmvn_3xn_kernelILj128ELj2ELj8EdEEvi20rocsparse_direction_NS_24const_host_device_scalarIT2_EEPKiS6_PKS3_S8_S4_PS3_21rocsparse_index_base_b.num_named_barrier, 0
	.set _ZN9rocsparseL19gebsrmvn_3xn_kernelILj128ELj2ELj8EdEEvi20rocsparse_direction_NS_24const_host_device_scalarIT2_EEPKiS6_PKS3_S8_S4_PS3_21rocsparse_index_base_b.private_seg_size, 0
	.set _ZN9rocsparseL19gebsrmvn_3xn_kernelILj128ELj2ELj8EdEEvi20rocsparse_direction_NS_24const_host_device_scalarIT2_EEPKiS6_PKS3_S8_S4_PS3_21rocsparse_index_base_b.uses_vcc, 1
	.set _ZN9rocsparseL19gebsrmvn_3xn_kernelILj128ELj2ELj8EdEEvi20rocsparse_direction_NS_24const_host_device_scalarIT2_EEPKiS6_PKS3_S8_S4_PS3_21rocsparse_index_base_b.uses_flat_scratch, 0
	.set _ZN9rocsparseL19gebsrmvn_3xn_kernelILj128ELj2ELj8EdEEvi20rocsparse_direction_NS_24const_host_device_scalarIT2_EEPKiS6_PKS3_S8_S4_PS3_21rocsparse_index_base_b.has_dyn_sized_stack, 0
	.set _ZN9rocsparseL19gebsrmvn_3xn_kernelILj128ELj2ELj8EdEEvi20rocsparse_direction_NS_24const_host_device_scalarIT2_EEPKiS6_PKS3_S8_S4_PS3_21rocsparse_index_base_b.has_recursion, 0
	.set _ZN9rocsparseL19gebsrmvn_3xn_kernelILj128ELj2ELj8EdEEvi20rocsparse_direction_NS_24const_host_device_scalarIT2_EEPKiS6_PKS3_S8_S4_PS3_21rocsparse_index_base_b.has_indirect_call, 0
	.section	.AMDGPU.csdata,"",@progbits
; Kernel info:
; codeLenInByte = 1720
; TotalNumSgprs: 18
; NumVgprs: 34
; ScratchSize: 0
; MemoryBound: 0
; FloatMode: 240
; IeeeMode: 1
; LDSByteSize: 0 bytes/workgroup (compile time only)
; SGPRBlocks: 0
; VGPRBlocks: 4
; NumSGPRsForWavesPerEU: 18
; NumVGPRsForWavesPerEU: 34
; Occupancy: 16
; WaveLimiterHint : 1
; COMPUTE_PGM_RSRC2:SCRATCH_EN: 0
; COMPUTE_PGM_RSRC2:USER_SGPR: 6
; COMPUTE_PGM_RSRC2:TRAP_HANDLER: 0
; COMPUTE_PGM_RSRC2:TGID_X_EN: 1
; COMPUTE_PGM_RSRC2:TGID_Y_EN: 0
; COMPUTE_PGM_RSRC2:TGID_Z_EN: 0
; COMPUTE_PGM_RSRC2:TIDIG_COMP_CNT: 0
	.section	.text._ZN9rocsparseL19gebsrmvn_3xn_kernelILj128ELj2ELj16EdEEvi20rocsparse_direction_NS_24const_host_device_scalarIT2_EEPKiS6_PKS3_S8_S4_PS3_21rocsparse_index_base_b,"axG",@progbits,_ZN9rocsparseL19gebsrmvn_3xn_kernelILj128ELj2ELj16EdEEvi20rocsparse_direction_NS_24const_host_device_scalarIT2_EEPKiS6_PKS3_S8_S4_PS3_21rocsparse_index_base_b,comdat
	.globl	_ZN9rocsparseL19gebsrmvn_3xn_kernelILj128ELj2ELj16EdEEvi20rocsparse_direction_NS_24const_host_device_scalarIT2_EEPKiS6_PKS3_S8_S4_PS3_21rocsparse_index_base_b ; -- Begin function _ZN9rocsparseL19gebsrmvn_3xn_kernelILj128ELj2ELj16EdEEvi20rocsparse_direction_NS_24const_host_device_scalarIT2_EEPKiS6_PKS3_S8_S4_PS3_21rocsparse_index_base_b
	.p2align	8
	.type	_ZN9rocsparseL19gebsrmvn_3xn_kernelILj128ELj2ELj16EdEEvi20rocsparse_direction_NS_24const_host_device_scalarIT2_EEPKiS6_PKS3_S8_S4_PS3_21rocsparse_index_base_b,@function
_ZN9rocsparseL19gebsrmvn_3xn_kernelILj128ELj2ELj16EdEEvi20rocsparse_direction_NS_24const_host_device_scalarIT2_EEPKiS6_PKS3_S8_S4_PS3_21rocsparse_index_base_b: ; @_ZN9rocsparseL19gebsrmvn_3xn_kernelILj128ELj2ELj16EdEEvi20rocsparse_direction_NS_24const_host_device_scalarIT2_EEPKiS6_PKS3_S8_S4_PS3_21rocsparse_index_base_b
; %bb.0:
	s_clause 0x2
	s_load_dwordx2 s[2:3], s[4:5], 0x40
	s_load_dwordx2 s[8:9], s[4:5], 0x8
	s_load_dwordx2 s[0:1], s[4:5], 0x30
	s_waitcnt lgkmcnt(0)
	s_bitcmp1_b32 s3, 0
	v_mov_b32_e32 v1, s8
	v_mov_b32_e32 v2, s9
	s_cselect_b32 s3, -1, 0
	s_and_b32 vcc_lo, exec_lo, s3
	s_xor_b32 s3, s3, -1
	s_cbranch_vccnz .LBB44_2
; %bb.1:
	v_mov_b32_e32 v1, s8
	v_mov_b32_e32 v2, s9
	flat_load_dwordx2 v[1:2], v[1:2]
.LBB44_2:
	v_mov_b32_e32 v4, s1
	v_mov_b32_e32 v3, s0
	s_andn2_b32 vcc_lo, exec_lo, s3
	s_cbranch_vccnz .LBB44_4
; %bb.3:
	v_mov_b32_e32 v4, s1
	v_mov_b32_e32 v3, s0
	flat_load_dwordx2 v[3:4], v[3:4]
.LBB44_4:
	s_waitcnt vmcnt(0) lgkmcnt(0)
	v_cmp_neq_f64_e32 vcc_lo, 0, v[1:2]
	v_cmp_neq_f64_e64 s0, 1.0, v[3:4]
	s_or_b32 s0, vcc_lo, s0
	s_and_saveexec_b32 s1, s0
	s_cbranch_execz .LBB44_23
; %bb.5:
	s_load_dwordx2 s[0:1], s[4:5], 0x0
	v_lshrrev_b32_e32 v5, 4, v0
	v_lshl_or_b32 v5, s6, 3, v5
	s_waitcnt lgkmcnt(0)
	v_cmp_gt_i32_e32 vcc_lo, s0, v5
	s_and_b32 exec_lo, exec_lo, vcc_lo
	s_cbranch_execz .LBB44_23
; %bb.6:
	s_load_dwordx8 s[8:15], s[4:5], 0x10
	v_ashrrev_i32_e32 v6, 31, v5
	v_and_b32_e32 v0, 15, v0
	s_cmp_lg_u32 s1, 0
	v_lshlrev_b64 v[6:7], 2, v[5:6]
	s_waitcnt lgkmcnt(0)
	v_add_co_u32 v6, vcc_lo, s8, v6
	v_add_co_ci_u32_e64 v7, null, s9, v7, vcc_lo
	global_load_dwordx2 v[6:7], v[6:7], off
	s_waitcnt vmcnt(0)
	v_subrev_nc_u32_e32 v6, s2, v6
	v_subrev_nc_u32_e32 v19, s2, v7
	v_add_nc_u32_e32 v12, v6, v0
	v_cmp_lt_i32_e64 s0, v12, v19
	s_cbranch_scc0 .LBB44_12
; %bb.7:
	v_mov_b32_e32 v6, 0
	v_mov_b32_e32 v8, 0
	v_mov_b32_e32 v10, 0
	v_mov_b32_e32 v7, 0
	v_mov_b32_e32 v9, 0
	v_mov_b32_e32 v11, 0
	s_and_saveexec_b32 s1, s0
	s_cbranch_execz .LBB44_11
; %bb.8:
	v_mad_u64_u32 v[13:14], null, v12, 6, 5
	v_mov_b32_e32 v6, 0
	v_mov_b32_e32 v8, 0
	;; [unrolled: 1-line block ×8, first 2 shown]
	s_mov_b32 s3, 0
.LBB44_9:                               ; =>This Inner Loop Header: Depth=1
	v_ashrrev_i32_e32 v18, 31, v17
	v_mov_b32_e32 v21, v16
	v_lshlrev_b64 v[14:15], 2, v[17:18]
	v_add_nc_u32_e32 v17, 16, v17
	v_add_co_u32 v14, vcc_lo, s10, v14
	v_add_co_ci_u32_e64 v15, null, s11, v15, vcc_lo
	global_load_dword v18, v[14:15], off
	v_mov_b32_e32 v14, v16
	v_add_nc_u32_e32 v15, -5, v13
	v_lshlrev_b64 v[28:29], 3, v[13:14]
	v_lshlrev_b64 v[22:23], 3, v[15:16]
	v_add_nc_u32_e32 v15, -3, v13
	v_lshlrev_b64 v[24:25], 3, v[15:16]
	v_add_co_u32 v22, vcc_lo, s12, v22
	v_add_co_ci_u32_e64 v23, null, s13, v23, vcc_lo
	v_add_nc_u32_e32 v15, -2, v13
	v_add_co_u32 v24, vcc_lo, s12, v24
	v_add_co_ci_u32_e64 v25, null, s13, v25, vcc_lo
	v_lshlrev_b64 v[32:33], 3, v[15:16]
	v_add_nc_u32_e32 v15, -1, v13
	v_add_nc_u32_e32 v13, 0x60, v13
	s_waitcnt vmcnt(0)
	v_subrev_nc_u32_e32 v14, s2, v18
	v_lshlrev_b32_e32 v20, 1, v14
	v_lshlrev_b64 v[14:15], 3, v[15:16]
	v_lshlrev_b64 v[20:21], 3, v[20:21]
	v_add_co_u32 v26, vcc_lo, s14, v20
	v_add_co_ci_u32_e64 v27, null, s15, v21, vcc_lo
	v_add_co_u32 v28, vcc_lo, s12, v28
	s_clause 0x1
	global_load_dwordx4 v[20:23], v[22:23], off
	global_load_dwordx2 v[30:31], v[24:25], off
	global_load_dwordx4 v[24:27], v[26:27], off
	v_add_co_ci_u32_e64 v29, null, s13, v29, vcc_lo
	v_add_co_u32 v32, vcc_lo, s12, v32
	v_add_co_ci_u32_e64 v33, null, s13, v33, vcc_lo
	v_add_co_u32 v14, vcc_lo, s12, v14
	v_add_co_ci_u32_e64 v15, null, s13, v15, vcc_lo
	s_clause 0x2
	global_load_dwordx2 v[32:33], v[32:33], off
	global_load_dwordx2 v[14:15], v[14:15], off
	;; [unrolled: 1-line block ×3, first 2 shown]
	v_cmp_ge_i32_e32 vcc_lo, v17, v19
	s_or_b32 s3, vcc_lo, s3
	s_waitcnt vmcnt(3)
	v_fma_f64 v[6:7], v[20:21], v[24:25], v[6:7]
	v_fma_f64 v[10:11], v[22:23], v[24:25], v[10:11]
	;; [unrolled: 1-line block ×3, first 2 shown]
	s_waitcnt vmcnt(2)
	v_fma_f64 v[6:7], v[32:33], v[26:27], v[6:7]
	s_waitcnt vmcnt(1)
	v_fma_f64 v[10:11], v[14:15], v[26:27], v[10:11]
	;; [unrolled: 2-line block ×3, first 2 shown]
	s_andn2_b32 exec_lo, exec_lo, s3
	s_cbranch_execnz .LBB44_9
; %bb.10:
	s_or_b32 exec_lo, exec_lo, s3
.LBB44_11:
	s_or_b32 exec_lo, exec_lo, s1
	s_cbranch_execz .LBB44_13
	s_branch .LBB44_18
.LBB44_12:
                                        ; implicit-def: $vgpr6_vgpr7
                                        ; implicit-def: $vgpr8_vgpr9
                                        ; implicit-def: $vgpr10_vgpr11
.LBB44_13:
	v_mov_b32_e32 v6, 0
	v_mov_b32_e32 v8, 0
	v_mov_b32_e32 v10, 0
	v_mov_b32_e32 v7, 0
	v_mov_b32_e32 v9, 0
	v_mov_b32_e32 v11, 0
	s_and_saveexec_b32 s1, s0
	s_cbranch_execz .LBB44_17
; %bb.14:
	v_mad_u64_u32 v[14:15], null, v12, 6, 5
	v_mov_b32_e32 v6, 0
	v_mov_b32_e32 v8, 0
	;; [unrolled: 1-line block ×7, first 2 shown]
	s_mov_b32 s0, 0
.LBB44_15:                              ; =>This Inner Loop Header: Depth=1
	v_ashrrev_i32_e32 v13, 31, v12
	v_add_nc_u32_e32 v20, -3, v14
	v_mov_b32_e32 v21, v17
	v_add_nc_u32_e32 v22, -1, v14
	v_mov_b32_e32 v23, v17
	v_lshlrev_b64 v[15:16], 2, v[12:13]
	v_mov_b32_e32 v25, v17
	v_lshlrev_b64 v[20:21], 3, v[20:21]
	v_add_nc_u32_e32 v12, 16, v12
	v_lshlrev_b64 v[22:23], 3, v[22:23]
	v_add_co_u32 v15, vcc_lo, s10, v15
	v_add_co_ci_u32_e64 v16, null, s11, v16, vcc_lo
	global_load_dword v13, v[15:16], off
	v_add_nc_u32_e32 v16, -5, v14
	v_lshlrev_b64 v[15:16], 3, v[16:17]
	v_add_co_u32 v15, vcc_lo, s12, v15
	v_add_co_ci_u32_e64 v16, null, s13, v16, vcc_lo
	v_add_co_u32 v26, vcc_lo, s12, v20
	v_add_co_ci_u32_e64 v27, null, s13, v21, vcc_lo
	;; [unrolled: 2-line block ×3, first 2 shown]
	global_load_dwordx4 v[20:23], v[15:16], off
	s_waitcnt vmcnt(1)
	v_subrev_nc_u32_e32 v13, s2, v13
	v_lshlrev_b32_e32 v24, 1, v13
	v_lshlrev_b64 v[15:16], 3, v[24:25]
	v_add_co_u32 v15, vcc_lo, s14, v15
	v_add_co_ci_u32_e64 v16, null, s15, v16, vcc_lo
	s_clause 0x1
	global_load_dwordx2 v[30:31], v[26:27], off
	global_load_dwordx2 v[28:29], v[28:29], off
	global_load_dwordx4 v[24:27], v[15:16], off
	v_mov_b32_e32 v15, v17
	v_add_nc_u32_e32 v16, -2, v14
	v_lshlrev_b64 v[32:33], 3, v[14:15]
	v_lshlrev_b64 v[15:16], 3, v[16:17]
	v_add_nc_u32_e32 v14, 0x60, v14
	v_add_co_u32 v32, vcc_lo, s12, v32
	v_add_co_ci_u32_e64 v33, null, s13, v33, vcc_lo
	v_add_co_u32 v15, vcc_lo, s12, v15
	v_add_co_ci_u32_e64 v16, null, s13, v16, vcc_lo
	s_clause 0x1
	global_load_dwordx2 v[15:16], v[15:16], off
	global_load_dwordx2 v[32:33], v[32:33], off
	v_cmp_ge_i32_e32 vcc_lo, v12, v19
	s_or_b32 s0, vcc_lo, s0
	s_waitcnt vmcnt(2)
	v_fma_f64 v[6:7], v[20:21], v[24:25], v[6:7]
	v_fma_f64 v[10:11], v[30:31], v[24:25], v[10:11]
	;; [unrolled: 1-line block ×4, first 2 shown]
	s_waitcnt vmcnt(1)
	v_fma_f64 v[10:11], v[15:16], v[26:27], v[10:11]
	s_waitcnt vmcnt(0)
	v_fma_f64 v[8:9], v[32:33], v[26:27], v[8:9]
	s_andn2_b32 exec_lo, exec_lo, s0
	s_cbranch_execnz .LBB44_15
; %bb.16:
	s_or_b32 exec_lo, exec_lo, s0
.LBB44_17:
	s_or_b32 exec_lo, exec_lo, s1
.LBB44_18:
	v_mbcnt_lo_u32_b32 v18, -1, 0
	v_xor_b32_e32 v12, 8, v18
	v_cmp_gt_i32_e32 vcc_lo, 32, v12
	v_cndmask_b32_e32 v12, v18, v12, vcc_lo
	v_lshlrev_b32_e32 v17, 2, v12
	ds_bpermute_b32 v12, v17, v6
	ds_bpermute_b32 v13, v17, v7
	;; [unrolled: 1-line block ×6, first 2 shown]
	s_waitcnt lgkmcnt(4)
	v_add_f64 v[6:7], v[6:7], v[12:13]
	v_xor_b32_e32 v12, 4, v18
	s_waitcnt lgkmcnt(2)
	v_add_f64 v[10:11], v[10:11], v[14:15]
	s_waitcnt lgkmcnt(0)
	v_add_f64 v[8:9], v[8:9], v[16:17]
	v_cmp_gt_i32_e32 vcc_lo, 32, v12
	v_cndmask_b32_e32 v12, v18, v12, vcc_lo
	v_lshlrev_b32_e32 v17, 2, v12
	ds_bpermute_b32 v12, v17, v6
	ds_bpermute_b32 v13, v17, v7
	;; [unrolled: 1-line block ×6, first 2 shown]
	s_waitcnt lgkmcnt(4)
	v_add_f64 v[6:7], v[6:7], v[12:13]
	s_waitcnt lgkmcnt(2)
	v_add_f64 v[10:11], v[10:11], v[14:15]
	;; [unrolled: 2-line block ×3, first 2 shown]
	v_xor_b32_e32 v8, 2, v18
	v_cmp_gt_i32_e32 vcc_lo, 32, v8
	v_cndmask_b32_e32 v8, v18, v8, vcc_lo
	v_lshlrev_b32_e32 v17, 2, v8
	ds_bpermute_b32 v8, v17, v6
	ds_bpermute_b32 v9, v17, v7
	;; [unrolled: 1-line block ×6, first 2 shown]
	s_waitcnt lgkmcnt(4)
	v_add_f64 v[8:9], v[6:7], v[8:9]
	s_waitcnt lgkmcnt(2)
	v_add_f64 v[6:7], v[10:11], v[14:15]
	v_xor_b32_e32 v10, 1, v18
	s_waitcnt lgkmcnt(0)
	v_add_f64 v[12:13], v[12:13], v[16:17]
	v_cmp_gt_i32_e32 vcc_lo, 32, v10
	v_cndmask_b32_e32 v10, v18, v10, vcc_lo
	v_cmp_eq_u32_e32 vcc_lo, 15, v0
	v_lshlrev_b32_e32 v15, 2, v10
	ds_bpermute_b32 v10, v15, v8
	ds_bpermute_b32 v11, v15, v9
	;; [unrolled: 1-line block ×6, first 2 shown]
	s_and_b32 exec_lo, exec_lo, vcc_lo
	s_cbranch_execz .LBB44_23
; %bb.19:
	s_waitcnt lgkmcnt(4)
	v_add_f64 v[10:11], v[8:9], v[10:11]
	s_waitcnt lgkmcnt(2)
	v_add_f64 v[8:9], v[6:7], v[16:17]
	;; [unrolled: 2-line block ×3, first 2 shown]
	s_load_dwordx2 s[0:1], s[4:5], 0x38
	s_mov_b32 s2, exec_lo
	v_cmpx_eq_f64_e32 0, v[3:4]
	s_xor_b32 s2, exec_lo, s2
	s_cbranch_execz .LBB44_21
; %bb.20:
	v_lshl_add_u32 v0, v5, 1, v5
	v_mul_f64 v[10:11], v[1:2], v[10:11]
	v_mul_f64 v[12:13], v[1:2], v[8:9]
	;; [unrolled: 1-line block ×3, first 2 shown]
                                        ; implicit-def: $vgpr5
                                        ; implicit-def: $vgpr8_vgpr9
                                        ; implicit-def: $vgpr6_vgpr7
	v_ashrrev_i32_e32 v1, 31, v0
	v_lshlrev_b64 v[0:1], 3, v[0:1]
	s_waitcnt lgkmcnt(0)
	v_add_co_u32 v0, vcc_lo, s0, v0
	v_add_co_ci_u32_e64 v1, null, s1, v1, vcc_lo
	global_store_dwordx4 v[0:1], v[10:13], off
	global_store_dwordx2 v[0:1], v[2:3], off offset:16
                                        ; implicit-def: $vgpr1_vgpr2
                                        ; implicit-def: $vgpr10_vgpr11
                                        ; implicit-def: $vgpr3_vgpr4
.LBB44_21:
	s_andn2_saveexec_b32 s2, s2
	s_cbranch_execz .LBB44_23
; %bb.22:
	v_lshl_add_u32 v12, v5, 1, v5
	v_mul_f64 v[10:11], v[1:2], v[10:11]
	v_mul_f64 v[8:9], v[1:2], v[8:9]
	;; [unrolled: 1-line block ×3, first 2 shown]
	v_ashrrev_i32_e32 v13, 31, v12
	v_lshlrev_b64 v[12:13], 3, v[12:13]
	s_waitcnt lgkmcnt(0)
	v_add_co_u32 v16, vcc_lo, s0, v12
	v_add_co_ci_u32_e64 v17, null, s1, v13, vcc_lo
	s_clause 0x1
	global_load_dwordx4 v[12:15], v[16:17], off
	global_load_dwordx2 v[18:19], v[16:17], off offset:16
	s_waitcnt vmcnt(1)
	v_fma_f64 v[5:6], v[3:4], v[12:13], v[10:11]
	v_fma_f64 v[7:8], v[3:4], v[14:15], v[8:9]
	s_waitcnt vmcnt(0)
	v_fma_f64 v[0:1], v[3:4], v[18:19], v[0:1]
	global_store_dwordx4 v[16:17], v[5:8], off
	global_store_dwordx2 v[16:17], v[0:1], off offset:16
.LBB44_23:
	s_endpgm
	.section	.rodata,"a",@progbits
	.p2align	6, 0x0
	.amdhsa_kernel _ZN9rocsparseL19gebsrmvn_3xn_kernelILj128ELj2ELj16EdEEvi20rocsparse_direction_NS_24const_host_device_scalarIT2_EEPKiS6_PKS3_S8_S4_PS3_21rocsparse_index_base_b
		.amdhsa_group_segment_fixed_size 0
		.amdhsa_private_segment_fixed_size 0
		.amdhsa_kernarg_size 72
		.amdhsa_user_sgpr_count 6
		.amdhsa_user_sgpr_private_segment_buffer 1
		.amdhsa_user_sgpr_dispatch_ptr 0
		.amdhsa_user_sgpr_queue_ptr 0
		.amdhsa_user_sgpr_kernarg_segment_ptr 1
		.amdhsa_user_sgpr_dispatch_id 0
		.amdhsa_user_sgpr_flat_scratch_init 0
		.amdhsa_user_sgpr_private_segment_size 0
		.amdhsa_wavefront_size32 1
		.amdhsa_uses_dynamic_stack 0
		.amdhsa_system_sgpr_private_segment_wavefront_offset 0
		.amdhsa_system_sgpr_workgroup_id_x 1
		.amdhsa_system_sgpr_workgroup_id_y 0
		.amdhsa_system_sgpr_workgroup_id_z 0
		.amdhsa_system_sgpr_workgroup_info 0
		.amdhsa_system_vgpr_workitem_id 0
		.amdhsa_next_free_vgpr 34
		.amdhsa_next_free_sgpr 16
		.amdhsa_reserve_vcc 1
		.amdhsa_reserve_flat_scratch 0
		.amdhsa_float_round_mode_32 0
		.amdhsa_float_round_mode_16_64 0
		.amdhsa_float_denorm_mode_32 3
		.amdhsa_float_denorm_mode_16_64 3
		.amdhsa_dx10_clamp 1
		.amdhsa_ieee_mode 1
		.amdhsa_fp16_overflow 0
		.amdhsa_workgroup_processor_mode 1
		.amdhsa_memory_ordered 1
		.amdhsa_forward_progress 1
		.amdhsa_shared_vgpr_count 0
		.amdhsa_exception_fp_ieee_invalid_op 0
		.amdhsa_exception_fp_denorm_src 0
		.amdhsa_exception_fp_ieee_div_zero 0
		.amdhsa_exception_fp_ieee_overflow 0
		.amdhsa_exception_fp_ieee_underflow 0
		.amdhsa_exception_fp_ieee_inexact 0
		.amdhsa_exception_int_div_zero 0
	.end_amdhsa_kernel
	.section	.text._ZN9rocsparseL19gebsrmvn_3xn_kernelILj128ELj2ELj16EdEEvi20rocsparse_direction_NS_24const_host_device_scalarIT2_EEPKiS6_PKS3_S8_S4_PS3_21rocsparse_index_base_b,"axG",@progbits,_ZN9rocsparseL19gebsrmvn_3xn_kernelILj128ELj2ELj16EdEEvi20rocsparse_direction_NS_24const_host_device_scalarIT2_EEPKiS6_PKS3_S8_S4_PS3_21rocsparse_index_base_b,comdat
.Lfunc_end44:
	.size	_ZN9rocsparseL19gebsrmvn_3xn_kernelILj128ELj2ELj16EdEEvi20rocsparse_direction_NS_24const_host_device_scalarIT2_EEPKiS6_PKS3_S8_S4_PS3_21rocsparse_index_base_b, .Lfunc_end44-_ZN9rocsparseL19gebsrmvn_3xn_kernelILj128ELj2ELj16EdEEvi20rocsparse_direction_NS_24const_host_device_scalarIT2_EEPKiS6_PKS3_S8_S4_PS3_21rocsparse_index_base_b
                                        ; -- End function
	.set _ZN9rocsparseL19gebsrmvn_3xn_kernelILj128ELj2ELj16EdEEvi20rocsparse_direction_NS_24const_host_device_scalarIT2_EEPKiS6_PKS3_S8_S4_PS3_21rocsparse_index_base_b.num_vgpr, 34
	.set _ZN9rocsparseL19gebsrmvn_3xn_kernelILj128ELj2ELj16EdEEvi20rocsparse_direction_NS_24const_host_device_scalarIT2_EEPKiS6_PKS3_S8_S4_PS3_21rocsparse_index_base_b.num_agpr, 0
	.set _ZN9rocsparseL19gebsrmvn_3xn_kernelILj128ELj2ELj16EdEEvi20rocsparse_direction_NS_24const_host_device_scalarIT2_EEPKiS6_PKS3_S8_S4_PS3_21rocsparse_index_base_b.numbered_sgpr, 16
	.set _ZN9rocsparseL19gebsrmvn_3xn_kernelILj128ELj2ELj16EdEEvi20rocsparse_direction_NS_24const_host_device_scalarIT2_EEPKiS6_PKS3_S8_S4_PS3_21rocsparse_index_base_b.num_named_barrier, 0
	.set _ZN9rocsparseL19gebsrmvn_3xn_kernelILj128ELj2ELj16EdEEvi20rocsparse_direction_NS_24const_host_device_scalarIT2_EEPKiS6_PKS3_S8_S4_PS3_21rocsparse_index_base_b.private_seg_size, 0
	.set _ZN9rocsparseL19gebsrmvn_3xn_kernelILj128ELj2ELj16EdEEvi20rocsparse_direction_NS_24const_host_device_scalarIT2_EEPKiS6_PKS3_S8_S4_PS3_21rocsparse_index_base_b.uses_vcc, 1
	.set _ZN9rocsparseL19gebsrmvn_3xn_kernelILj128ELj2ELj16EdEEvi20rocsparse_direction_NS_24const_host_device_scalarIT2_EEPKiS6_PKS3_S8_S4_PS3_21rocsparse_index_base_b.uses_flat_scratch, 0
	.set _ZN9rocsparseL19gebsrmvn_3xn_kernelILj128ELj2ELj16EdEEvi20rocsparse_direction_NS_24const_host_device_scalarIT2_EEPKiS6_PKS3_S8_S4_PS3_21rocsparse_index_base_b.has_dyn_sized_stack, 0
	.set _ZN9rocsparseL19gebsrmvn_3xn_kernelILj128ELj2ELj16EdEEvi20rocsparse_direction_NS_24const_host_device_scalarIT2_EEPKiS6_PKS3_S8_S4_PS3_21rocsparse_index_base_b.has_recursion, 0
	.set _ZN9rocsparseL19gebsrmvn_3xn_kernelILj128ELj2ELj16EdEEvi20rocsparse_direction_NS_24const_host_device_scalarIT2_EEPKiS6_PKS3_S8_S4_PS3_21rocsparse_index_base_b.has_indirect_call, 0
	.section	.AMDGPU.csdata,"",@progbits
; Kernel info:
; codeLenInByte = 1828
; TotalNumSgprs: 18
; NumVgprs: 34
; ScratchSize: 0
; MemoryBound: 0
; FloatMode: 240
; IeeeMode: 1
; LDSByteSize: 0 bytes/workgroup (compile time only)
; SGPRBlocks: 0
; VGPRBlocks: 4
; NumSGPRsForWavesPerEU: 18
; NumVGPRsForWavesPerEU: 34
; Occupancy: 16
; WaveLimiterHint : 1
; COMPUTE_PGM_RSRC2:SCRATCH_EN: 0
; COMPUTE_PGM_RSRC2:USER_SGPR: 6
; COMPUTE_PGM_RSRC2:TRAP_HANDLER: 0
; COMPUTE_PGM_RSRC2:TGID_X_EN: 1
; COMPUTE_PGM_RSRC2:TGID_Y_EN: 0
; COMPUTE_PGM_RSRC2:TGID_Z_EN: 0
; COMPUTE_PGM_RSRC2:TIDIG_COMP_CNT: 0
	.section	.text._ZN9rocsparseL19gebsrmvn_3xn_kernelILj128ELj2ELj32EdEEvi20rocsparse_direction_NS_24const_host_device_scalarIT2_EEPKiS6_PKS3_S8_S4_PS3_21rocsparse_index_base_b,"axG",@progbits,_ZN9rocsparseL19gebsrmvn_3xn_kernelILj128ELj2ELj32EdEEvi20rocsparse_direction_NS_24const_host_device_scalarIT2_EEPKiS6_PKS3_S8_S4_PS3_21rocsparse_index_base_b,comdat
	.globl	_ZN9rocsparseL19gebsrmvn_3xn_kernelILj128ELj2ELj32EdEEvi20rocsparse_direction_NS_24const_host_device_scalarIT2_EEPKiS6_PKS3_S8_S4_PS3_21rocsparse_index_base_b ; -- Begin function _ZN9rocsparseL19gebsrmvn_3xn_kernelILj128ELj2ELj32EdEEvi20rocsparse_direction_NS_24const_host_device_scalarIT2_EEPKiS6_PKS3_S8_S4_PS3_21rocsparse_index_base_b
	.p2align	8
	.type	_ZN9rocsparseL19gebsrmvn_3xn_kernelILj128ELj2ELj32EdEEvi20rocsparse_direction_NS_24const_host_device_scalarIT2_EEPKiS6_PKS3_S8_S4_PS3_21rocsparse_index_base_b,@function
_ZN9rocsparseL19gebsrmvn_3xn_kernelILj128ELj2ELj32EdEEvi20rocsparse_direction_NS_24const_host_device_scalarIT2_EEPKiS6_PKS3_S8_S4_PS3_21rocsparse_index_base_b: ; @_ZN9rocsparseL19gebsrmvn_3xn_kernelILj128ELj2ELj32EdEEvi20rocsparse_direction_NS_24const_host_device_scalarIT2_EEPKiS6_PKS3_S8_S4_PS3_21rocsparse_index_base_b
; %bb.0:
	s_clause 0x2
	s_load_dwordx2 s[2:3], s[4:5], 0x40
	s_load_dwordx2 s[8:9], s[4:5], 0x8
	;; [unrolled: 1-line block ×3, first 2 shown]
	s_waitcnt lgkmcnt(0)
	s_bitcmp1_b32 s3, 0
	v_mov_b32_e32 v1, s8
	v_mov_b32_e32 v2, s9
	s_cselect_b32 s3, -1, 0
	s_and_b32 vcc_lo, exec_lo, s3
	s_xor_b32 s3, s3, -1
	s_cbranch_vccnz .LBB45_2
; %bb.1:
	v_mov_b32_e32 v1, s8
	v_mov_b32_e32 v2, s9
	flat_load_dwordx2 v[1:2], v[1:2]
.LBB45_2:
	v_mov_b32_e32 v4, s1
	v_mov_b32_e32 v3, s0
	s_andn2_b32 vcc_lo, exec_lo, s3
	s_cbranch_vccnz .LBB45_4
; %bb.3:
	v_mov_b32_e32 v4, s1
	v_mov_b32_e32 v3, s0
	flat_load_dwordx2 v[3:4], v[3:4]
.LBB45_4:
	s_waitcnt vmcnt(0) lgkmcnt(0)
	v_cmp_neq_f64_e32 vcc_lo, 0, v[1:2]
	v_cmp_neq_f64_e64 s0, 1.0, v[3:4]
	s_or_b32 s0, vcc_lo, s0
	s_and_saveexec_b32 s1, s0
	s_cbranch_execz .LBB45_23
; %bb.5:
	s_load_dwordx2 s[0:1], s[4:5], 0x0
	v_lshrrev_b32_e32 v5, 5, v0
	v_lshl_or_b32 v5, s6, 2, v5
	s_waitcnt lgkmcnt(0)
	v_cmp_gt_i32_e32 vcc_lo, s0, v5
	s_and_b32 exec_lo, exec_lo, vcc_lo
	s_cbranch_execz .LBB45_23
; %bb.6:
	s_load_dwordx8 s[8:15], s[4:5], 0x10
	v_ashrrev_i32_e32 v6, 31, v5
	v_and_b32_e32 v0, 31, v0
	s_cmp_lg_u32 s1, 0
	v_lshlrev_b64 v[6:7], 2, v[5:6]
	s_waitcnt lgkmcnt(0)
	v_add_co_u32 v6, vcc_lo, s8, v6
	v_add_co_ci_u32_e64 v7, null, s9, v7, vcc_lo
	global_load_dwordx2 v[6:7], v[6:7], off
	s_waitcnt vmcnt(0)
	v_subrev_nc_u32_e32 v6, s2, v6
	v_subrev_nc_u32_e32 v19, s2, v7
	v_add_nc_u32_e32 v12, v6, v0
	v_cmp_lt_i32_e64 s0, v12, v19
	s_cbranch_scc0 .LBB45_12
; %bb.7:
	v_mov_b32_e32 v6, 0
	v_mov_b32_e32 v8, 0
	;; [unrolled: 1-line block ×6, first 2 shown]
	s_and_saveexec_b32 s1, s0
	s_cbranch_execz .LBB45_11
; %bb.8:
	v_mad_u64_u32 v[13:14], null, v12, 6, 5
	v_mov_b32_e32 v6, 0
	v_mov_b32_e32 v8, 0
	;; [unrolled: 1-line block ×8, first 2 shown]
	s_mov_b32 s3, 0
.LBB45_9:                               ; =>This Inner Loop Header: Depth=1
	v_ashrrev_i32_e32 v18, 31, v17
	v_mov_b32_e32 v21, v16
	v_lshlrev_b64 v[14:15], 2, v[17:18]
	v_add_nc_u32_e32 v17, 32, v17
	v_add_co_u32 v14, vcc_lo, s10, v14
	v_add_co_ci_u32_e64 v15, null, s11, v15, vcc_lo
	global_load_dword v18, v[14:15], off
	v_mov_b32_e32 v14, v16
	v_add_nc_u32_e32 v15, -5, v13
	v_lshlrev_b64 v[28:29], 3, v[13:14]
	v_lshlrev_b64 v[22:23], 3, v[15:16]
	v_add_nc_u32_e32 v15, -3, v13
	v_lshlrev_b64 v[24:25], 3, v[15:16]
	v_add_co_u32 v22, vcc_lo, s12, v22
	v_add_co_ci_u32_e64 v23, null, s13, v23, vcc_lo
	v_add_nc_u32_e32 v15, -2, v13
	v_add_co_u32 v24, vcc_lo, s12, v24
	v_add_co_ci_u32_e64 v25, null, s13, v25, vcc_lo
	v_lshlrev_b64 v[32:33], 3, v[15:16]
	v_add_nc_u32_e32 v15, -1, v13
	v_add_nc_u32_e32 v13, 0xc0, v13
	s_waitcnt vmcnt(0)
	v_subrev_nc_u32_e32 v14, s2, v18
	v_lshlrev_b32_e32 v20, 1, v14
	v_lshlrev_b64 v[14:15], 3, v[15:16]
	v_lshlrev_b64 v[20:21], 3, v[20:21]
	v_add_co_u32 v26, vcc_lo, s14, v20
	v_add_co_ci_u32_e64 v27, null, s15, v21, vcc_lo
	v_add_co_u32 v28, vcc_lo, s12, v28
	s_clause 0x1
	global_load_dwordx4 v[20:23], v[22:23], off
	global_load_dwordx2 v[30:31], v[24:25], off
	global_load_dwordx4 v[24:27], v[26:27], off
	v_add_co_ci_u32_e64 v29, null, s13, v29, vcc_lo
	v_add_co_u32 v32, vcc_lo, s12, v32
	v_add_co_ci_u32_e64 v33, null, s13, v33, vcc_lo
	v_add_co_u32 v14, vcc_lo, s12, v14
	v_add_co_ci_u32_e64 v15, null, s13, v15, vcc_lo
	s_clause 0x2
	global_load_dwordx2 v[32:33], v[32:33], off
	global_load_dwordx2 v[14:15], v[14:15], off
	;; [unrolled: 1-line block ×3, first 2 shown]
	v_cmp_ge_i32_e32 vcc_lo, v17, v19
	s_or_b32 s3, vcc_lo, s3
	s_waitcnt vmcnt(3)
	v_fma_f64 v[6:7], v[20:21], v[24:25], v[6:7]
	v_fma_f64 v[10:11], v[22:23], v[24:25], v[10:11]
	;; [unrolled: 1-line block ×3, first 2 shown]
	s_waitcnt vmcnt(2)
	v_fma_f64 v[6:7], v[32:33], v[26:27], v[6:7]
	s_waitcnt vmcnt(1)
	v_fma_f64 v[10:11], v[14:15], v[26:27], v[10:11]
	;; [unrolled: 2-line block ×3, first 2 shown]
	s_andn2_b32 exec_lo, exec_lo, s3
	s_cbranch_execnz .LBB45_9
; %bb.10:
	s_or_b32 exec_lo, exec_lo, s3
.LBB45_11:
	s_or_b32 exec_lo, exec_lo, s1
	s_cbranch_execz .LBB45_13
	s_branch .LBB45_18
.LBB45_12:
                                        ; implicit-def: $vgpr6_vgpr7
                                        ; implicit-def: $vgpr8_vgpr9
                                        ; implicit-def: $vgpr10_vgpr11
.LBB45_13:
	v_mov_b32_e32 v6, 0
	v_mov_b32_e32 v8, 0
	;; [unrolled: 1-line block ×6, first 2 shown]
	s_and_saveexec_b32 s1, s0
	s_cbranch_execz .LBB45_17
; %bb.14:
	v_mad_u64_u32 v[14:15], null, v12, 6, 5
	v_mov_b32_e32 v6, 0
	v_mov_b32_e32 v8, 0
	;; [unrolled: 1-line block ×7, first 2 shown]
	s_mov_b32 s0, 0
.LBB45_15:                              ; =>This Inner Loop Header: Depth=1
	v_ashrrev_i32_e32 v13, 31, v12
	v_add_nc_u32_e32 v20, -3, v14
	v_mov_b32_e32 v21, v17
	v_add_nc_u32_e32 v22, -1, v14
	v_mov_b32_e32 v23, v17
	v_lshlrev_b64 v[15:16], 2, v[12:13]
	v_mov_b32_e32 v25, v17
	v_lshlrev_b64 v[20:21], 3, v[20:21]
	v_add_nc_u32_e32 v12, 32, v12
	v_lshlrev_b64 v[22:23], 3, v[22:23]
	v_add_co_u32 v15, vcc_lo, s10, v15
	v_add_co_ci_u32_e64 v16, null, s11, v16, vcc_lo
	global_load_dword v13, v[15:16], off
	v_add_nc_u32_e32 v16, -5, v14
	v_lshlrev_b64 v[15:16], 3, v[16:17]
	v_add_co_u32 v15, vcc_lo, s12, v15
	v_add_co_ci_u32_e64 v16, null, s13, v16, vcc_lo
	v_add_co_u32 v26, vcc_lo, s12, v20
	v_add_co_ci_u32_e64 v27, null, s13, v21, vcc_lo
	;; [unrolled: 2-line block ×3, first 2 shown]
	global_load_dwordx4 v[20:23], v[15:16], off
	s_waitcnt vmcnt(1)
	v_subrev_nc_u32_e32 v13, s2, v13
	v_lshlrev_b32_e32 v24, 1, v13
	v_lshlrev_b64 v[15:16], 3, v[24:25]
	v_add_co_u32 v15, vcc_lo, s14, v15
	v_add_co_ci_u32_e64 v16, null, s15, v16, vcc_lo
	s_clause 0x1
	global_load_dwordx2 v[30:31], v[26:27], off
	global_load_dwordx2 v[28:29], v[28:29], off
	global_load_dwordx4 v[24:27], v[15:16], off
	v_mov_b32_e32 v15, v17
	v_add_nc_u32_e32 v16, -2, v14
	v_lshlrev_b64 v[32:33], 3, v[14:15]
	v_lshlrev_b64 v[15:16], 3, v[16:17]
	v_add_nc_u32_e32 v14, 0xc0, v14
	v_add_co_u32 v32, vcc_lo, s12, v32
	v_add_co_ci_u32_e64 v33, null, s13, v33, vcc_lo
	v_add_co_u32 v15, vcc_lo, s12, v15
	v_add_co_ci_u32_e64 v16, null, s13, v16, vcc_lo
	s_clause 0x1
	global_load_dwordx2 v[15:16], v[15:16], off
	global_load_dwordx2 v[32:33], v[32:33], off
	v_cmp_ge_i32_e32 vcc_lo, v12, v19
	s_or_b32 s0, vcc_lo, s0
	s_waitcnt vmcnt(2)
	v_fma_f64 v[6:7], v[20:21], v[24:25], v[6:7]
	v_fma_f64 v[10:11], v[30:31], v[24:25], v[10:11]
	;; [unrolled: 1-line block ×4, first 2 shown]
	s_waitcnt vmcnt(1)
	v_fma_f64 v[10:11], v[15:16], v[26:27], v[10:11]
	s_waitcnt vmcnt(0)
	v_fma_f64 v[8:9], v[32:33], v[26:27], v[8:9]
	s_andn2_b32 exec_lo, exec_lo, s0
	s_cbranch_execnz .LBB45_15
; %bb.16:
	s_or_b32 exec_lo, exec_lo, s0
.LBB45_17:
	s_or_b32 exec_lo, exec_lo, s1
.LBB45_18:
	v_mbcnt_lo_u32_b32 v18, -1, 0
	v_xor_b32_e32 v12, 16, v18
	v_cmp_gt_i32_e32 vcc_lo, 32, v12
	v_cndmask_b32_e32 v12, v18, v12, vcc_lo
	v_lshlrev_b32_e32 v17, 2, v12
	ds_bpermute_b32 v12, v17, v6
	ds_bpermute_b32 v13, v17, v7
	;; [unrolled: 1-line block ×6, first 2 shown]
	s_waitcnt lgkmcnt(4)
	v_add_f64 v[6:7], v[6:7], v[12:13]
	v_xor_b32_e32 v12, 8, v18
	s_waitcnt lgkmcnt(2)
	v_add_f64 v[10:11], v[10:11], v[14:15]
	s_waitcnt lgkmcnt(0)
	v_add_f64 v[8:9], v[8:9], v[16:17]
	v_cmp_gt_i32_e32 vcc_lo, 32, v12
	v_cndmask_b32_e32 v12, v18, v12, vcc_lo
	v_lshlrev_b32_e32 v17, 2, v12
	ds_bpermute_b32 v12, v17, v6
	ds_bpermute_b32 v13, v17, v7
	;; [unrolled: 1-line block ×6, first 2 shown]
	s_waitcnt lgkmcnt(4)
	v_add_f64 v[6:7], v[6:7], v[12:13]
	v_xor_b32_e32 v12, 4, v18
	s_waitcnt lgkmcnt(2)
	v_add_f64 v[10:11], v[10:11], v[14:15]
	s_waitcnt lgkmcnt(0)
	v_add_f64 v[8:9], v[8:9], v[16:17]
	v_cmp_gt_i32_e32 vcc_lo, 32, v12
	v_cndmask_b32_e32 v12, v18, v12, vcc_lo
	v_lshlrev_b32_e32 v17, 2, v12
	ds_bpermute_b32 v12, v17, v6
	ds_bpermute_b32 v13, v17, v7
	;; [unrolled: 1-line block ×6, first 2 shown]
	s_waitcnt lgkmcnt(4)
	v_add_f64 v[6:7], v[6:7], v[12:13]
	s_waitcnt lgkmcnt(2)
	v_add_f64 v[10:11], v[10:11], v[14:15]
	;; [unrolled: 2-line block ×3, first 2 shown]
	v_xor_b32_e32 v8, 2, v18
	v_cmp_gt_i32_e32 vcc_lo, 32, v8
	v_cndmask_b32_e32 v8, v18, v8, vcc_lo
	v_lshlrev_b32_e32 v17, 2, v8
	ds_bpermute_b32 v8, v17, v6
	ds_bpermute_b32 v9, v17, v7
	;; [unrolled: 1-line block ×6, first 2 shown]
	s_waitcnt lgkmcnt(4)
	v_add_f64 v[8:9], v[6:7], v[8:9]
	s_waitcnt lgkmcnt(2)
	v_add_f64 v[6:7], v[10:11], v[14:15]
	v_xor_b32_e32 v10, 1, v18
	s_waitcnt lgkmcnt(0)
	v_add_f64 v[12:13], v[12:13], v[16:17]
	v_cmp_gt_i32_e32 vcc_lo, 32, v10
	v_cndmask_b32_e32 v10, v18, v10, vcc_lo
	v_cmp_eq_u32_e32 vcc_lo, 31, v0
	v_lshlrev_b32_e32 v15, 2, v10
	ds_bpermute_b32 v10, v15, v8
	ds_bpermute_b32 v11, v15, v9
	;; [unrolled: 1-line block ×6, first 2 shown]
	s_and_b32 exec_lo, exec_lo, vcc_lo
	s_cbranch_execz .LBB45_23
; %bb.19:
	s_waitcnt lgkmcnt(4)
	v_add_f64 v[10:11], v[8:9], v[10:11]
	s_waitcnt lgkmcnt(2)
	v_add_f64 v[8:9], v[6:7], v[16:17]
	;; [unrolled: 2-line block ×3, first 2 shown]
	s_load_dwordx2 s[0:1], s[4:5], 0x38
	s_mov_b32 s2, exec_lo
	v_cmpx_eq_f64_e32 0, v[3:4]
	s_xor_b32 s2, exec_lo, s2
	s_cbranch_execz .LBB45_21
; %bb.20:
	v_lshl_add_u32 v0, v5, 1, v5
	v_mul_f64 v[10:11], v[1:2], v[10:11]
	v_mul_f64 v[12:13], v[1:2], v[8:9]
	;; [unrolled: 1-line block ×3, first 2 shown]
                                        ; implicit-def: $vgpr5
                                        ; implicit-def: $vgpr8_vgpr9
                                        ; implicit-def: $vgpr6_vgpr7
	v_ashrrev_i32_e32 v1, 31, v0
	v_lshlrev_b64 v[0:1], 3, v[0:1]
	s_waitcnt lgkmcnt(0)
	v_add_co_u32 v0, vcc_lo, s0, v0
	v_add_co_ci_u32_e64 v1, null, s1, v1, vcc_lo
	global_store_dwordx4 v[0:1], v[10:13], off
	global_store_dwordx2 v[0:1], v[2:3], off offset:16
                                        ; implicit-def: $vgpr1_vgpr2
                                        ; implicit-def: $vgpr10_vgpr11
                                        ; implicit-def: $vgpr3_vgpr4
.LBB45_21:
	s_andn2_saveexec_b32 s2, s2
	s_cbranch_execz .LBB45_23
; %bb.22:
	v_lshl_add_u32 v12, v5, 1, v5
	v_mul_f64 v[10:11], v[1:2], v[10:11]
	v_mul_f64 v[8:9], v[1:2], v[8:9]
	;; [unrolled: 1-line block ×3, first 2 shown]
	v_ashrrev_i32_e32 v13, 31, v12
	v_lshlrev_b64 v[12:13], 3, v[12:13]
	s_waitcnt lgkmcnt(0)
	v_add_co_u32 v16, vcc_lo, s0, v12
	v_add_co_ci_u32_e64 v17, null, s1, v13, vcc_lo
	s_clause 0x1
	global_load_dwordx4 v[12:15], v[16:17], off
	global_load_dwordx2 v[18:19], v[16:17], off offset:16
	s_waitcnt vmcnt(1)
	v_fma_f64 v[5:6], v[3:4], v[12:13], v[10:11]
	v_fma_f64 v[7:8], v[3:4], v[14:15], v[8:9]
	s_waitcnt vmcnt(0)
	v_fma_f64 v[0:1], v[3:4], v[18:19], v[0:1]
	global_store_dwordx4 v[16:17], v[5:8], off
	global_store_dwordx2 v[16:17], v[0:1], off offset:16
.LBB45_23:
	s_endpgm
	.section	.rodata,"a",@progbits
	.p2align	6, 0x0
	.amdhsa_kernel _ZN9rocsparseL19gebsrmvn_3xn_kernelILj128ELj2ELj32EdEEvi20rocsparse_direction_NS_24const_host_device_scalarIT2_EEPKiS6_PKS3_S8_S4_PS3_21rocsparse_index_base_b
		.amdhsa_group_segment_fixed_size 0
		.amdhsa_private_segment_fixed_size 0
		.amdhsa_kernarg_size 72
		.amdhsa_user_sgpr_count 6
		.amdhsa_user_sgpr_private_segment_buffer 1
		.amdhsa_user_sgpr_dispatch_ptr 0
		.amdhsa_user_sgpr_queue_ptr 0
		.amdhsa_user_sgpr_kernarg_segment_ptr 1
		.amdhsa_user_sgpr_dispatch_id 0
		.amdhsa_user_sgpr_flat_scratch_init 0
		.amdhsa_user_sgpr_private_segment_size 0
		.amdhsa_wavefront_size32 1
		.amdhsa_uses_dynamic_stack 0
		.amdhsa_system_sgpr_private_segment_wavefront_offset 0
		.amdhsa_system_sgpr_workgroup_id_x 1
		.amdhsa_system_sgpr_workgroup_id_y 0
		.amdhsa_system_sgpr_workgroup_id_z 0
		.amdhsa_system_sgpr_workgroup_info 0
		.amdhsa_system_vgpr_workitem_id 0
		.amdhsa_next_free_vgpr 34
		.amdhsa_next_free_sgpr 16
		.amdhsa_reserve_vcc 1
		.amdhsa_reserve_flat_scratch 0
		.amdhsa_float_round_mode_32 0
		.amdhsa_float_round_mode_16_64 0
		.amdhsa_float_denorm_mode_32 3
		.amdhsa_float_denorm_mode_16_64 3
		.amdhsa_dx10_clamp 1
		.amdhsa_ieee_mode 1
		.amdhsa_fp16_overflow 0
		.amdhsa_workgroup_processor_mode 1
		.amdhsa_memory_ordered 1
		.amdhsa_forward_progress 1
		.amdhsa_shared_vgpr_count 0
		.amdhsa_exception_fp_ieee_invalid_op 0
		.amdhsa_exception_fp_denorm_src 0
		.amdhsa_exception_fp_ieee_div_zero 0
		.amdhsa_exception_fp_ieee_overflow 0
		.amdhsa_exception_fp_ieee_underflow 0
		.amdhsa_exception_fp_ieee_inexact 0
		.amdhsa_exception_int_div_zero 0
	.end_amdhsa_kernel
	.section	.text._ZN9rocsparseL19gebsrmvn_3xn_kernelILj128ELj2ELj32EdEEvi20rocsparse_direction_NS_24const_host_device_scalarIT2_EEPKiS6_PKS3_S8_S4_PS3_21rocsparse_index_base_b,"axG",@progbits,_ZN9rocsparseL19gebsrmvn_3xn_kernelILj128ELj2ELj32EdEEvi20rocsparse_direction_NS_24const_host_device_scalarIT2_EEPKiS6_PKS3_S8_S4_PS3_21rocsparse_index_base_b,comdat
.Lfunc_end45:
	.size	_ZN9rocsparseL19gebsrmvn_3xn_kernelILj128ELj2ELj32EdEEvi20rocsparse_direction_NS_24const_host_device_scalarIT2_EEPKiS6_PKS3_S8_S4_PS3_21rocsparse_index_base_b, .Lfunc_end45-_ZN9rocsparseL19gebsrmvn_3xn_kernelILj128ELj2ELj32EdEEvi20rocsparse_direction_NS_24const_host_device_scalarIT2_EEPKiS6_PKS3_S8_S4_PS3_21rocsparse_index_base_b
                                        ; -- End function
	.set _ZN9rocsparseL19gebsrmvn_3xn_kernelILj128ELj2ELj32EdEEvi20rocsparse_direction_NS_24const_host_device_scalarIT2_EEPKiS6_PKS3_S8_S4_PS3_21rocsparse_index_base_b.num_vgpr, 34
	.set _ZN9rocsparseL19gebsrmvn_3xn_kernelILj128ELj2ELj32EdEEvi20rocsparse_direction_NS_24const_host_device_scalarIT2_EEPKiS6_PKS3_S8_S4_PS3_21rocsparse_index_base_b.num_agpr, 0
	.set _ZN9rocsparseL19gebsrmvn_3xn_kernelILj128ELj2ELj32EdEEvi20rocsparse_direction_NS_24const_host_device_scalarIT2_EEPKiS6_PKS3_S8_S4_PS3_21rocsparse_index_base_b.numbered_sgpr, 16
	.set _ZN9rocsparseL19gebsrmvn_3xn_kernelILj128ELj2ELj32EdEEvi20rocsparse_direction_NS_24const_host_device_scalarIT2_EEPKiS6_PKS3_S8_S4_PS3_21rocsparse_index_base_b.num_named_barrier, 0
	.set _ZN9rocsparseL19gebsrmvn_3xn_kernelILj128ELj2ELj32EdEEvi20rocsparse_direction_NS_24const_host_device_scalarIT2_EEPKiS6_PKS3_S8_S4_PS3_21rocsparse_index_base_b.private_seg_size, 0
	.set _ZN9rocsparseL19gebsrmvn_3xn_kernelILj128ELj2ELj32EdEEvi20rocsparse_direction_NS_24const_host_device_scalarIT2_EEPKiS6_PKS3_S8_S4_PS3_21rocsparse_index_base_b.uses_vcc, 1
	.set _ZN9rocsparseL19gebsrmvn_3xn_kernelILj128ELj2ELj32EdEEvi20rocsparse_direction_NS_24const_host_device_scalarIT2_EEPKiS6_PKS3_S8_S4_PS3_21rocsparse_index_base_b.uses_flat_scratch, 0
	.set _ZN9rocsparseL19gebsrmvn_3xn_kernelILj128ELj2ELj32EdEEvi20rocsparse_direction_NS_24const_host_device_scalarIT2_EEPKiS6_PKS3_S8_S4_PS3_21rocsparse_index_base_b.has_dyn_sized_stack, 0
	.set _ZN9rocsparseL19gebsrmvn_3xn_kernelILj128ELj2ELj32EdEEvi20rocsparse_direction_NS_24const_host_device_scalarIT2_EEPKiS6_PKS3_S8_S4_PS3_21rocsparse_index_base_b.has_recursion, 0
	.set _ZN9rocsparseL19gebsrmvn_3xn_kernelILj128ELj2ELj32EdEEvi20rocsparse_direction_NS_24const_host_device_scalarIT2_EEPKiS6_PKS3_S8_S4_PS3_21rocsparse_index_base_b.has_indirect_call, 0
	.section	.AMDGPU.csdata,"",@progbits
; Kernel info:
; codeLenInByte = 1928
; TotalNumSgprs: 18
; NumVgprs: 34
; ScratchSize: 0
; MemoryBound: 0
; FloatMode: 240
; IeeeMode: 1
; LDSByteSize: 0 bytes/workgroup (compile time only)
; SGPRBlocks: 0
; VGPRBlocks: 4
; NumSGPRsForWavesPerEU: 18
; NumVGPRsForWavesPerEU: 34
; Occupancy: 16
; WaveLimiterHint : 1
; COMPUTE_PGM_RSRC2:SCRATCH_EN: 0
; COMPUTE_PGM_RSRC2:USER_SGPR: 6
; COMPUTE_PGM_RSRC2:TRAP_HANDLER: 0
; COMPUTE_PGM_RSRC2:TGID_X_EN: 1
; COMPUTE_PGM_RSRC2:TGID_Y_EN: 0
; COMPUTE_PGM_RSRC2:TGID_Z_EN: 0
; COMPUTE_PGM_RSRC2:TIDIG_COMP_CNT: 0
	.section	.text._ZN9rocsparseL19gebsrmvn_3xn_kernelILj128ELj2ELj64EdEEvi20rocsparse_direction_NS_24const_host_device_scalarIT2_EEPKiS6_PKS3_S8_S4_PS3_21rocsparse_index_base_b,"axG",@progbits,_ZN9rocsparseL19gebsrmvn_3xn_kernelILj128ELj2ELj64EdEEvi20rocsparse_direction_NS_24const_host_device_scalarIT2_EEPKiS6_PKS3_S8_S4_PS3_21rocsparse_index_base_b,comdat
	.globl	_ZN9rocsparseL19gebsrmvn_3xn_kernelILj128ELj2ELj64EdEEvi20rocsparse_direction_NS_24const_host_device_scalarIT2_EEPKiS6_PKS3_S8_S4_PS3_21rocsparse_index_base_b ; -- Begin function _ZN9rocsparseL19gebsrmvn_3xn_kernelILj128ELj2ELj64EdEEvi20rocsparse_direction_NS_24const_host_device_scalarIT2_EEPKiS6_PKS3_S8_S4_PS3_21rocsparse_index_base_b
	.p2align	8
	.type	_ZN9rocsparseL19gebsrmvn_3xn_kernelILj128ELj2ELj64EdEEvi20rocsparse_direction_NS_24const_host_device_scalarIT2_EEPKiS6_PKS3_S8_S4_PS3_21rocsparse_index_base_b,@function
_ZN9rocsparseL19gebsrmvn_3xn_kernelILj128ELj2ELj64EdEEvi20rocsparse_direction_NS_24const_host_device_scalarIT2_EEPKiS6_PKS3_S8_S4_PS3_21rocsparse_index_base_b: ; @_ZN9rocsparseL19gebsrmvn_3xn_kernelILj128ELj2ELj64EdEEvi20rocsparse_direction_NS_24const_host_device_scalarIT2_EEPKiS6_PKS3_S8_S4_PS3_21rocsparse_index_base_b
; %bb.0:
	s_clause 0x2
	s_load_dwordx2 s[2:3], s[4:5], 0x40
	s_load_dwordx2 s[8:9], s[4:5], 0x8
	;; [unrolled: 1-line block ×3, first 2 shown]
	s_waitcnt lgkmcnt(0)
	s_bitcmp1_b32 s3, 0
	v_mov_b32_e32 v1, s8
	v_mov_b32_e32 v2, s9
	s_cselect_b32 s3, -1, 0
	s_and_b32 vcc_lo, exec_lo, s3
	s_xor_b32 s3, s3, -1
	s_cbranch_vccnz .LBB46_2
; %bb.1:
	v_mov_b32_e32 v1, s8
	v_mov_b32_e32 v2, s9
	flat_load_dwordx2 v[1:2], v[1:2]
.LBB46_2:
	v_mov_b32_e32 v4, s1
	v_mov_b32_e32 v3, s0
	s_andn2_b32 vcc_lo, exec_lo, s3
	s_cbranch_vccnz .LBB46_4
; %bb.3:
	v_mov_b32_e32 v4, s1
	v_mov_b32_e32 v3, s0
	flat_load_dwordx2 v[3:4], v[3:4]
.LBB46_4:
	s_waitcnt vmcnt(0) lgkmcnt(0)
	v_cmp_neq_f64_e32 vcc_lo, 0, v[1:2]
	v_cmp_neq_f64_e64 s0, 1.0, v[3:4]
	s_or_b32 s0, vcc_lo, s0
	s_and_saveexec_b32 s1, s0
	s_cbranch_execz .LBB46_23
; %bb.5:
	s_load_dwordx2 s[0:1], s[4:5], 0x0
	v_lshrrev_b32_e32 v5, 6, v0
	v_lshl_or_b32 v5, s6, 1, v5
	s_waitcnt lgkmcnt(0)
	v_cmp_gt_i32_e32 vcc_lo, s0, v5
	s_and_b32 exec_lo, exec_lo, vcc_lo
	s_cbranch_execz .LBB46_23
; %bb.6:
	s_load_dwordx8 s[8:15], s[4:5], 0x10
	v_ashrrev_i32_e32 v6, 31, v5
	v_and_b32_e32 v0, 63, v0
	s_cmp_lg_u32 s1, 0
	v_lshlrev_b64 v[6:7], 2, v[5:6]
	s_waitcnt lgkmcnt(0)
	v_add_co_u32 v6, vcc_lo, s8, v6
	v_add_co_ci_u32_e64 v7, null, s9, v7, vcc_lo
	global_load_dwordx2 v[6:7], v[6:7], off
	s_waitcnt vmcnt(0)
	v_subrev_nc_u32_e32 v6, s2, v6
	v_subrev_nc_u32_e32 v19, s2, v7
	v_add_nc_u32_e32 v12, v6, v0
	v_cmp_lt_i32_e64 s0, v12, v19
	s_cbranch_scc0 .LBB46_12
; %bb.7:
	v_mov_b32_e32 v6, 0
	v_mov_b32_e32 v8, 0
	;; [unrolled: 1-line block ×6, first 2 shown]
	s_and_saveexec_b32 s1, s0
	s_cbranch_execz .LBB46_11
; %bb.8:
	v_mad_u64_u32 v[13:14], null, v12, 6, 5
	v_mov_b32_e32 v6, 0
	v_mov_b32_e32 v8, 0
	;; [unrolled: 1-line block ×8, first 2 shown]
	s_mov_b32 s3, 0
.LBB46_9:                               ; =>This Inner Loop Header: Depth=1
	v_ashrrev_i32_e32 v18, 31, v17
	v_mov_b32_e32 v21, v16
	v_lshlrev_b64 v[14:15], 2, v[17:18]
	v_add_nc_u32_e32 v17, 64, v17
	v_add_co_u32 v14, vcc_lo, s10, v14
	v_add_co_ci_u32_e64 v15, null, s11, v15, vcc_lo
	global_load_dword v18, v[14:15], off
	v_mov_b32_e32 v14, v16
	v_add_nc_u32_e32 v15, -5, v13
	v_lshlrev_b64 v[28:29], 3, v[13:14]
	v_lshlrev_b64 v[22:23], 3, v[15:16]
	v_add_nc_u32_e32 v15, -3, v13
	v_lshlrev_b64 v[24:25], 3, v[15:16]
	v_add_co_u32 v22, vcc_lo, s12, v22
	v_add_co_ci_u32_e64 v23, null, s13, v23, vcc_lo
	v_add_nc_u32_e32 v15, -2, v13
	v_add_co_u32 v24, vcc_lo, s12, v24
	v_add_co_ci_u32_e64 v25, null, s13, v25, vcc_lo
	v_lshlrev_b64 v[32:33], 3, v[15:16]
	v_add_nc_u32_e32 v15, -1, v13
	v_add_nc_u32_e32 v13, 0x180, v13
	s_waitcnt vmcnt(0)
	v_subrev_nc_u32_e32 v14, s2, v18
	v_lshlrev_b32_e32 v20, 1, v14
	v_lshlrev_b64 v[14:15], 3, v[15:16]
	v_lshlrev_b64 v[20:21], 3, v[20:21]
	v_add_co_u32 v26, vcc_lo, s14, v20
	v_add_co_ci_u32_e64 v27, null, s15, v21, vcc_lo
	v_add_co_u32 v28, vcc_lo, s12, v28
	s_clause 0x1
	global_load_dwordx4 v[20:23], v[22:23], off
	global_load_dwordx2 v[30:31], v[24:25], off
	global_load_dwordx4 v[24:27], v[26:27], off
	v_add_co_ci_u32_e64 v29, null, s13, v29, vcc_lo
	v_add_co_u32 v32, vcc_lo, s12, v32
	v_add_co_ci_u32_e64 v33, null, s13, v33, vcc_lo
	v_add_co_u32 v14, vcc_lo, s12, v14
	v_add_co_ci_u32_e64 v15, null, s13, v15, vcc_lo
	s_clause 0x2
	global_load_dwordx2 v[32:33], v[32:33], off
	global_load_dwordx2 v[14:15], v[14:15], off
	;; [unrolled: 1-line block ×3, first 2 shown]
	v_cmp_ge_i32_e32 vcc_lo, v17, v19
	s_or_b32 s3, vcc_lo, s3
	s_waitcnt vmcnt(3)
	v_fma_f64 v[6:7], v[20:21], v[24:25], v[6:7]
	v_fma_f64 v[10:11], v[22:23], v[24:25], v[10:11]
	;; [unrolled: 1-line block ×3, first 2 shown]
	s_waitcnt vmcnt(2)
	v_fma_f64 v[6:7], v[32:33], v[26:27], v[6:7]
	s_waitcnt vmcnt(1)
	v_fma_f64 v[10:11], v[14:15], v[26:27], v[10:11]
	;; [unrolled: 2-line block ×3, first 2 shown]
	s_andn2_b32 exec_lo, exec_lo, s3
	s_cbranch_execnz .LBB46_9
; %bb.10:
	s_or_b32 exec_lo, exec_lo, s3
.LBB46_11:
	s_or_b32 exec_lo, exec_lo, s1
	s_cbranch_execz .LBB46_13
	s_branch .LBB46_18
.LBB46_12:
                                        ; implicit-def: $vgpr6_vgpr7
                                        ; implicit-def: $vgpr8_vgpr9
                                        ; implicit-def: $vgpr10_vgpr11
.LBB46_13:
	v_mov_b32_e32 v6, 0
	v_mov_b32_e32 v8, 0
	v_mov_b32_e32 v10, 0
	v_mov_b32_e32 v7, 0
	v_mov_b32_e32 v9, 0
	v_mov_b32_e32 v11, 0
	s_and_saveexec_b32 s1, s0
	s_cbranch_execz .LBB46_17
; %bb.14:
	v_mad_u64_u32 v[14:15], null, v12, 6, 5
	v_mov_b32_e32 v6, 0
	v_mov_b32_e32 v8, 0
	;; [unrolled: 1-line block ×7, first 2 shown]
	s_mov_b32 s0, 0
.LBB46_15:                              ; =>This Inner Loop Header: Depth=1
	v_ashrrev_i32_e32 v13, 31, v12
	v_add_nc_u32_e32 v20, -3, v14
	v_mov_b32_e32 v21, v17
	v_add_nc_u32_e32 v22, -1, v14
	v_mov_b32_e32 v23, v17
	v_lshlrev_b64 v[15:16], 2, v[12:13]
	v_mov_b32_e32 v25, v17
	v_lshlrev_b64 v[20:21], 3, v[20:21]
	v_add_nc_u32_e32 v12, 64, v12
	v_lshlrev_b64 v[22:23], 3, v[22:23]
	v_add_co_u32 v15, vcc_lo, s10, v15
	v_add_co_ci_u32_e64 v16, null, s11, v16, vcc_lo
	global_load_dword v13, v[15:16], off
	v_add_nc_u32_e32 v16, -5, v14
	v_lshlrev_b64 v[15:16], 3, v[16:17]
	v_add_co_u32 v15, vcc_lo, s12, v15
	v_add_co_ci_u32_e64 v16, null, s13, v16, vcc_lo
	v_add_co_u32 v26, vcc_lo, s12, v20
	v_add_co_ci_u32_e64 v27, null, s13, v21, vcc_lo
	;; [unrolled: 2-line block ×3, first 2 shown]
	global_load_dwordx4 v[20:23], v[15:16], off
	s_waitcnt vmcnt(1)
	v_subrev_nc_u32_e32 v13, s2, v13
	v_lshlrev_b32_e32 v24, 1, v13
	v_lshlrev_b64 v[15:16], 3, v[24:25]
	v_add_co_u32 v15, vcc_lo, s14, v15
	v_add_co_ci_u32_e64 v16, null, s15, v16, vcc_lo
	s_clause 0x1
	global_load_dwordx2 v[30:31], v[26:27], off
	global_load_dwordx2 v[28:29], v[28:29], off
	global_load_dwordx4 v[24:27], v[15:16], off
	v_mov_b32_e32 v15, v17
	v_add_nc_u32_e32 v16, -2, v14
	v_lshlrev_b64 v[32:33], 3, v[14:15]
	v_lshlrev_b64 v[15:16], 3, v[16:17]
	v_add_nc_u32_e32 v14, 0x180, v14
	v_add_co_u32 v32, vcc_lo, s12, v32
	v_add_co_ci_u32_e64 v33, null, s13, v33, vcc_lo
	v_add_co_u32 v15, vcc_lo, s12, v15
	v_add_co_ci_u32_e64 v16, null, s13, v16, vcc_lo
	s_clause 0x1
	global_load_dwordx2 v[15:16], v[15:16], off
	global_load_dwordx2 v[32:33], v[32:33], off
	v_cmp_ge_i32_e32 vcc_lo, v12, v19
	s_or_b32 s0, vcc_lo, s0
	s_waitcnt vmcnt(2)
	v_fma_f64 v[6:7], v[20:21], v[24:25], v[6:7]
	v_fma_f64 v[10:11], v[30:31], v[24:25], v[10:11]
	;; [unrolled: 1-line block ×4, first 2 shown]
	s_waitcnt vmcnt(1)
	v_fma_f64 v[10:11], v[15:16], v[26:27], v[10:11]
	s_waitcnt vmcnt(0)
	v_fma_f64 v[8:9], v[32:33], v[26:27], v[8:9]
	s_andn2_b32 exec_lo, exec_lo, s0
	s_cbranch_execnz .LBB46_15
; %bb.16:
	s_or_b32 exec_lo, exec_lo, s0
.LBB46_17:
	s_or_b32 exec_lo, exec_lo, s1
.LBB46_18:
	v_mbcnt_lo_u32_b32 v18, -1, 0
	v_or_b32_e32 v12, 32, v18
	v_cmp_gt_i32_e32 vcc_lo, 32, v12
	v_cndmask_b32_e32 v12, v18, v12, vcc_lo
	v_lshlrev_b32_e32 v17, 2, v12
	ds_bpermute_b32 v12, v17, v6
	ds_bpermute_b32 v13, v17, v7
	ds_bpermute_b32 v14, v17, v10
	ds_bpermute_b32 v15, v17, v11
	ds_bpermute_b32 v16, v17, v8
	ds_bpermute_b32 v17, v17, v9
	s_waitcnt lgkmcnt(4)
	v_add_f64 v[6:7], v[6:7], v[12:13]
	v_xor_b32_e32 v12, 16, v18
	s_waitcnt lgkmcnt(2)
	v_add_f64 v[10:11], v[10:11], v[14:15]
	s_waitcnt lgkmcnt(0)
	v_add_f64 v[8:9], v[8:9], v[16:17]
	v_cmp_gt_i32_e32 vcc_lo, 32, v12
	v_cndmask_b32_e32 v12, v18, v12, vcc_lo
	v_lshlrev_b32_e32 v17, 2, v12
	ds_bpermute_b32 v12, v17, v6
	ds_bpermute_b32 v13, v17, v7
	ds_bpermute_b32 v14, v17, v10
	ds_bpermute_b32 v15, v17, v11
	ds_bpermute_b32 v16, v17, v8
	ds_bpermute_b32 v17, v17, v9
	s_waitcnt lgkmcnt(4)
	v_add_f64 v[6:7], v[6:7], v[12:13]
	v_xor_b32_e32 v12, 8, v18
	s_waitcnt lgkmcnt(2)
	v_add_f64 v[10:11], v[10:11], v[14:15]
	s_waitcnt lgkmcnt(0)
	v_add_f64 v[8:9], v[8:9], v[16:17]
	;; [unrolled: 16-line block ×3, first 2 shown]
	v_cmp_gt_i32_e32 vcc_lo, 32, v12
	v_cndmask_b32_e32 v12, v18, v12, vcc_lo
	v_lshlrev_b32_e32 v17, 2, v12
	ds_bpermute_b32 v12, v17, v6
	ds_bpermute_b32 v13, v17, v7
	;; [unrolled: 1-line block ×6, first 2 shown]
	s_waitcnt lgkmcnt(4)
	v_add_f64 v[6:7], v[6:7], v[12:13]
	s_waitcnt lgkmcnt(2)
	v_add_f64 v[10:11], v[10:11], v[14:15]
	;; [unrolled: 2-line block ×3, first 2 shown]
	v_xor_b32_e32 v8, 2, v18
	v_cmp_gt_i32_e32 vcc_lo, 32, v8
	v_cndmask_b32_e32 v8, v18, v8, vcc_lo
	v_lshlrev_b32_e32 v17, 2, v8
	ds_bpermute_b32 v8, v17, v6
	ds_bpermute_b32 v9, v17, v7
	;; [unrolled: 1-line block ×6, first 2 shown]
	s_waitcnt lgkmcnt(4)
	v_add_f64 v[8:9], v[6:7], v[8:9]
	s_waitcnt lgkmcnt(2)
	v_add_f64 v[6:7], v[10:11], v[14:15]
	v_xor_b32_e32 v10, 1, v18
	s_waitcnt lgkmcnt(0)
	v_add_f64 v[12:13], v[12:13], v[16:17]
	v_cmp_gt_i32_e32 vcc_lo, 32, v10
	v_cndmask_b32_e32 v10, v18, v10, vcc_lo
	v_cmp_eq_u32_e32 vcc_lo, 63, v0
	v_lshlrev_b32_e32 v15, 2, v10
	ds_bpermute_b32 v10, v15, v8
	ds_bpermute_b32 v11, v15, v9
	;; [unrolled: 1-line block ×6, first 2 shown]
	s_and_b32 exec_lo, exec_lo, vcc_lo
	s_cbranch_execz .LBB46_23
; %bb.19:
	s_waitcnt lgkmcnt(4)
	v_add_f64 v[10:11], v[8:9], v[10:11]
	s_waitcnt lgkmcnt(2)
	v_add_f64 v[8:9], v[6:7], v[16:17]
	;; [unrolled: 2-line block ×3, first 2 shown]
	s_load_dwordx2 s[0:1], s[4:5], 0x38
	s_mov_b32 s2, exec_lo
	v_cmpx_eq_f64_e32 0, v[3:4]
	s_xor_b32 s2, exec_lo, s2
	s_cbranch_execz .LBB46_21
; %bb.20:
	v_lshl_add_u32 v0, v5, 1, v5
	v_mul_f64 v[10:11], v[1:2], v[10:11]
	v_mul_f64 v[12:13], v[1:2], v[8:9]
	v_mul_f64 v[2:3], v[1:2], v[6:7]
                                        ; implicit-def: $vgpr5
                                        ; implicit-def: $vgpr8_vgpr9
                                        ; implicit-def: $vgpr6_vgpr7
	v_ashrrev_i32_e32 v1, 31, v0
	v_lshlrev_b64 v[0:1], 3, v[0:1]
	s_waitcnt lgkmcnt(0)
	v_add_co_u32 v0, vcc_lo, s0, v0
	v_add_co_ci_u32_e64 v1, null, s1, v1, vcc_lo
	global_store_dwordx4 v[0:1], v[10:13], off
	global_store_dwordx2 v[0:1], v[2:3], off offset:16
                                        ; implicit-def: $vgpr1_vgpr2
                                        ; implicit-def: $vgpr10_vgpr11
                                        ; implicit-def: $vgpr3_vgpr4
.LBB46_21:
	s_andn2_saveexec_b32 s2, s2
	s_cbranch_execz .LBB46_23
; %bb.22:
	v_lshl_add_u32 v12, v5, 1, v5
	v_mul_f64 v[10:11], v[1:2], v[10:11]
	v_mul_f64 v[8:9], v[1:2], v[8:9]
	v_mul_f64 v[0:1], v[1:2], v[6:7]
	v_ashrrev_i32_e32 v13, 31, v12
	v_lshlrev_b64 v[12:13], 3, v[12:13]
	s_waitcnt lgkmcnt(0)
	v_add_co_u32 v16, vcc_lo, s0, v12
	v_add_co_ci_u32_e64 v17, null, s1, v13, vcc_lo
	s_clause 0x1
	global_load_dwordx4 v[12:15], v[16:17], off
	global_load_dwordx2 v[18:19], v[16:17], off offset:16
	s_waitcnt vmcnt(1)
	v_fma_f64 v[5:6], v[3:4], v[12:13], v[10:11]
	v_fma_f64 v[7:8], v[3:4], v[14:15], v[8:9]
	s_waitcnt vmcnt(0)
	v_fma_f64 v[0:1], v[3:4], v[18:19], v[0:1]
	global_store_dwordx4 v[16:17], v[5:8], off
	global_store_dwordx2 v[16:17], v[0:1], off offset:16
.LBB46_23:
	s_endpgm
	.section	.rodata,"a",@progbits
	.p2align	6, 0x0
	.amdhsa_kernel _ZN9rocsparseL19gebsrmvn_3xn_kernelILj128ELj2ELj64EdEEvi20rocsparse_direction_NS_24const_host_device_scalarIT2_EEPKiS6_PKS3_S8_S4_PS3_21rocsparse_index_base_b
		.amdhsa_group_segment_fixed_size 0
		.amdhsa_private_segment_fixed_size 0
		.amdhsa_kernarg_size 72
		.amdhsa_user_sgpr_count 6
		.amdhsa_user_sgpr_private_segment_buffer 1
		.amdhsa_user_sgpr_dispatch_ptr 0
		.amdhsa_user_sgpr_queue_ptr 0
		.amdhsa_user_sgpr_kernarg_segment_ptr 1
		.amdhsa_user_sgpr_dispatch_id 0
		.amdhsa_user_sgpr_flat_scratch_init 0
		.amdhsa_user_sgpr_private_segment_size 0
		.amdhsa_wavefront_size32 1
		.amdhsa_uses_dynamic_stack 0
		.amdhsa_system_sgpr_private_segment_wavefront_offset 0
		.amdhsa_system_sgpr_workgroup_id_x 1
		.amdhsa_system_sgpr_workgroup_id_y 0
		.amdhsa_system_sgpr_workgroup_id_z 0
		.amdhsa_system_sgpr_workgroup_info 0
		.amdhsa_system_vgpr_workitem_id 0
		.amdhsa_next_free_vgpr 34
		.amdhsa_next_free_sgpr 16
		.amdhsa_reserve_vcc 1
		.amdhsa_reserve_flat_scratch 0
		.amdhsa_float_round_mode_32 0
		.amdhsa_float_round_mode_16_64 0
		.amdhsa_float_denorm_mode_32 3
		.amdhsa_float_denorm_mode_16_64 3
		.amdhsa_dx10_clamp 1
		.amdhsa_ieee_mode 1
		.amdhsa_fp16_overflow 0
		.amdhsa_workgroup_processor_mode 1
		.amdhsa_memory_ordered 1
		.amdhsa_forward_progress 1
		.amdhsa_shared_vgpr_count 0
		.amdhsa_exception_fp_ieee_invalid_op 0
		.amdhsa_exception_fp_denorm_src 0
		.amdhsa_exception_fp_ieee_div_zero 0
		.amdhsa_exception_fp_ieee_overflow 0
		.amdhsa_exception_fp_ieee_underflow 0
		.amdhsa_exception_fp_ieee_inexact 0
		.amdhsa_exception_int_div_zero 0
	.end_amdhsa_kernel
	.section	.text._ZN9rocsparseL19gebsrmvn_3xn_kernelILj128ELj2ELj64EdEEvi20rocsparse_direction_NS_24const_host_device_scalarIT2_EEPKiS6_PKS3_S8_S4_PS3_21rocsparse_index_base_b,"axG",@progbits,_ZN9rocsparseL19gebsrmvn_3xn_kernelILj128ELj2ELj64EdEEvi20rocsparse_direction_NS_24const_host_device_scalarIT2_EEPKiS6_PKS3_S8_S4_PS3_21rocsparse_index_base_b,comdat
.Lfunc_end46:
	.size	_ZN9rocsparseL19gebsrmvn_3xn_kernelILj128ELj2ELj64EdEEvi20rocsparse_direction_NS_24const_host_device_scalarIT2_EEPKiS6_PKS3_S8_S4_PS3_21rocsparse_index_base_b, .Lfunc_end46-_ZN9rocsparseL19gebsrmvn_3xn_kernelILj128ELj2ELj64EdEEvi20rocsparse_direction_NS_24const_host_device_scalarIT2_EEPKiS6_PKS3_S8_S4_PS3_21rocsparse_index_base_b
                                        ; -- End function
	.set _ZN9rocsparseL19gebsrmvn_3xn_kernelILj128ELj2ELj64EdEEvi20rocsparse_direction_NS_24const_host_device_scalarIT2_EEPKiS6_PKS3_S8_S4_PS3_21rocsparse_index_base_b.num_vgpr, 34
	.set _ZN9rocsparseL19gebsrmvn_3xn_kernelILj128ELj2ELj64EdEEvi20rocsparse_direction_NS_24const_host_device_scalarIT2_EEPKiS6_PKS3_S8_S4_PS3_21rocsparse_index_base_b.num_agpr, 0
	.set _ZN9rocsparseL19gebsrmvn_3xn_kernelILj128ELj2ELj64EdEEvi20rocsparse_direction_NS_24const_host_device_scalarIT2_EEPKiS6_PKS3_S8_S4_PS3_21rocsparse_index_base_b.numbered_sgpr, 16
	.set _ZN9rocsparseL19gebsrmvn_3xn_kernelILj128ELj2ELj64EdEEvi20rocsparse_direction_NS_24const_host_device_scalarIT2_EEPKiS6_PKS3_S8_S4_PS3_21rocsparse_index_base_b.num_named_barrier, 0
	.set _ZN9rocsparseL19gebsrmvn_3xn_kernelILj128ELj2ELj64EdEEvi20rocsparse_direction_NS_24const_host_device_scalarIT2_EEPKiS6_PKS3_S8_S4_PS3_21rocsparse_index_base_b.private_seg_size, 0
	.set _ZN9rocsparseL19gebsrmvn_3xn_kernelILj128ELj2ELj64EdEEvi20rocsparse_direction_NS_24const_host_device_scalarIT2_EEPKiS6_PKS3_S8_S4_PS3_21rocsparse_index_base_b.uses_vcc, 1
	.set _ZN9rocsparseL19gebsrmvn_3xn_kernelILj128ELj2ELj64EdEEvi20rocsparse_direction_NS_24const_host_device_scalarIT2_EEPKiS6_PKS3_S8_S4_PS3_21rocsparse_index_base_b.uses_flat_scratch, 0
	.set _ZN9rocsparseL19gebsrmvn_3xn_kernelILj128ELj2ELj64EdEEvi20rocsparse_direction_NS_24const_host_device_scalarIT2_EEPKiS6_PKS3_S8_S4_PS3_21rocsparse_index_base_b.has_dyn_sized_stack, 0
	.set _ZN9rocsparseL19gebsrmvn_3xn_kernelILj128ELj2ELj64EdEEvi20rocsparse_direction_NS_24const_host_device_scalarIT2_EEPKiS6_PKS3_S8_S4_PS3_21rocsparse_index_base_b.has_recursion, 0
	.set _ZN9rocsparseL19gebsrmvn_3xn_kernelILj128ELj2ELj64EdEEvi20rocsparse_direction_NS_24const_host_device_scalarIT2_EEPKiS6_PKS3_S8_S4_PS3_21rocsparse_index_base_b.has_indirect_call, 0
	.section	.AMDGPU.csdata,"",@progbits
; Kernel info:
; codeLenInByte = 2028
; TotalNumSgprs: 18
; NumVgprs: 34
; ScratchSize: 0
; MemoryBound: 0
; FloatMode: 240
; IeeeMode: 1
; LDSByteSize: 0 bytes/workgroup (compile time only)
; SGPRBlocks: 0
; VGPRBlocks: 4
; NumSGPRsForWavesPerEU: 18
; NumVGPRsForWavesPerEU: 34
; Occupancy: 16
; WaveLimiterHint : 1
; COMPUTE_PGM_RSRC2:SCRATCH_EN: 0
; COMPUTE_PGM_RSRC2:USER_SGPR: 6
; COMPUTE_PGM_RSRC2:TRAP_HANDLER: 0
; COMPUTE_PGM_RSRC2:TGID_X_EN: 1
; COMPUTE_PGM_RSRC2:TGID_Y_EN: 0
; COMPUTE_PGM_RSRC2:TGID_Z_EN: 0
; COMPUTE_PGM_RSRC2:TIDIG_COMP_CNT: 0
	.section	.text._ZN9rocsparseL19gebsrmvn_3xn_kernelILj128ELj4ELj4EdEEvi20rocsparse_direction_NS_24const_host_device_scalarIT2_EEPKiS6_PKS3_S8_S4_PS3_21rocsparse_index_base_b,"axG",@progbits,_ZN9rocsparseL19gebsrmvn_3xn_kernelILj128ELj4ELj4EdEEvi20rocsparse_direction_NS_24const_host_device_scalarIT2_EEPKiS6_PKS3_S8_S4_PS3_21rocsparse_index_base_b,comdat
	.globl	_ZN9rocsparseL19gebsrmvn_3xn_kernelILj128ELj4ELj4EdEEvi20rocsparse_direction_NS_24const_host_device_scalarIT2_EEPKiS6_PKS3_S8_S4_PS3_21rocsparse_index_base_b ; -- Begin function _ZN9rocsparseL19gebsrmvn_3xn_kernelILj128ELj4ELj4EdEEvi20rocsparse_direction_NS_24const_host_device_scalarIT2_EEPKiS6_PKS3_S8_S4_PS3_21rocsparse_index_base_b
	.p2align	8
	.type	_ZN9rocsparseL19gebsrmvn_3xn_kernelILj128ELj4ELj4EdEEvi20rocsparse_direction_NS_24const_host_device_scalarIT2_EEPKiS6_PKS3_S8_S4_PS3_21rocsparse_index_base_b,@function
_ZN9rocsparseL19gebsrmvn_3xn_kernelILj128ELj4ELj4EdEEvi20rocsparse_direction_NS_24const_host_device_scalarIT2_EEPKiS6_PKS3_S8_S4_PS3_21rocsparse_index_base_b: ; @_ZN9rocsparseL19gebsrmvn_3xn_kernelILj128ELj4ELj4EdEEvi20rocsparse_direction_NS_24const_host_device_scalarIT2_EEPKiS6_PKS3_S8_S4_PS3_21rocsparse_index_base_b
; %bb.0:
	s_clause 0x2
	s_load_dwordx2 s[2:3], s[4:5], 0x40
	s_load_dwordx2 s[8:9], s[4:5], 0x8
	;; [unrolled: 1-line block ×3, first 2 shown]
	s_waitcnt lgkmcnt(0)
	s_bitcmp1_b32 s3, 0
	v_mov_b32_e32 v1, s8
	v_mov_b32_e32 v2, s9
	s_cselect_b32 s3, -1, 0
	s_and_b32 vcc_lo, exec_lo, s3
	s_xor_b32 s3, s3, -1
	s_cbranch_vccnz .LBB47_2
; %bb.1:
	v_mov_b32_e32 v1, s8
	v_mov_b32_e32 v2, s9
	flat_load_dwordx2 v[1:2], v[1:2]
.LBB47_2:
	v_mov_b32_e32 v4, s1
	v_mov_b32_e32 v3, s0
	s_andn2_b32 vcc_lo, exec_lo, s3
	s_cbranch_vccnz .LBB47_4
; %bb.3:
	v_mov_b32_e32 v4, s1
	v_mov_b32_e32 v3, s0
	flat_load_dwordx2 v[3:4], v[3:4]
.LBB47_4:
	s_waitcnt vmcnt(0) lgkmcnt(0)
	v_cmp_neq_f64_e32 vcc_lo, 0, v[1:2]
	v_cmp_neq_f64_e64 s0, 1.0, v[3:4]
	s_or_b32 s0, vcc_lo, s0
	s_and_saveexec_b32 s1, s0
	s_cbranch_execz .LBB47_23
; %bb.5:
	s_load_dwordx2 s[0:1], s[4:5], 0x0
	v_lshrrev_b32_e32 v5, 2, v0
	v_lshl_or_b32 v5, s6, 5, v5
	s_waitcnt lgkmcnt(0)
	v_cmp_gt_i32_e32 vcc_lo, s0, v5
	s_and_b32 exec_lo, exec_lo, vcc_lo
	s_cbranch_execz .LBB47_23
; %bb.6:
	s_load_dwordx8 s[8:15], s[4:5], 0x10
	v_ashrrev_i32_e32 v6, 31, v5
	v_and_b32_e32 v0, 3, v0
	s_cmp_lg_u32 s1, 0
	v_lshlrev_b64 v[6:7], 2, v[5:6]
	s_waitcnt lgkmcnt(0)
	v_add_co_u32 v6, vcc_lo, s8, v6
	v_add_co_ci_u32_e64 v7, null, s9, v7, vcc_lo
	global_load_dwordx2 v[6:7], v[6:7], off
	s_waitcnt vmcnt(0)
	v_subrev_nc_u32_e32 v6, s2, v6
	v_subrev_nc_u32_e32 v20, s2, v7
	v_add_nc_u32_e32 v8, v6, v0
	v_cmp_lt_i32_e64 s0, v8, v20
	s_cbranch_scc0 .LBB47_12
; %bb.7:
	v_mov_b32_e32 v6, 0
	v_mov_b32_e32 v10, 0
	;; [unrolled: 1-line block ×6, first 2 shown]
	s_and_saveexec_b32 s3, s0
	s_cbranch_execz .LBB47_11
; %bb.8:
	v_mad_u64_u32 v[14:15], null, v8, 12, 11
	v_mov_b32_e32 v6, 0
	v_mov_b32_e32 v10, 0
	;; [unrolled: 1-line block ×8, first 2 shown]
	s_mov_b32 s6, 0
.LBB47_9:                               ; =>This Inner Loop Header: Depth=1
	v_ashrrev_i32_e32 v19, 31, v18
	v_mov_b32_e32 v22, v17
	v_lshlrev_b64 v[15:16], 2, v[18:19]
	v_add_nc_u32_e32 v18, 4, v18
	v_add_co_u32 v15, vcc_lo, s10, v15
	v_add_co_ci_u32_e64 v16, null, s11, v16, vcc_lo
	global_load_dword v9, v[15:16], off
	v_add_nc_u32_e32 v16, -11, v14
	v_mov_b32_e32 v15, v17
	v_lshlrev_b64 v[23:24], 3, v[16:17]
	v_add_nc_u32_e32 v16, -7, v14
	v_lshlrev_b64 v[37:38], 3, v[14:15]
	v_lshlrev_b64 v[39:40], 3, v[16:17]
	v_add_co_u32 v25, vcc_lo, s12, v23
	v_add_co_ci_u32_e64 v26, null, s13, v24, vcc_lo
	v_add_nc_u32_e32 v16, -6, v14
	v_add_co_u32 v39, s1, s12, v39
	v_add_co_ci_u32_e64 v40, null, s13, v40, s1
	v_lshlrev_b64 v[41:42], 3, v[16:17]
	v_add_nc_u32_e32 v16, -5, v14
	v_add_co_u32 v41, s1, s12, v41
	v_add_co_ci_u32_e64 v42, null, s13, v42, s1
	v_lshlrev_b64 v[43:44], 3, v[16:17]
	v_add_nc_u32_e32 v16, -4, v14
	v_lshlrev_b64 v[45:46], 3, v[16:17]
	v_add_nc_u32_e32 v16, -3, v14
	v_add_co_u32 v43, s1, s12, v43
	v_add_co_ci_u32_e64 v44, null, s13, v44, s1
	v_lshlrev_b64 v[15:16], 3, v[16:17]
	v_add_co_u32 v45, s1, s12, v45
	v_add_co_ci_u32_e64 v46, null, s13, v46, s1
	v_add_co_u32 v15, s1, s12, v15
	v_add_co_ci_u32_e64 v16, null, s13, v16, s1
	s_waitcnt vmcnt(0)
	v_subrev_nc_u32_e32 v9, s2, v9
	v_lshlrev_b32_e32 v21, 2, v9
	v_lshlrev_b64 v[21:22], 3, v[21:22]
	v_add_co_u32 v33, vcc_lo, s14, v21
	v_add_co_ci_u32_e64 v34, null, s15, v22, vcc_lo
	v_add_co_u32 v37, vcc_lo, s12, v37
	s_clause 0x1
	global_load_dwordx4 v[21:24], v[25:26], off offset:16
	global_load_dwordx4 v[25:28], v[25:26], off
	s_clause 0x1
	global_load_dwordx4 v[29:32], v[33:34], off
	global_load_dwordx4 v[33:36], v[33:34], off offset:16
	s_clause 0x4
	global_load_dwordx2 v[39:40], v[39:40], off
	global_load_dwordx2 v[41:42], v[41:42], off
	;; [unrolled: 1-line block ×5, first 2 shown]
	v_add_nc_u32_e32 v16, -2, v14
	v_add_co_ci_u32_e64 v38, null, s13, v38, vcc_lo
	v_lshlrev_b64 v[49:50], 3, v[16:17]
	v_add_nc_u32_e32 v16, -1, v14
	v_add_nc_u32_e32 v14, 48, v14
	v_lshlrev_b64 v[15:16], 3, v[16:17]
	v_add_co_u32 v49, vcc_lo, s12, v49
	v_add_co_ci_u32_e64 v50, null, s13, v50, vcc_lo
	v_add_co_u32 v15, vcc_lo, s12, v15
	v_add_co_ci_u32_e64 v16, null, s13, v16, vcc_lo
	s_clause 0x2
	global_load_dwordx2 v[49:50], v[49:50], off
	global_load_dwordx2 v[15:16], v[15:16], off
	;; [unrolled: 1-line block ×3, first 2 shown]
	v_cmp_ge_i32_e32 vcc_lo, v18, v20
	s_or_b32 s6, vcc_lo, s6
	s_waitcnt vmcnt(9)
	v_fma_f64 v[6:7], v[25:26], v[29:30], v[6:7]
	v_fma_f64 v[12:13], v[27:28], v[29:30], v[12:13]
	v_fma_f64 v[9:10], v[21:22], v[29:30], v[10:11]
	v_fma_f64 v[6:7], v[23:24], v[31:32], v[6:7]
	s_waitcnt vmcnt(7)
	v_fma_f64 v[11:12], v[39:40], v[31:32], v[12:13]
	s_waitcnt vmcnt(6)
	v_fma_f64 v[9:10], v[41:42], v[31:32], v[9:10]
	;; [unrolled: 2-line block ×8, first 2 shown]
	s_andn2_b32 exec_lo, exec_lo, s6
	s_cbranch_execnz .LBB47_9
; %bb.10:
	s_or_b32 exec_lo, exec_lo, s6
.LBB47_11:
	s_or_b32 exec_lo, exec_lo, s3
	s_cbranch_execz .LBB47_13
	s_branch .LBB47_18
.LBB47_12:
                                        ; implicit-def: $vgpr6_vgpr7
                                        ; implicit-def: $vgpr10_vgpr11
                                        ; implicit-def: $vgpr12_vgpr13
.LBB47_13:
	v_mov_b32_e32 v6, 0
	v_mov_b32_e32 v10, 0
	;; [unrolled: 1-line block ×6, first 2 shown]
	s_and_saveexec_b32 s1, s0
	s_cbranch_execz .LBB47_17
; %bb.14:
	v_mad_u64_u32 v[14:15], null, v8, 12, 11
	v_mov_b32_e32 v6, 0
	v_mov_b32_e32 v10, 0
	;; [unrolled: 1-line block ×7, first 2 shown]
	s_mov_b32 s0, 0
.LBB47_15:                              ; =>This Inner Loop Header: Depth=1
	v_ashrrev_i32_e32 v9, 31, v8
	v_add_nc_u32_e32 v15, -11, v14
	v_add_nc_u32_e32 v21, -3, v14
	v_mov_b32_e32 v22, v16
	v_mov_b32_e32 v19, v16
	v_lshlrev_b64 v[17:18], 2, v[8:9]
	v_lshlrev_b64 v[23:24], 3, v[15:16]
	v_add_nc_u32_e32 v15, -6, v14
	v_lshlrev_b64 v[21:22], 3, v[21:22]
	v_add_nc_u32_e32 v8, 4, v8
	v_add_co_u32 v17, vcc_lo, s10, v17
	v_add_co_ci_u32_e64 v18, null, s11, v18, vcc_lo
	v_add_co_u32 v25, vcc_lo, s12, v23
	v_add_co_ci_u32_e64 v26, null, s13, v24, vcc_lo
	global_load_dword v9, v[17:18], off
	v_add_nc_u32_e32 v17, -7, v14
	v_mov_b32_e32 v18, v16
	v_lshlrev_b64 v[37:38], 3, v[15:16]
	v_add_nc_u32_e32 v15, -2, v14
	v_lshlrev_b64 v[17:18], 3, v[17:18]
	v_add_co_u32 v29, vcc_lo, s12, v17
	v_add_co_ci_u32_e64 v30, null, s13, v18, vcc_lo
	v_add_co_u32 v31, vcc_lo, s12, v21
	v_add_co_ci_u32_e64 v32, null, s13, v22, vcc_lo
	s_clause 0x1
	global_load_dwordx4 v[21:24], v[25:26], off offset:16
	global_load_dwordx4 v[25:28], v[25:26], off
	s_waitcnt vmcnt(2)
	v_subrev_nc_u32_e32 v9, s2, v9
	v_lshlrev_b32_e32 v18, 2, v9
	v_lshlrev_b64 v[17:18], 3, v[18:19]
	v_add_co_u32 v17, vcc_lo, s14, v17
	v_add_co_ci_u32_e64 v18, null, s15, v18, vcc_lo
	s_clause 0x1
	global_load_dwordx2 v[39:40], v[29:30], off
	global_load_dwordx2 v[41:42], v[31:32], off
	s_clause 0x1
	global_load_dwordx4 v[29:32], v[17:18], off
	global_load_dwordx4 v[33:36], v[17:18], off offset:16
	v_lshlrev_b64 v[17:18], 3, v[15:16]
	v_add_co_u32 v37, vcc_lo, s12, v37
	v_add_co_ci_u32_e64 v38, null, s13, v38, vcc_lo
	v_add_nc_u32_e32 v15, -5, v14
	v_add_co_u32 v17, vcc_lo, s12, v17
	v_add_co_ci_u32_e64 v18, null, s13, v18, vcc_lo
	s_clause 0x1
	global_load_dwordx2 v[37:38], v[37:38], off
	global_load_dwordx2 v[17:18], v[17:18], off
	v_lshlrev_b64 v[43:44], 3, v[15:16]
	v_add_nc_u32_e32 v15, -1, v14
	v_lshlrev_b64 v[45:46], 3, v[15:16]
	v_add_co_u32 v43, vcc_lo, s12, v43
	v_add_co_ci_u32_e64 v44, null, s13, v44, vcc_lo
	v_mov_b32_e32 v15, v16
	v_add_co_u32 v45, vcc_lo, s12, v45
	v_add_co_ci_u32_e64 v46, null, s13, v46, vcc_lo
	s_clause 0x1
	global_load_dwordx2 v[43:44], v[43:44], off
	global_load_dwordx2 v[45:46], v[45:46], off
	v_lshlrev_b64 v[47:48], 3, v[14:15]
	v_add_nc_u32_e32 v15, -4, v14
	v_add_nc_u32_e32 v14, 48, v14
	v_lshlrev_b64 v[49:50], 3, v[15:16]
	v_add_co_u32 v47, vcc_lo, s12, v47
	v_add_co_ci_u32_e64 v48, null, s13, v48, vcc_lo
	v_add_co_u32 v49, vcc_lo, s12, v49
	v_add_co_ci_u32_e64 v50, null, s13, v50, vcc_lo
	s_clause 0x1
	global_load_dwordx2 v[49:50], v[49:50], off
	global_load_dwordx2 v[47:48], v[47:48], off
	v_cmp_ge_i32_e32 vcc_lo, v8, v20
	s_or_b32 s0, vcc_lo, s0
	s_waitcnt vmcnt(7)
	v_fma_f64 v[6:7], v[25:26], v[29:30], v[6:7]
	v_fma_f64 v[12:13], v[39:40], v[29:30], v[12:13]
	;; [unrolled: 1-line block ×4, first 2 shown]
	s_waitcnt vmcnt(5)
	v_fma_f64 v[11:12], v[37:38], v[31:32], v[12:13]
	s_waitcnt vmcnt(4)
	v_fma_f64 v[9:10], v[17:18], v[31:32], v[9:10]
	v_fma_f64 v[6:7], v[21:22], v[33:34], v[6:7]
	s_waitcnt vmcnt(3)
	v_fma_f64 v[11:12], v[43:44], v[33:34], v[11:12]
	s_waitcnt vmcnt(2)
	v_fma_f64 v[9:10], v[45:46], v[33:34], v[9:10]
	v_fma_f64 v[6:7], v[23:24], v[35:36], v[6:7]
	s_waitcnt vmcnt(1)
	v_fma_f64 v[12:13], v[49:50], v[35:36], v[11:12]
	s_waitcnt vmcnt(0)
	v_fma_f64 v[10:11], v[47:48], v[35:36], v[9:10]
	s_andn2_b32 exec_lo, exec_lo, s0
	s_cbranch_execnz .LBB47_15
; %bb.16:
	s_or_b32 exec_lo, exec_lo, s0
.LBB47_17:
	s_or_b32 exec_lo, exec_lo, s1
.LBB47_18:
	v_mbcnt_lo_u32_b32 v18, -1, 0
	v_xor_b32_e32 v8, 2, v18
	v_cmp_gt_i32_e32 vcc_lo, 32, v8
	v_cndmask_b32_e32 v8, v18, v8, vcc_lo
	v_lshlrev_b32_e32 v17, 2, v8
	ds_bpermute_b32 v8, v17, v6
	ds_bpermute_b32 v9, v17, v7
	ds_bpermute_b32 v14, v17, v12
	ds_bpermute_b32 v15, v17, v13
	ds_bpermute_b32 v16, v17, v10
	ds_bpermute_b32 v17, v17, v11
	s_waitcnt lgkmcnt(4)
	v_add_f64 v[8:9], v[6:7], v[8:9]
	s_waitcnt lgkmcnt(2)
	v_add_f64 v[6:7], v[12:13], v[14:15]
	;; [unrolled: 2-line block ×3, first 2 shown]
	v_xor_b32_e32 v10, 1, v18
	v_cmp_gt_i32_e32 vcc_lo, 32, v10
	v_cndmask_b32_e32 v10, v18, v10, vcc_lo
	v_cmp_eq_u32_e32 vcc_lo, 3, v0
	v_lshlrev_b32_e32 v15, 2, v10
	ds_bpermute_b32 v10, v15, v8
	ds_bpermute_b32 v11, v15, v9
	;; [unrolled: 1-line block ×6, first 2 shown]
	s_and_b32 exec_lo, exec_lo, vcc_lo
	s_cbranch_execz .LBB47_23
; %bb.19:
	s_waitcnt lgkmcnt(4)
	v_add_f64 v[10:11], v[8:9], v[10:11]
	s_waitcnt lgkmcnt(2)
	v_add_f64 v[8:9], v[6:7], v[16:17]
	;; [unrolled: 2-line block ×3, first 2 shown]
	s_load_dwordx2 s[0:1], s[4:5], 0x38
	s_mov_b32 s2, exec_lo
	v_cmpx_eq_f64_e32 0, v[3:4]
	s_xor_b32 s2, exec_lo, s2
	s_cbranch_execz .LBB47_21
; %bb.20:
	v_lshl_add_u32 v0, v5, 1, v5
	v_mul_f64 v[10:11], v[1:2], v[10:11]
	v_mul_f64 v[12:13], v[1:2], v[8:9]
	;; [unrolled: 1-line block ×3, first 2 shown]
                                        ; implicit-def: $vgpr5
                                        ; implicit-def: $vgpr8_vgpr9
                                        ; implicit-def: $vgpr6_vgpr7
	v_ashrrev_i32_e32 v1, 31, v0
	v_lshlrev_b64 v[0:1], 3, v[0:1]
	s_waitcnt lgkmcnt(0)
	v_add_co_u32 v0, vcc_lo, s0, v0
	v_add_co_ci_u32_e64 v1, null, s1, v1, vcc_lo
	global_store_dwordx4 v[0:1], v[10:13], off
	global_store_dwordx2 v[0:1], v[2:3], off offset:16
                                        ; implicit-def: $vgpr1_vgpr2
                                        ; implicit-def: $vgpr10_vgpr11
                                        ; implicit-def: $vgpr3_vgpr4
.LBB47_21:
	s_andn2_saveexec_b32 s2, s2
	s_cbranch_execz .LBB47_23
; %bb.22:
	v_lshl_add_u32 v12, v5, 1, v5
	v_mul_f64 v[10:11], v[1:2], v[10:11]
	v_mul_f64 v[8:9], v[1:2], v[8:9]
	;; [unrolled: 1-line block ×3, first 2 shown]
	v_ashrrev_i32_e32 v13, 31, v12
	v_lshlrev_b64 v[12:13], 3, v[12:13]
	s_waitcnt lgkmcnt(0)
	v_add_co_u32 v16, vcc_lo, s0, v12
	v_add_co_ci_u32_e64 v17, null, s1, v13, vcc_lo
	s_clause 0x1
	global_load_dwordx4 v[12:15], v[16:17], off
	global_load_dwordx2 v[18:19], v[16:17], off offset:16
	s_waitcnt vmcnt(1)
	v_fma_f64 v[5:6], v[3:4], v[12:13], v[10:11]
	v_fma_f64 v[7:8], v[3:4], v[14:15], v[8:9]
	s_waitcnt vmcnt(0)
	v_fma_f64 v[0:1], v[3:4], v[18:19], v[0:1]
	global_store_dwordx4 v[16:17], v[5:8], off
	global_store_dwordx2 v[16:17], v[0:1], off offset:16
.LBB47_23:
	s_endpgm
	.section	.rodata,"a",@progbits
	.p2align	6, 0x0
	.amdhsa_kernel _ZN9rocsparseL19gebsrmvn_3xn_kernelILj128ELj4ELj4EdEEvi20rocsparse_direction_NS_24const_host_device_scalarIT2_EEPKiS6_PKS3_S8_S4_PS3_21rocsparse_index_base_b
		.amdhsa_group_segment_fixed_size 0
		.amdhsa_private_segment_fixed_size 0
		.amdhsa_kernarg_size 72
		.amdhsa_user_sgpr_count 6
		.amdhsa_user_sgpr_private_segment_buffer 1
		.amdhsa_user_sgpr_dispatch_ptr 0
		.amdhsa_user_sgpr_queue_ptr 0
		.amdhsa_user_sgpr_kernarg_segment_ptr 1
		.amdhsa_user_sgpr_dispatch_id 0
		.amdhsa_user_sgpr_flat_scratch_init 0
		.amdhsa_user_sgpr_private_segment_size 0
		.amdhsa_wavefront_size32 1
		.amdhsa_uses_dynamic_stack 0
		.amdhsa_system_sgpr_private_segment_wavefront_offset 0
		.amdhsa_system_sgpr_workgroup_id_x 1
		.amdhsa_system_sgpr_workgroup_id_y 0
		.amdhsa_system_sgpr_workgroup_id_z 0
		.amdhsa_system_sgpr_workgroup_info 0
		.amdhsa_system_vgpr_workitem_id 0
		.amdhsa_next_free_vgpr 51
		.amdhsa_next_free_sgpr 16
		.amdhsa_reserve_vcc 1
		.amdhsa_reserve_flat_scratch 0
		.amdhsa_float_round_mode_32 0
		.amdhsa_float_round_mode_16_64 0
		.amdhsa_float_denorm_mode_32 3
		.amdhsa_float_denorm_mode_16_64 3
		.amdhsa_dx10_clamp 1
		.amdhsa_ieee_mode 1
		.amdhsa_fp16_overflow 0
		.amdhsa_workgroup_processor_mode 1
		.amdhsa_memory_ordered 1
		.amdhsa_forward_progress 1
		.amdhsa_shared_vgpr_count 0
		.amdhsa_exception_fp_ieee_invalid_op 0
		.amdhsa_exception_fp_denorm_src 0
		.amdhsa_exception_fp_ieee_div_zero 0
		.amdhsa_exception_fp_ieee_overflow 0
		.amdhsa_exception_fp_ieee_underflow 0
		.amdhsa_exception_fp_ieee_inexact 0
		.amdhsa_exception_int_div_zero 0
	.end_amdhsa_kernel
	.section	.text._ZN9rocsparseL19gebsrmvn_3xn_kernelILj128ELj4ELj4EdEEvi20rocsparse_direction_NS_24const_host_device_scalarIT2_EEPKiS6_PKS3_S8_S4_PS3_21rocsparse_index_base_b,"axG",@progbits,_ZN9rocsparseL19gebsrmvn_3xn_kernelILj128ELj4ELj4EdEEvi20rocsparse_direction_NS_24const_host_device_scalarIT2_EEPKiS6_PKS3_S8_S4_PS3_21rocsparse_index_base_b,comdat
.Lfunc_end47:
	.size	_ZN9rocsparseL19gebsrmvn_3xn_kernelILj128ELj4ELj4EdEEvi20rocsparse_direction_NS_24const_host_device_scalarIT2_EEPKiS6_PKS3_S8_S4_PS3_21rocsparse_index_base_b, .Lfunc_end47-_ZN9rocsparseL19gebsrmvn_3xn_kernelILj128ELj4ELj4EdEEvi20rocsparse_direction_NS_24const_host_device_scalarIT2_EEPKiS6_PKS3_S8_S4_PS3_21rocsparse_index_base_b
                                        ; -- End function
	.set _ZN9rocsparseL19gebsrmvn_3xn_kernelILj128ELj4ELj4EdEEvi20rocsparse_direction_NS_24const_host_device_scalarIT2_EEPKiS6_PKS3_S8_S4_PS3_21rocsparse_index_base_b.num_vgpr, 51
	.set _ZN9rocsparseL19gebsrmvn_3xn_kernelILj128ELj4ELj4EdEEvi20rocsparse_direction_NS_24const_host_device_scalarIT2_EEPKiS6_PKS3_S8_S4_PS3_21rocsparse_index_base_b.num_agpr, 0
	.set _ZN9rocsparseL19gebsrmvn_3xn_kernelILj128ELj4ELj4EdEEvi20rocsparse_direction_NS_24const_host_device_scalarIT2_EEPKiS6_PKS3_S8_S4_PS3_21rocsparse_index_base_b.numbered_sgpr, 16
	.set _ZN9rocsparseL19gebsrmvn_3xn_kernelILj128ELj4ELj4EdEEvi20rocsparse_direction_NS_24const_host_device_scalarIT2_EEPKiS6_PKS3_S8_S4_PS3_21rocsparse_index_base_b.num_named_barrier, 0
	.set _ZN9rocsparseL19gebsrmvn_3xn_kernelILj128ELj4ELj4EdEEvi20rocsparse_direction_NS_24const_host_device_scalarIT2_EEPKiS6_PKS3_S8_S4_PS3_21rocsparse_index_base_b.private_seg_size, 0
	.set _ZN9rocsparseL19gebsrmvn_3xn_kernelILj128ELj4ELj4EdEEvi20rocsparse_direction_NS_24const_host_device_scalarIT2_EEPKiS6_PKS3_S8_S4_PS3_21rocsparse_index_base_b.uses_vcc, 1
	.set _ZN9rocsparseL19gebsrmvn_3xn_kernelILj128ELj4ELj4EdEEvi20rocsparse_direction_NS_24const_host_device_scalarIT2_EEPKiS6_PKS3_S8_S4_PS3_21rocsparse_index_base_b.uses_flat_scratch, 0
	.set _ZN9rocsparseL19gebsrmvn_3xn_kernelILj128ELj4ELj4EdEEvi20rocsparse_direction_NS_24const_host_device_scalarIT2_EEPKiS6_PKS3_S8_S4_PS3_21rocsparse_index_base_b.has_dyn_sized_stack, 0
	.set _ZN9rocsparseL19gebsrmvn_3xn_kernelILj128ELj4ELj4EdEEvi20rocsparse_direction_NS_24const_host_device_scalarIT2_EEPKiS6_PKS3_S8_S4_PS3_21rocsparse_index_base_b.has_recursion, 0
	.set _ZN9rocsparseL19gebsrmvn_3xn_kernelILj128ELj4ELj4EdEEvi20rocsparse_direction_NS_24const_host_device_scalarIT2_EEPKiS6_PKS3_S8_S4_PS3_21rocsparse_index_base_b.has_indirect_call, 0
	.section	.AMDGPU.csdata,"",@progbits
; Kernel info:
; codeLenInByte = 2096
; TotalNumSgprs: 18
; NumVgprs: 51
; ScratchSize: 0
; MemoryBound: 0
; FloatMode: 240
; IeeeMode: 1
; LDSByteSize: 0 bytes/workgroup (compile time only)
; SGPRBlocks: 0
; VGPRBlocks: 6
; NumSGPRsForWavesPerEU: 18
; NumVGPRsForWavesPerEU: 51
; Occupancy: 16
; WaveLimiterHint : 1
; COMPUTE_PGM_RSRC2:SCRATCH_EN: 0
; COMPUTE_PGM_RSRC2:USER_SGPR: 6
; COMPUTE_PGM_RSRC2:TRAP_HANDLER: 0
; COMPUTE_PGM_RSRC2:TGID_X_EN: 1
; COMPUTE_PGM_RSRC2:TGID_Y_EN: 0
; COMPUTE_PGM_RSRC2:TGID_Z_EN: 0
; COMPUTE_PGM_RSRC2:TIDIG_COMP_CNT: 0
	.section	.text._ZN9rocsparseL19gebsrmvn_3xn_kernelILj128ELj4ELj8EdEEvi20rocsparse_direction_NS_24const_host_device_scalarIT2_EEPKiS6_PKS3_S8_S4_PS3_21rocsparse_index_base_b,"axG",@progbits,_ZN9rocsparseL19gebsrmvn_3xn_kernelILj128ELj4ELj8EdEEvi20rocsparse_direction_NS_24const_host_device_scalarIT2_EEPKiS6_PKS3_S8_S4_PS3_21rocsparse_index_base_b,comdat
	.globl	_ZN9rocsparseL19gebsrmvn_3xn_kernelILj128ELj4ELj8EdEEvi20rocsparse_direction_NS_24const_host_device_scalarIT2_EEPKiS6_PKS3_S8_S4_PS3_21rocsparse_index_base_b ; -- Begin function _ZN9rocsparseL19gebsrmvn_3xn_kernelILj128ELj4ELj8EdEEvi20rocsparse_direction_NS_24const_host_device_scalarIT2_EEPKiS6_PKS3_S8_S4_PS3_21rocsparse_index_base_b
	.p2align	8
	.type	_ZN9rocsparseL19gebsrmvn_3xn_kernelILj128ELj4ELj8EdEEvi20rocsparse_direction_NS_24const_host_device_scalarIT2_EEPKiS6_PKS3_S8_S4_PS3_21rocsparse_index_base_b,@function
_ZN9rocsparseL19gebsrmvn_3xn_kernelILj128ELj4ELj8EdEEvi20rocsparse_direction_NS_24const_host_device_scalarIT2_EEPKiS6_PKS3_S8_S4_PS3_21rocsparse_index_base_b: ; @_ZN9rocsparseL19gebsrmvn_3xn_kernelILj128ELj4ELj8EdEEvi20rocsparse_direction_NS_24const_host_device_scalarIT2_EEPKiS6_PKS3_S8_S4_PS3_21rocsparse_index_base_b
; %bb.0:
	s_clause 0x2
	s_load_dwordx2 s[2:3], s[4:5], 0x40
	s_load_dwordx2 s[8:9], s[4:5], 0x8
	;; [unrolled: 1-line block ×3, first 2 shown]
	s_waitcnt lgkmcnt(0)
	s_bitcmp1_b32 s3, 0
	v_mov_b32_e32 v1, s8
	v_mov_b32_e32 v2, s9
	s_cselect_b32 s3, -1, 0
	s_and_b32 vcc_lo, exec_lo, s3
	s_xor_b32 s3, s3, -1
	s_cbranch_vccnz .LBB48_2
; %bb.1:
	v_mov_b32_e32 v1, s8
	v_mov_b32_e32 v2, s9
	flat_load_dwordx2 v[1:2], v[1:2]
.LBB48_2:
	v_mov_b32_e32 v4, s1
	v_mov_b32_e32 v3, s0
	s_andn2_b32 vcc_lo, exec_lo, s3
	s_cbranch_vccnz .LBB48_4
; %bb.3:
	v_mov_b32_e32 v4, s1
	v_mov_b32_e32 v3, s0
	flat_load_dwordx2 v[3:4], v[3:4]
.LBB48_4:
	s_waitcnt vmcnt(0) lgkmcnt(0)
	v_cmp_neq_f64_e32 vcc_lo, 0, v[1:2]
	v_cmp_neq_f64_e64 s0, 1.0, v[3:4]
	s_or_b32 s0, vcc_lo, s0
	s_and_saveexec_b32 s1, s0
	s_cbranch_execz .LBB48_23
; %bb.5:
	s_load_dwordx2 s[0:1], s[4:5], 0x0
	v_lshrrev_b32_e32 v5, 3, v0
	v_lshl_or_b32 v5, s6, 4, v5
	s_waitcnt lgkmcnt(0)
	v_cmp_gt_i32_e32 vcc_lo, s0, v5
	s_and_b32 exec_lo, exec_lo, vcc_lo
	s_cbranch_execz .LBB48_23
; %bb.6:
	s_load_dwordx8 s[8:15], s[4:5], 0x10
	v_ashrrev_i32_e32 v6, 31, v5
	v_and_b32_e32 v0, 7, v0
	s_cmp_lg_u32 s1, 0
	v_lshlrev_b64 v[6:7], 2, v[5:6]
	s_waitcnt lgkmcnt(0)
	v_add_co_u32 v6, vcc_lo, s8, v6
	v_add_co_ci_u32_e64 v7, null, s9, v7, vcc_lo
	global_load_dwordx2 v[6:7], v[6:7], off
	s_waitcnt vmcnt(0)
	v_subrev_nc_u32_e32 v6, s2, v6
	v_subrev_nc_u32_e32 v19, s2, v7
	v_add_nc_u32_e32 v12, v6, v0
	v_cmp_lt_i32_e64 s0, v12, v19
	s_cbranch_scc0 .LBB48_12
; %bb.7:
	v_mov_b32_e32 v6, 0
	v_mov_b32_e32 v8, 0
	;; [unrolled: 1-line block ×6, first 2 shown]
	s_and_saveexec_b32 s3, s0
	s_cbranch_execz .LBB48_11
; %bb.8:
	v_mad_u64_u32 v[13:14], null, v12, 12, 11
	v_mov_b32_e32 v6, 0
	v_mov_b32_e32 v8, 0
	;; [unrolled: 1-line block ×8, first 2 shown]
	s_mov_b32 s6, 0
.LBB48_9:                               ; =>This Inner Loop Header: Depth=1
	v_ashrrev_i32_e32 v18, 31, v17
	v_mov_b32_e32 v21, v16
	v_lshlrev_b64 v[14:15], 2, v[17:18]
	v_add_nc_u32_e32 v17, 8, v17
	v_add_co_u32 v14, vcc_lo, s10, v14
	v_add_co_ci_u32_e64 v15, null, s11, v15, vcc_lo
	global_load_dword v18, v[14:15], off
	v_mov_b32_e32 v14, v16
	v_add_nc_u32_e32 v15, -11, v13
	v_lshlrev_b64 v[36:37], 3, v[13:14]
	v_lshlrev_b64 v[22:23], 3, v[15:16]
	v_add_nc_u32_e32 v15, -7, v13
	v_lshlrev_b64 v[38:39], 3, v[15:16]
	v_add_co_u32 v24, vcc_lo, s12, v22
	v_add_co_ci_u32_e64 v25, null, s13, v23, vcc_lo
	v_add_nc_u32_e32 v15, -6, v13
	v_add_co_u32 v38, s1, s12, v38
	v_add_co_ci_u32_e64 v39, null, s13, v39, s1
	v_lshlrev_b64 v[40:41], 3, v[15:16]
	v_add_nc_u32_e32 v15, -5, v13
	v_add_co_u32 v40, s1, s12, v40
	v_add_co_ci_u32_e64 v41, null, s13, v41, s1
	v_lshlrev_b64 v[42:43], 3, v[15:16]
	v_add_nc_u32_e32 v15, -4, v13
	v_lshlrev_b64 v[44:45], 3, v[15:16]
	v_add_nc_u32_e32 v15, -3, v13
	v_add_co_u32 v42, s1, s12, v42
	v_add_co_ci_u32_e64 v43, null, s13, v43, s1
	v_add_co_u32 v44, s1, s12, v44
	v_add_co_ci_u32_e64 v45, null, s13, v45, s1
	s_waitcnt vmcnt(0)
	v_subrev_nc_u32_e32 v14, s2, v18
	v_lshlrev_b32_e32 v20, 2, v14
	v_lshlrev_b64 v[14:15], 3, v[15:16]
	v_lshlrev_b64 v[20:21], 3, v[20:21]
	v_add_co_u32 v14, s1, s12, v14
	v_add_co_ci_u32_e64 v15, null, s13, v15, s1
	v_add_co_u32 v32, vcc_lo, s14, v20
	v_add_co_ci_u32_e64 v33, null, s15, v21, vcc_lo
	v_add_co_u32 v36, vcc_lo, s12, v36
	s_clause 0x1
	global_load_dwordx4 v[20:23], v[24:25], off offset:16
	global_load_dwordx4 v[24:27], v[24:25], off
	s_clause 0x1
	global_load_dwordx4 v[28:31], v[32:33], off
	global_load_dwordx4 v[32:35], v[32:33], off offset:16
	s_clause 0x4
	global_load_dwordx2 v[38:39], v[38:39], off
	global_load_dwordx2 v[40:41], v[40:41], off
	;; [unrolled: 1-line block ×5, first 2 shown]
	v_add_nc_u32_e32 v15, -2, v13
	v_add_co_ci_u32_e64 v37, null, s13, v37, vcc_lo
	v_lshlrev_b64 v[48:49], 3, v[15:16]
	v_add_nc_u32_e32 v15, -1, v13
	v_add_nc_u32_e32 v13, 0x60, v13
	v_lshlrev_b64 v[14:15], 3, v[15:16]
	v_add_co_u32 v48, vcc_lo, s12, v48
	v_add_co_ci_u32_e64 v49, null, s13, v49, vcc_lo
	v_add_co_u32 v14, vcc_lo, s12, v14
	v_add_co_ci_u32_e64 v15, null, s13, v15, vcc_lo
	s_clause 0x2
	global_load_dwordx2 v[48:49], v[48:49], off
	global_load_dwordx2 v[14:15], v[14:15], off
	;; [unrolled: 1-line block ×3, first 2 shown]
	v_cmp_ge_i32_e32 vcc_lo, v17, v19
	s_or_b32 s6, vcc_lo, s6
	s_waitcnt vmcnt(9)
	v_fma_f64 v[6:7], v[24:25], v[28:29], v[6:7]
	v_fma_f64 v[10:11], v[26:27], v[28:29], v[10:11]
	;; [unrolled: 1-line block ×4, first 2 shown]
	s_waitcnt vmcnt(7)
	v_fma_f64 v[10:11], v[38:39], v[30:31], v[10:11]
	s_waitcnt vmcnt(6)
	v_fma_f64 v[8:9], v[40:41], v[30:31], v[8:9]
	;; [unrolled: 2-line block ×8, first 2 shown]
	s_andn2_b32 exec_lo, exec_lo, s6
	s_cbranch_execnz .LBB48_9
; %bb.10:
	s_or_b32 exec_lo, exec_lo, s6
.LBB48_11:
	s_or_b32 exec_lo, exec_lo, s3
	s_cbranch_execz .LBB48_13
	s_branch .LBB48_18
.LBB48_12:
                                        ; implicit-def: $vgpr6_vgpr7
                                        ; implicit-def: $vgpr8_vgpr9
                                        ; implicit-def: $vgpr10_vgpr11
.LBB48_13:
	v_mov_b32_e32 v6, 0
	v_mov_b32_e32 v8, 0
	;; [unrolled: 1-line block ×6, first 2 shown]
	s_and_saveexec_b32 s1, s0
	s_cbranch_execz .LBB48_17
; %bb.14:
	v_mad_u64_u32 v[14:15], null, v12, 12, 11
	v_mov_b32_e32 v6, 0
	v_mov_b32_e32 v8, 0
	;; [unrolled: 1-line block ×7, first 2 shown]
	s_mov_b32 s0, 0
.LBB48_15:                              ; =>This Inner Loop Header: Depth=1
	v_ashrrev_i32_e32 v13, 31, v12
	v_add_nc_u32_e32 v15, -11, v14
	v_add_nc_u32_e32 v20, -3, v14
	v_mov_b32_e32 v21, v16
	v_mov_b32_e32 v29, v16
	v_lshlrev_b64 v[17:18], 2, v[12:13]
	v_lshlrev_b64 v[22:23], 3, v[15:16]
	v_add_nc_u32_e32 v15, -6, v14
	v_lshlrev_b64 v[20:21], 3, v[20:21]
	v_add_nc_u32_e32 v12, 8, v12
	v_add_co_u32 v17, vcc_lo, s10, v17
	v_add_co_ci_u32_e64 v18, null, s11, v18, vcc_lo
	v_add_co_u32 v24, vcc_lo, s12, v22
	v_add_co_ci_u32_e64 v25, null, s13, v23, vcc_lo
	global_load_dword v13, v[17:18], off
	v_add_nc_u32_e32 v17, -7, v14
	v_mov_b32_e32 v18, v16
	v_lshlrev_b64 v[36:37], 3, v[15:16]
	v_add_nc_u32_e32 v15, -2, v14
	v_lshlrev_b64 v[17:18], 3, v[17:18]
	v_lshlrev_b64 v[40:41], 3, v[15:16]
	v_add_nc_u32_e32 v15, -5, v14
	v_add_co_u32 v17, vcc_lo, s12, v17
	v_add_co_ci_u32_e64 v18, null, s13, v18, vcc_lo
	v_add_co_u32 v30, vcc_lo, s12, v20
	v_add_co_ci_u32_e64 v31, null, s13, v21, vcc_lo
	s_clause 0x1
	global_load_dwordx4 v[20:23], v[24:25], off offset:16
	global_load_dwordx4 v[24:27], v[24:25], off
	v_lshlrev_b64 v[42:43], 3, v[15:16]
	v_add_nc_u32_e32 v15, -1, v14
	v_lshlrev_b64 v[44:45], 3, v[15:16]
	v_mov_b32_e32 v15, v16
	v_lshlrev_b64 v[46:47], 3, v[14:15]
	v_add_nc_u32_e32 v15, -4, v14
	v_add_nc_u32_e32 v14, 0x60, v14
	v_lshlrev_b64 v[48:49], 3, v[15:16]
	s_waitcnt vmcnt(2)
	v_subrev_nc_u32_e32 v13, s2, v13
	v_lshlrev_b32_e32 v28, 2, v13
	v_lshlrev_b64 v[28:29], 3, v[28:29]
	v_add_co_u32 v32, vcc_lo, s14, v28
	v_add_co_ci_u32_e64 v33, null, s15, v29, vcc_lo
	s_clause 0x1
	global_load_dwordx2 v[17:18], v[17:18], off
	global_load_dwordx2 v[38:39], v[30:31], off
	s_clause 0x1
	global_load_dwordx4 v[28:31], v[32:33], off
	global_load_dwordx4 v[32:35], v[32:33], off offset:16
	v_add_co_u32 v36, vcc_lo, s12, v36
	v_add_co_ci_u32_e64 v37, null, s13, v37, vcc_lo
	v_add_co_u32 v40, vcc_lo, s12, v40
	v_add_co_ci_u32_e64 v41, null, s13, v41, vcc_lo
	s_clause 0x1
	global_load_dwordx2 v[36:37], v[36:37], off
	global_load_dwordx2 v[40:41], v[40:41], off
	v_add_co_u32 v42, vcc_lo, s12, v42
	v_add_co_ci_u32_e64 v43, null, s13, v43, vcc_lo
	v_add_co_u32 v44, vcc_lo, s12, v44
	v_add_co_ci_u32_e64 v45, null, s13, v45, vcc_lo
	s_clause 0x1
	global_load_dwordx2 v[42:43], v[42:43], off
	global_load_dwordx2 v[44:45], v[44:45], off
	;; [unrolled: 7-line block ×3, first 2 shown]
	v_cmp_ge_i32_e32 vcc_lo, v12, v19
	s_or_b32 s0, vcc_lo, s0
	s_waitcnt vmcnt(7)
	v_fma_f64 v[6:7], v[24:25], v[28:29], v[6:7]
	v_fma_f64 v[10:11], v[17:18], v[28:29], v[10:11]
	;; [unrolled: 1-line block ×4, first 2 shown]
	s_waitcnt vmcnt(5)
	v_fma_f64 v[10:11], v[36:37], v[30:31], v[10:11]
	s_waitcnt vmcnt(4)
	v_fma_f64 v[8:9], v[40:41], v[30:31], v[8:9]
	v_fma_f64 v[6:7], v[20:21], v[32:33], v[6:7]
	s_waitcnt vmcnt(3)
	v_fma_f64 v[10:11], v[42:43], v[32:33], v[10:11]
	s_waitcnt vmcnt(2)
	v_fma_f64 v[8:9], v[44:45], v[32:33], v[8:9]
	v_fma_f64 v[6:7], v[22:23], v[34:35], v[6:7]
	s_waitcnt vmcnt(1)
	v_fma_f64 v[10:11], v[48:49], v[34:35], v[10:11]
	s_waitcnt vmcnt(0)
	v_fma_f64 v[8:9], v[46:47], v[34:35], v[8:9]
	s_andn2_b32 exec_lo, exec_lo, s0
	s_cbranch_execnz .LBB48_15
; %bb.16:
	s_or_b32 exec_lo, exec_lo, s0
.LBB48_17:
	s_or_b32 exec_lo, exec_lo, s1
.LBB48_18:
	v_mbcnt_lo_u32_b32 v18, -1, 0
	v_xor_b32_e32 v12, 4, v18
	v_cmp_gt_i32_e32 vcc_lo, 32, v12
	v_cndmask_b32_e32 v12, v18, v12, vcc_lo
	v_lshlrev_b32_e32 v17, 2, v12
	ds_bpermute_b32 v12, v17, v6
	ds_bpermute_b32 v13, v17, v7
	;; [unrolled: 1-line block ×6, first 2 shown]
	s_waitcnt lgkmcnt(4)
	v_add_f64 v[6:7], v[6:7], v[12:13]
	s_waitcnt lgkmcnt(2)
	v_add_f64 v[10:11], v[10:11], v[14:15]
	;; [unrolled: 2-line block ×3, first 2 shown]
	v_xor_b32_e32 v8, 2, v18
	v_cmp_gt_i32_e32 vcc_lo, 32, v8
	v_cndmask_b32_e32 v8, v18, v8, vcc_lo
	v_lshlrev_b32_e32 v17, 2, v8
	ds_bpermute_b32 v8, v17, v6
	ds_bpermute_b32 v9, v17, v7
	;; [unrolled: 1-line block ×6, first 2 shown]
	s_waitcnt lgkmcnt(4)
	v_add_f64 v[8:9], v[6:7], v[8:9]
	s_waitcnt lgkmcnt(2)
	v_add_f64 v[6:7], v[10:11], v[14:15]
	v_xor_b32_e32 v10, 1, v18
	s_waitcnt lgkmcnt(0)
	v_add_f64 v[12:13], v[12:13], v[16:17]
	v_cmp_gt_i32_e32 vcc_lo, 32, v10
	v_cndmask_b32_e32 v10, v18, v10, vcc_lo
	v_cmp_eq_u32_e32 vcc_lo, 7, v0
	v_lshlrev_b32_e32 v15, 2, v10
	ds_bpermute_b32 v10, v15, v8
	ds_bpermute_b32 v11, v15, v9
	;; [unrolled: 1-line block ×6, first 2 shown]
	s_and_b32 exec_lo, exec_lo, vcc_lo
	s_cbranch_execz .LBB48_23
; %bb.19:
	s_waitcnt lgkmcnt(4)
	v_add_f64 v[10:11], v[8:9], v[10:11]
	s_waitcnt lgkmcnt(2)
	v_add_f64 v[8:9], v[6:7], v[16:17]
	;; [unrolled: 2-line block ×3, first 2 shown]
	s_load_dwordx2 s[0:1], s[4:5], 0x38
	s_mov_b32 s2, exec_lo
	v_cmpx_eq_f64_e32 0, v[3:4]
	s_xor_b32 s2, exec_lo, s2
	s_cbranch_execz .LBB48_21
; %bb.20:
	v_lshl_add_u32 v0, v5, 1, v5
	v_mul_f64 v[10:11], v[1:2], v[10:11]
	v_mul_f64 v[12:13], v[1:2], v[8:9]
	;; [unrolled: 1-line block ×3, first 2 shown]
                                        ; implicit-def: $vgpr5
                                        ; implicit-def: $vgpr8_vgpr9
                                        ; implicit-def: $vgpr6_vgpr7
	v_ashrrev_i32_e32 v1, 31, v0
	v_lshlrev_b64 v[0:1], 3, v[0:1]
	s_waitcnt lgkmcnt(0)
	v_add_co_u32 v0, vcc_lo, s0, v0
	v_add_co_ci_u32_e64 v1, null, s1, v1, vcc_lo
	global_store_dwordx4 v[0:1], v[10:13], off
	global_store_dwordx2 v[0:1], v[2:3], off offset:16
                                        ; implicit-def: $vgpr1_vgpr2
                                        ; implicit-def: $vgpr10_vgpr11
                                        ; implicit-def: $vgpr3_vgpr4
.LBB48_21:
	s_andn2_saveexec_b32 s2, s2
	s_cbranch_execz .LBB48_23
; %bb.22:
	v_lshl_add_u32 v12, v5, 1, v5
	v_mul_f64 v[10:11], v[1:2], v[10:11]
	v_mul_f64 v[8:9], v[1:2], v[8:9]
	;; [unrolled: 1-line block ×3, first 2 shown]
	v_ashrrev_i32_e32 v13, 31, v12
	v_lshlrev_b64 v[12:13], 3, v[12:13]
	s_waitcnt lgkmcnt(0)
	v_add_co_u32 v16, vcc_lo, s0, v12
	v_add_co_ci_u32_e64 v17, null, s1, v13, vcc_lo
	s_clause 0x1
	global_load_dwordx4 v[12:15], v[16:17], off
	global_load_dwordx2 v[18:19], v[16:17], off offset:16
	s_waitcnt vmcnt(1)
	v_fma_f64 v[5:6], v[3:4], v[12:13], v[10:11]
	v_fma_f64 v[7:8], v[3:4], v[14:15], v[8:9]
	s_waitcnt vmcnt(0)
	v_fma_f64 v[0:1], v[3:4], v[18:19], v[0:1]
	global_store_dwordx4 v[16:17], v[5:8], off
	global_store_dwordx2 v[16:17], v[0:1], off offset:16
.LBB48_23:
	s_endpgm
	.section	.rodata,"a",@progbits
	.p2align	6, 0x0
	.amdhsa_kernel _ZN9rocsparseL19gebsrmvn_3xn_kernelILj128ELj4ELj8EdEEvi20rocsparse_direction_NS_24const_host_device_scalarIT2_EEPKiS6_PKS3_S8_S4_PS3_21rocsparse_index_base_b
		.amdhsa_group_segment_fixed_size 0
		.amdhsa_private_segment_fixed_size 0
		.amdhsa_kernarg_size 72
		.amdhsa_user_sgpr_count 6
		.amdhsa_user_sgpr_private_segment_buffer 1
		.amdhsa_user_sgpr_dispatch_ptr 0
		.amdhsa_user_sgpr_queue_ptr 0
		.amdhsa_user_sgpr_kernarg_segment_ptr 1
		.amdhsa_user_sgpr_dispatch_id 0
		.amdhsa_user_sgpr_flat_scratch_init 0
		.amdhsa_user_sgpr_private_segment_size 0
		.amdhsa_wavefront_size32 1
		.amdhsa_uses_dynamic_stack 0
		.amdhsa_system_sgpr_private_segment_wavefront_offset 0
		.amdhsa_system_sgpr_workgroup_id_x 1
		.amdhsa_system_sgpr_workgroup_id_y 0
		.amdhsa_system_sgpr_workgroup_id_z 0
		.amdhsa_system_sgpr_workgroup_info 0
		.amdhsa_system_vgpr_workitem_id 0
		.amdhsa_next_free_vgpr 50
		.amdhsa_next_free_sgpr 16
		.amdhsa_reserve_vcc 1
		.amdhsa_reserve_flat_scratch 0
		.amdhsa_float_round_mode_32 0
		.amdhsa_float_round_mode_16_64 0
		.amdhsa_float_denorm_mode_32 3
		.amdhsa_float_denorm_mode_16_64 3
		.amdhsa_dx10_clamp 1
		.amdhsa_ieee_mode 1
		.amdhsa_fp16_overflow 0
		.amdhsa_workgroup_processor_mode 1
		.amdhsa_memory_ordered 1
		.amdhsa_forward_progress 1
		.amdhsa_shared_vgpr_count 0
		.amdhsa_exception_fp_ieee_invalid_op 0
		.amdhsa_exception_fp_denorm_src 0
		.amdhsa_exception_fp_ieee_div_zero 0
		.amdhsa_exception_fp_ieee_overflow 0
		.amdhsa_exception_fp_ieee_underflow 0
		.amdhsa_exception_fp_ieee_inexact 0
		.amdhsa_exception_int_div_zero 0
	.end_amdhsa_kernel
	.section	.text._ZN9rocsparseL19gebsrmvn_3xn_kernelILj128ELj4ELj8EdEEvi20rocsparse_direction_NS_24const_host_device_scalarIT2_EEPKiS6_PKS3_S8_S4_PS3_21rocsparse_index_base_b,"axG",@progbits,_ZN9rocsparseL19gebsrmvn_3xn_kernelILj128ELj4ELj8EdEEvi20rocsparse_direction_NS_24const_host_device_scalarIT2_EEPKiS6_PKS3_S8_S4_PS3_21rocsparse_index_base_b,comdat
.Lfunc_end48:
	.size	_ZN9rocsparseL19gebsrmvn_3xn_kernelILj128ELj4ELj8EdEEvi20rocsparse_direction_NS_24const_host_device_scalarIT2_EEPKiS6_PKS3_S8_S4_PS3_21rocsparse_index_base_b, .Lfunc_end48-_ZN9rocsparseL19gebsrmvn_3xn_kernelILj128ELj4ELj8EdEEvi20rocsparse_direction_NS_24const_host_device_scalarIT2_EEPKiS6_PKS3_S8_S4_PS3_21rocsparse_index_base_b
                                        ; -- End function
	.set _ZN9rocsparseL19gebsrmvn_3xn_kernelILj128ELj4ELj8EdEEvi20rocsparse_direction_NS_24const_host_device_scalarIT2_EEPKiS6_PKS3_S8_S4_PS3_21rocsparse_index_base_b.num_vgpr, 50
	.set _ZN9rocsparseL19gebsrmvn_3xn_kernelILj128ELj4ELj8EdEEvi20rocsparse_direction_NS_24const_host_device_scalarIT2_EEPKiS6_PKS3_S8_S4_PS3_21rocsparse_index_base_b.num_agpr, 0
	.set _ZN9rocsparseL19gebsrmvn_3xn_kernelILj128ELj4ELj8EdEEvi20rocsparse_direction_NS_24const_host_device_scalarIT2_EEPKiS6_PKS3_S8_S4_PS3_21rocsparse_index_base_b.numbered_sgpr, 16
	.set _ZN9rocsparseL19gebsrmvn_3xn_kernelILj128ELj4ELj8EdEEvi20rocsparse_direction_NS_24const_host_device_scalarIT2_EEPKiS6_PKS3_S8_S4_PS3_21rocsparse_index_base_b.num_named_barrier, 0
	.set _ZN9rocsparseL19gebsrmvn_3xn_kernelILj128ELj4ELj8EdEEvi20rocsparse_direction_NS_24const_host_device_scalarIT2_EEPKiS6_PKS3_S8_S4_PS3_21rocsparse_index_base_b.private_seg_size, 0
	.set _ZN9rocsparseL19gebsrmvn_3xn_kernelILj128ELj4ELj8EdEEvi20rocsparse_direction_NS_24const_host_device_scalarIT2_EEPKiS6_PKS3_S8_S4_PS3_21rocsparse_index_base_b.uses_vcc, 1
	.set _ZN9rocsparseL19gebsrmvn_3xn_kernelILj128ELj4ELj8EdEEvi20rocsparse_direction_NS_24const_host_device_scalarIT2_EEPKiS6_PKS3_S8_S4_PS3_21rocsparse_index_base_b.uses_flat_scratch, 0
	.set _ZN9rocsparseL19gebsrmvn_3xn_kernelILj128ELj4ELj8EdEEvi20rocsparse_direction_NS_24const_host_device_scalarIT2_EEPKiS6_PKS3_S8_S4_PS3_21rocsparse_index_base_b.has_dyn_sized_stack, 0
	.set _ZN9rocsparseL19gebsrmvn_3xn_kernelILj128ELj4ELj8EdEEvi20rocsparse_direction_NS_24const_host_device_scalarIT2_EEPKiS6_PKS3_S8_S4_PS3_21rocsparse_index_base_b.has_recursion, 0
	.set _ZN9rocsparseL19gebsrmvn_3xn_kernelILj128ELj4ELj8EdEEvi20rocsparse_direction_NS_24const_host_device_scalarIT2_EEPKiS6_PKS3_S8_S4_PS3_21rocsparse_index_base_b.has_indirect_call, 0
	.section	.AMDGPU.csdata,"",@progbits
; Kernel info:
; codeLenInByte = 2204
; TotalNumSgprs: 18
; NumVgprs: 50
; ScratchSize: 0
; MemoryBound: 0
; FloatMode: 240
; IeeeMode: 1
; LDSByteSize: 0 bytes/workgroup (compile time only)
; SGPRBlocks: 0
; VGPRBlocks: 6
; NumSGPRsForWavesPerEU: 18
; NumVGPRsForWavesPerEU: 50
; Occupancy: 16
; WaveLimiterHint : 1
; COMPUTE_PGM_RSRC2:SCRATCH_EN: 0
; COMPUTE_PGM_RSRC2:USER_SGPR: 6
; COMPUTE_PGM_RSRC2:TRAP_HANDLER: 0
; COMPUTE_PGM_RSRC2:TGID_X_EN: 1
; COMPUTE_PGM_RSRC2:TGID_Y_EN: 0
; COMPUTE_PGM_RSRC2:TGID_Z_EN: 0
; COMPUTE_PGM_RSRC2:TIDIG_COMP_CNT: 0
	.section	.text._ZN9rocsparseL19gebsrmvn_3xn_kernelILj128ELj4ELj16EdEEvi20rocsparse_direction_NS_24const_host_device_scalarIT2_EEPKiS6_PKS3_S8_S4_PS3_21rocsparse_index_base_b,"axG",@progbits,_ZN9rocsparseL19gebsrmvn_3xn_kernelILj128ELj4ELj16EdEEvi20rocsparse_direction_NS_24const_host_device_scalarIT2_EEPKiS6_PKS3_S8_S4_PS3_21rocsparse_index_base_b,comdat
	.globl	_ZN9rocsparseL19gebsrmvn_3xn_kernelILj128ELj4ELj16EdEEvi20rocsparse_direction_NS_24const_host_device_scalarIT2_EEPKiS6_PKS3_S8_S4_PS3_21rocsparse_index_base_b ; -- Begin function _ZN9rocsparseL19gebsrmvn_3xn_kernelILj128ELj4ELj16EdEEvi20rocsparse_direction_NS_24const_host_device_scalarIT2_EEPKiS6_PKS3_S8_S4_PS3_21rocsparse_index_base_b
	.p2align	8
	.type	_ZN9rocsparseL19gebsrmvn_3xn_kernelILj128ELj4ELj16EdEEvi20rocsparse_direction_NS_24const_host_device_scalarIT2_EEPKiS6_PKS3_S8_S4_PS3_21rocsparse_index_base_b,@function
_ZN9rocsparseL19gebsrmvn_3xn_kernelILj128ELj4ELj16EdEEvi20rocsparse_direction_NS_24const_host_device_scalarIT2_EEPKiS6_PKS3_S8_S4_PS3_21rocsparse_index_base_b: ; @_ZN9rocsparseL19gebsrmvn_3xn_kernelILj128ELj4ELj16EdEEvi20rocsparse_direction_NS_24const_host_device_scalarIT2_EEPKiS6_PKS3_S8_S4_PS3_21rocsparse_index_base_b
; %bb.0:
	s_clause 0x2
	s_load_dwordx2 s[2:3], s[4:5], 0x40
	s_load_dwordx2 s[8:9], s[4:5], 0x8
	;; [unrolled: 1-line block ×3, first 2 shown]
	s_waitcnt lgkmcnt(0)
	s_bitcmp1_b32 s3, 0
	v_mov_b32_e32 v1, s8
	v_mov_b32_e32 v2, s9
	s_cselect_b32 s3, -1, 0
	s_and_b32 vcc_lo, exec_lo, s3
	s_xor_b32 s3, s3, -1
	s_cbranch_vccnz .LBB49_2
; %bb.1:
	v_mov_b32_e32 v1, s8
	v_mov_b32_e32 v2, s9
	flat_load_dwordx2 v[1:2], v[1:2]
.LBB49_2:
	v_mov_b32_e32 v4, s1
	v_mov_b32_e32 v3, s0
	s_andn2_b32 vcc_lo, exec_lo, s3
	s_cbranch_vccnz .LBB49_4
; %bb.3:
	v_mov_b32_e32 v4, s1
	v_mov_b32_e32 v3, s0
	flat_load_dwordx2 v[3:4], v[3:4]
.LBB49_4:
	s_waitcnt vmcnt(0) lgkmcnt(0)
	v_cmp_neq_f64_e32 vcc_lo, 0, v[1:2]
	v_cmp_neq_f64_e64 s0, 1.0, v[3:4]
	s_or_b32 s0, vcc_lo, s0
	s_and_saveexec_b32 s1, s0
	s_cbranch_execz .LBB49_23
; %bb.5:
	s_load_dwordx2 s[0:1], s[4:5], 0x0
	v_lshrrev_b32_e32 v5, 4, v0
	v_lshl_or_b32 v5, s6, 3, v5
	s_waitcnt lgkmcnt(0)
	v_cmp_gt_i32_e32 vcc_lo, s0, v5
	s_and_b32 exec_lo, exec_lo, vcc_lo
	s_cbranch_execz .LBB49_23
; %bb.6:
	s_load_dwordx8 s[8:15], s[4:5], 0x10
	v_ashrrev_i32_e32 v6, 31, v5
	v_and_b32_e32 v0, 15, v0
	s_cmp_lg_u32 s1, 0
	v_lshlrev_b64 v[6:7], 2, v[5:6]
	s_waitcnt lgkmcnt(0)
	v_add_co_u32 v6, vcc_lo, s8, v6
	v_add_co_ci_u32_e64 v7, null, s9, v7, vcc_lo
	global_load_dwordx2 v[6:7], v[6:7], off
	s_waitcnt vmcnt(0)
	v_subrev_nc_u32_e32 v6, s2, v6
	v_subrev_nc_u32_e32 v19, s2, v7
	v_add_nc_u32_e32 v12, v6, v0
	v_cmp_lt_i32_e64 s0, v12, v19
	s_cbranch_scc0 .LBB49_12
; %bb.7:
	v_mov_b32_e32 v6, 0
	v_mov_b32_e32 v8, 0
	;; [unrolled: 1-line block ×6, first 2 shown]
	s_and_saveexec_b32 s3, s0
	s_cbranch_execz .LBB49_11
; %bb.8:
	v_mad_u64_u32 v[13:14], null, v12, 12, 11
	v_mov_b32_e32 v6, 0
	v_mov_b32_e32 v8, 0
	;; [unrolled: 1-line block ×8, first 2 shown]
	s_mov_b32 s6, 0
.LBB49_9:                               ; =>This Inner Loop Header: Depth=1
	v_ashrrev_i32_e32 v18, 31, v17
	v_mov_b32_e32 v21, v16
	v_lshlrev_b64 v[14:15], 2, v[17:18]
	v_add_nc_u32_e32 v17, 16, v17
	v_add_co_u32 v14, vcc_lo, s10, v14
	v_add_co_ci_u32_e64 v15, null, s11, v15, vcc_lo
	global_load_dword v18, v[14:15], off
	v_mov_b32_e32 v14, v16
	v_add_nc_u32_e32 v15, -11, v13
	v_lshlrev_b64 v[36:37], 3, v[13:14]
	v_lshlrev_b64 v[22:23], 3, v[15:16]
	v_add_nc_u32_e32 v15, -7, v13
	v_lshlrev_b64 v[38:39], 3, v[15:16]
	v_add_co_u32 v24, vcc_lo, s12, v22
	v_add_co_ci_u32_e64 v25, null, s13, v23, vcc_lo
	v_add_nc_u32_e32 v15, -6, v13
	v_add_co_u32 v38, s1, s12, v38
	v_add_co_ci_u32_e64 v39, null, s13, v39, s1
	v_lshlrev_b64 v[40:41], 3, v[15:16]
	v_add_nc_u32_e32 v15, -5, v13
	v_add_co_u32 v40, s1, s12, v40
	v_add_co_ci_u32_e64 v41, null, s13, v41, s1
	v_lshlrev_b64 v[42:43], 3, v[15:16]
	v_add_nc_u32_e32 v15, -4, v13
	v_lshlrev_b64 v[44:45], 3, v[15:16]
	v_add_nc_u32_e32 v15, -3, v13
	v_add_co_u32 v42, s1, s12, v42
	v_add_co_ci_u32_e64 v43, null, s13, v43, s1
	v_add_co_u32 v44, s1, s12, v44
	v_add_co_ci_u32_e64 v45, null, s13, v45, s1
	s_waitcnt vmcnt(0)
	v_subrev_nc_u32_e32 v14, s2, v18
	v_lshlrev_b32_e32 v20, 2, v14
	v_lshlrev_b64 v[14:15], 3, v[15:16]
	v_lshlrev_b64 v[20:21], 3, v[20:21]
	v_add_co_u32 v14, s1, s12, v14
	v_add_co_ci_u32_e64 v15, null, s13, v15, s1
	v_add_co_u32 v32, vcc_lo, s14, v20
	v_add_co_ci_u32_e64 v33, null, s15, v21, vcc_lo
	v_add_co_u32 v36, vcc_lo, s12, v36
	s_clause 0x1
	global_load_dwordx4 v[20:23], v[24:25], off offset:16
	global_load_dwordx4 v[24:27], v[24:25], off
	s_clause 0x1
	global_load_dwordx4 v[28:31], v[32:33], off
	global_load_dwordx4 v[32:35], v[32:33], off offset:16
	s_clause 0x4
	global_load_dwordx2 v[38:39], v[38:39], off
	global_load_dwordx2 v[40:41], v[40:41], off
	;; [unrolled: 1-line block ×5, first 2 shown]
	v_add_nc_u32_e32 v15, -2, v13
	v_add_co_ci_u32_e64 v37, null, s13, v37, vcc_lo
	v_lshlrev_b64 v[48:49], 3, v[15:16]
	v_add_nc_u32_e32 v15, -1, v13
	v_add_nc_u32_e32 v13, 0xc0, v13
	v_lshlrev_b64 v[14:15], 3, v[15:16]
	v_add_co_u32 v48, vcc_lo, s12, v48
	v_add_co_ci_u32_e64 v49, null, s13, v49, vcc_lo
	v_add_co_u32 v14, vcc_lo, s12, v14
	v_add_co_ci_u32_e64 v15, null, s13, v15, vcc_lo
	s_clause 0x2
	global_load_dwordx2 v[48:49], v[48:49], off
	global_load_dwordx2 v[14:15], v[14:15], off
	;; [unrolled: 1-line block ×3, first 2 shown]
	v_cmp_ge_i32_e32 vcc_lo, v17, v19
	s_or_b32 s6, vcc_lo, s6
	s_waitcnt vmcnt(9)
	v_fma_f64 v[6:7], v[24:25], v[28:29], v[6:7]
	v_fma_f64 v[10:11], v[26:27], v[28:29], v[10:11]
	;; [unrolled: 1-line block ×4, first 2 shown]
	s_waitcnt vmcnt(7)
	v_fma_f64 v[10:11], v[38:39], v[30:31], v[10:11]
	s_waitcnt vmcnt(6)
	v_fma_f64 v[8:9], v[40:41], v[30:31], v[8:9]
	;; [unrolled: 2-line block ×8, first 2 shown]
	s_andn2_b32 exec_lo, exec_lo, s6
	s_cbranch_execnz .LBB49_9
; %bb.10:
	s_or_b32 exec_lo, exec_lo, s6
.LBB49_11:
	s_or_b32 exec_lo, exec_lo, s3
	s_cbranch_execz .LBB49_13
	s_branch .LBB49_18
.LBB49_12:
                                        ; implicit-def: $vgpr6_vgpr7
                                        ; implicit-def: $vgpr8_vgpr9
                                        ; implicit-def: $vgpr10_vgpr11
.LBB49_13:
	v_mov_b32_e32 v6, 0
	v_mov_b32_e32 v8, 0
	;; [unrolled: 1-line block ×6, first 2 shown]
	s_and_saveexec_b32 s1, s0
	s_cbranch_execz .LBB49_17
; %bb.14:
	v_mad_u64_u32 v[14:15], null, v12, 12, 11
	v_mov_b32_e32 v6, 0
	v_mov_b32_e32 v8, 0
	;; [unrolled: 1-line block ×7, first 2 shown]
	s_mov_b32 s0, 0
.LBB49_15:                              ; =>This Inner Loop Header: Depth=1
	v_ashrrev_i32_e32 v13, 31, v12
	v_add_nc_u32_e32 v15, -11, v14
	v_add_nc_u32_e32 v20, -3, v14
	v_mov_b32_e32 v21, v16
	v_mov_b32_e32 v29, v16
	v_lshlrev_b64 v[17:18], 2, v[12:13]
	v_lshlrev_b64 v[22:23], 3, v[15:16]
	v_add_nc_u32_e32 v15, -6, v14
	v_lshlrev_b64 v[20:21], 3, v[20:21]
	v_add_nc_u32_e32 v12, 16, v12
	v_add_co_u32 v17, vcc_lo, s10, v17
	v_add_co_ci_u32_e64 v18, null, s11, v18, vcc_lo
	v_add_co_u32 v24, vcc_lo, s12, v22
	v_add_co_ci_u32_e64 v25, null, s13, v23, vcc_lo
	global_load_dword v13, v[17:18], off
	v_add_nc_u32_e32 v17, -7, v14
	v_mov_b32_e32 v18, v16
	v_lshlrev_b64 v[36:37], 3, v[15:16]
	v_add_nc_u32_e32 v15, -2, v14
	v_lshlrev_b64 v[17:18], 3, v[17:18]
	v_lshlrev_b64 v[40:41], 3, v[15:16]
	v_add_nc_u32_e32 v15, -5, v14
	v_add_co_u32 v17, vcc_lo, s12, v17
	v_add_co_ci_u32_e64 v18, null, s13, v18, vcc_lo
	v_add_co_u32 v30, vcc_lo, s12, v20
	v_add_co_ci_u32_e64 v31, null, s13, v21, vcc_lo
	s_clause 0x1
	global_load_dwordx4 v[20:23], v[24:25], off offset:16
	global_load_dwordx4 v[24:27], v[24:25], off
	v_lshlrev_b64 v[42:43], 3, v[15:16]
	v_add_nc_u32_e32 v15, -1, v14
	v_lshlrev_b64 v[44:45], 3, v[15:16]
	v_mov_b32_e32 v15, v16
	v_lshlrev_b64 v[46:47], 3, v[14:15]
	v_add_nc_u32_e32 v15, -4, v14
	v_add_nc_u32_e32 v14, 0xc0, v14
	v_lshlrev_b64 v[48:49], 3, v[15:16]
	s_waitcnt vmcnt(2)
	v_subrev_nc_u32_e32 v13, s2, v13
	v_lshlrev_b32_e32 v28, 2, v13
	v_lshlrev_b64 v[28:29], 3, v[28:29]
	v_add_co_u32 v32, vcc_lo, s14, v28
	v_add_co_ci_u32_e64 v33, null, s15, v29, vcc_lo
	s_clause 0x1
	global_load_dwordx2 v[17:18], v[17:18], off
	global_load_dwordx2 v[38:39], v[30:31], off
	s_clause 0x1
	global_load_dwordx4 v[28:31], v[32:33], off
	global_load_dwordx4 v[32:35], v[32:33], off offset:16
	v_add_co_u32 v36, vcc_lo, s12, v36
	v_add_co_ci_u32_e64 v37, null, s13, v37, vcc_lo
	v_add_co_u32 v40, vcc_lo, s12, v40
	v_add_co_ci_u32_e64 v41, null, s13, v41, vcc_lo
	s_clause 0x1
	global_load_dwordx2 v[36:37], v[36:37], off
	global_load_dwordx2 v[40:41], v[40:41], off
	v_add_co_u32 v42, vcc_lo, s12, v42
	v_add_co_ci_u32_e64 v43, null, s13, v43, vcc_lo
	v_add_co_u32 v44, vcc_lo, s12, v44
	v_add_co_ci_u32_e64 v45, null, s13, v45, vcc_lo
	s_clause 0x1
	global_load_dwordx2 v[42:43], v[42:43], off
	global_load_dwordx2 v[44:45], v[44:45], off
	;; [unrolled: 7-line block ×3, first 2 shown]
	v_cmp_ge_i32_e32 vcc_lo, v12, v19
	s_or_b32 s0, vcc_lo, s0
	s_waitcnt vmcnt(7)
	v_fma_f64 v[6:7], v[24:25], v[28:29], v[6:7]
	v_fma_f64 v[10:11], v[17:18], v[28:29], v[10:11]
	;; [unrolled: 1-line block ×4, first 2 shown]
	s_waitcnt vmcnt(5)
	v_fma_f64 v[10:11], v[36:37], v[30:31], v[10:11]
	s_waitcnt vmcnt(4)
	v_fma_f64 v[8:9], v[40:41], v[30:31], v[8:9]
	v_fma_f64 v[6:7], v[20:21], v[32:33], v[6:7]
	s_waitcnt vmcnt(3)
	v_fma_f64 v[10:11], v[42:43], v[32:33], v[10:11]
	s_waitcnt vmcnt(2)
	v_fma_f64 v[8:9], v[44:45], v[32:33], v[8:9]
	v_fma_f64 v[6:7], v[22:23], v[34:35], v[6:7]
	s_waitcnt vmcnt(1)
	v_fma_f64 v[10:11], v[48:49], v[34:35], v[10:11]
	s_waitcnt vmcnt(0)
	v_fma_f64 v[8:9], v[46:47], v[34:35], v[8:9]
	s_andn2_b32 exec_lo, exec_lo, s0
	s_cbranch_execnz .LBB49_15
; %bb.16:
	s_or_b32 exec_lo, exec_lo, s0
.LBB49_17:
	s_or_b32 exec_lo, exec_lo, s1
.LBB49_18:
	v_mbcnt_lo_u32_b32 v18, -1, 0
	v_xor_b32_e32 v12, 8, v18
	v_cmp_gt_i32_e32 vcc_lo, 32, v12
	v_cndmask_b32_e32 v12, v18, v12, vcc_lo
	v_lshlrev_b32_e32 v17, 2, v12
	ds_bpermute_b32 v12, v17, v6
	ds_bpermute_b32 v13, v17, v7
	ds_bpermute_b32 v14, v17, v10
	ds_bpermute_b32 v15, v17, v11
	ds_bpermute_b32 v16, v17, v8
	ds_bpermute_b32 v17, v17, v9
	s_waitcnt lgkmcnt(4)
	v_add_f64 v[6:7], v[6:7], v[12:13]
	v_xor_b32_e32 v12, 4, v18
	s_waitcnt lgkmcnt(2)
	v_add_f64 v[10:11], v[10:11], v[14:15]
	s_waitcnt lgkmcnt(0)
	v_add_f64 v[8:9], v[8:9], v[16:17]
	v_cmp_gt_i32_e32 vcc_lo, 32, v12
	v_cndmask_b32_e32 v12, v18, v12, vcc_lo
	v_lshlrev_b32_e32 v17, 2, v12
	ds_bpermute_b32 v12, v17, v6
	ds_bpermute_b32 v13, v17, v7
	;; [unrolled: 1-line block ×6, first 2 shown]
	s_waitcnt lgkmcnt(4)
	v_add_f64 v[6:7], v[6:7], v[12:13]
	s_waitcnt lgkmcnt(2)
	v_add_f64 v[10:11], v[10:11], v[14:15]
	;; [unrolled: 2-line block ×3, first 2 shown]
	v_xor_b32_e32 v8, 2, v18
	v_cmp_gt_i32_e32 vcc_lo, 32, v8
	v_cndmask_b32_e32 v8, v18, v8, vcc_lo
	v_lshlrev_b32_e32 v17, 2, v8
	ds_bpermute_b32 v8, v17, v6
	ds_bpermute_b32 v9, v17, v7
	;; [unrolled: 1-line block ×6, first 2 shown]
	s_waitcnt lgkmcnt(4)
	v_add_f64 v[8:9], v[6:7], v[8:9]
	s_waitcnt lgkmcnt(2)
	v_add_f64 v[6:7], v[10:11], v[14:15]
	v_xor_b32_e32 v10, 1, v18
	s_waitcnt lgkmcnt(0)
	v_add_f64 v[12:13], v[12:13], v[16:17]
	v_cmp_gt_i32_e32 vcc_lo, 32, v10
	v_cndmask_b32_e32 v10, v18, v10, vcc_lo
	v_cmp_eq_u32_e32 vcc_lo, 15, v0
	v_lshlrev_b32_e32 v15, 2, v10
	ds_bpermute_b32 v10, v15, v8
	ds_bpermute_b32 v11, v15, v9
	;; [unrolled: 1-line block ×6, first 2 shown]
	s_and_b32 exec_lo, exec_lo, vcc_lo
	s_cbranch_execz .LBB49_23
; %bb.19:
	s_waitcnt lgkmcnt(4)
	v_add_f64 v[10:11], v[8:9], v[10:11]
	s_waitcnt lgkmcnt(2)
	v_add_f64 v[8:9], v[6:7], v[16:17]
	;; [unrolled: 2-line block ×3, first 2 shown]
	s_load_dwordx2 s[0:1], s[4:5], 0x38
	s_mov_b32 s2, exec_lo
	v_cmpx_eq_f64_e32 0, v[3:4]
	s_xor_b32 s2, exec_lo, s2
	s_cbranch_execz .LBB49_21
; %bb.20:
	v_lshl_add_u32 v0, v5, 1, v5
	v_mul_f64 v[10:11], v[1:2], v[10:11]
	v_mul_f64 v[12:13], v[1:2], v[8:9]
	;; [unrolled: 1-line block ×3, first 2 shown]
                                        ; implicit-def: $vgpr5
                                        ; implicit-def: $vgpr8_vgpr9
                                        ; implicit-def: $vgpr6_vgpr7
	v_ashrrev_i32_e32 v1, 31, v0
	v_lshlrev_b64 v[0:1], 3, v[0:1]
	s_waitcnt lgkmcnt(0)
	v_add_co_u32 v0, vcc_lo, s0, v0
	v_add_co_ci_u32_e64 v1, null, s1, v1, vcc_lo
	global_store_dwordx4 v[0:1], v[10:13], off
	global_store_dwordx2 v[0:1], v[2:3], off offset:16
                                        ; implicit-def: $vgpr1_vgpr2
                                        ; implicit-def: $vgpr10_vgpr11
                                        ; implicit-def: $vgpr3_vgpr4
.LBB49_21:
	s_andn2_saveexec_b32 s2, s2
	s_cbranch_execz .LBB49_23
; %bb.22:
	v_lshl_add_u32 v12, v5, 1, v5
	v_mul_f64 v[10:11], v[1:2], v[10:11]
	v_mul_f64 v[8:9], v[1:2], v[8:9]
	;; [unrolled: 1-line block ×3, first 2 shown]
	v_ashrrev_i32_e32 v13, 31, v12
	v_lshlrev_b64 v[12:13], 3, v[12:13]
	s_waitcnt lgkmcnt(0)
	v_add_co_u32 v16, vcc_lo, s0, v12
	v_add_co_ci_u32_e64 v17, null, s1, v13, vcc_lo
	s_clause 0x1
	global_load_dwordx4 v[12:15], v[16:17], off
	global_load_dwordx2 v[18:19], v[16:17], off offset:16
	s_waitcnt vmcnt(1)
	v_fma_f64 v[5:6], v[3:4], v[12:13], v[10:11]
	v_fma_f64 v[7:8], v[3:4], v[14:15], v[8:9]
	s_waitcnt vmcnt(0)
	v_fma_f64 v[0:1], v[3:4], v[18:19], v[0:1]
	global_store_dwordx4 v[16:17], v[5:8], off
	global_store_dwordx2 v[16:17], v[0:1], off offset:16
.LBB49_23:
	s_endpgm
	.section	.rodata,"a",@progbits
	.p2align	6, 0x0
	.amdhsa_kernel _ZN9rocsparseL19gebsrmvn_3xn_kernelILj128ELj4ELj16EdEEvi20rocsparse_direction_NS_24const_host_device_scalarIT2_EEPKiS6_PKS3_S8_S4_PS3_21rocsparse_index_base_b
		.amdhsa_group_segment_fixed_size 0
		.amdhsa_private_segment_fixed_size 0
		.amdhsa_kernarg_size 72
		.amdhsa_user_sgpr_count 6
		.amdhsa_user_sgpr_private_segment_buffer 1
		.amdhsa_user_sgpr_dispatch_ptr 0
		.amdhsa_user_sgpr_queue_ptr 0
		.amdhsa_user_sgpr_kernarg_segment_ptr 1
		.amdhsa_user_sgpr_dispatch_id 0
		.amdhsa_user_sgpr_flat_scratch_init 0
		.amdhsa_user_sgpr_private_segment_size 0
		.amdhsa_wavefront_size32 1
		.amdhsa_uses_dynamic_stack 0
		.amdhsa_system_sgpr_private_segment_wavefront_offset 0
		.amdhsa_system_sgpr_workgroup_id_x 1
		.amdhsa_system_sgpr_workgroup_id_y 0
		.amdhsa_system_sgpr_workgroup_id_z 0
		.amdhsa_system_sgpr_workgroup_info 0
		.amdhsa_system_vgpr_workitem_id 0
		.amdhsa_next_free_vgpr 50
		.amdhsa_next_free_sgpr 16
		.amdhsa_reserve_vcc 1
		.amdhsa_reserve_flat_scratch 0
		.amdhsa_float_round_mode_32 0
		.amdhsa_float_round_mode_16_64 0
		.amdhsa_float_denorm_mode_32 3
		.amdhsa_float_denorm_mode_16_64 3
		.amdhsa_dx10_clamp 1
		.amdhsa_ieee_mode 1
		.amdhsa_fp16_overflow 0
		.amdhsa_workgroup_processor_mode 1
		.amdhsa_memory_ordered 1
		.amdhsa_forward_progress 1
		.amdhsa_shared_vgpr_count 0
		.amdhsa_exception_fp_ieee_invalid_op 0
		.amdhsa_exception_fp_denorm_src 0
		.amdhsa_exception_fp_ieee_div_zero 0
		.amdhsa_exception_fp_ieee_overflow 0
		.amdhsa_exception_fp_ieee_underflow 0
		.amdhsa_exception_fp_ieee_inexact 0
		.amdhsa_exception_int_div_zero 0
	.end_amdhsa_kernel
	.section	.text._ZN9rocsparseL19gebsrmvn_3xn_kernelILj128ELj4ELj16EdEEvi20rocsparse_direction_NS_24const_host_device_scalarIT2_EEPKiS6_PKS3_S8_S4_PS3_21rocsparse_index_base_b,"axG",@progbits,_ZN9rocsparseL19gebsrmvn_3xn_kernelILj128ELj4ELj16EdEEvi20rocsparse_direction_NS_24const_host_device_scalarIT2_EEPKiS6_PKS3_S8_S4_PS3_21rocsparse_index_base_b,comdat
.Lfunc_end49:
	.size	_ZN9rocsparseL19gebsrmvn_3xn_kernelILj128ELj4ELj16EdEEvi20rocsparse_direction_NS_24const_host_device_scalarIT2_EEPKiS6_PKS3_S8_S4_PS3_21rocsparse_index_base_b, .Lfunc_end49-_ZN9rocsparseL19gebsrmvn_3xn_kernelILj128ELj4ELj16EdEEvi20rocsparse_direction_NS_24const_host_device_scalarIT2_EEPKiS6_PKS3_S8_S4_PS3_21rocsparse_index_base_b
                                        ; -- End function
	.set _ZN9rocsparseL19gebsrmvn_3xn_kernelILj128ELj4ELj16EdEEvi20rocsparse_direction_NS_24const_host_device_scalarIT2_EEPKiS6_PKS3_S8_S4_PS3_21rocsparse_index_base_b.num_vgpr, 50
	.set _ZN9rocsparseL19gebsrmvn_3xn_kernelILj128ELj4ELj16EdEEvi20rocsparse_direction_NS_24const_host_device_scalarIT2_EEPKiS6_PKS3_S8_S4_PS3_21rocsparse_index_base_b.num_agpr, 0
	.set _ZN9rocsparseL19gebsrmvn_3xn_kernelILj128ELj4ELj16EdEEvi20rocsparse_direction_NS_24const_host_device_scalarIT2_EEPKiS6_PKS3_S8_S4_PS3_21rocsparse_index_base_b.numbered_sgpr, 16
	.set _ZN9rocsparseL19gebsrmvn_3xn_kernelILj128ELj4ELj16EdEEvi20rocsparse_direction_NS_24const_host_device_scalarIT2_EEPKiS6_PKS3_S8_S4_PS3_21rocsparse_index_base_b.num_named_barrier, 0
	.set _ZN9rocsparseL19gebsrmvn_3xn_kernelILj128ELj4ELj16EdEEvi20rocsparse_direction_NS_24const_host_device_scalarIT2_EEPKiS6_PKS3_S8_S4_PS3_21rocsparse_index_base_b.private_seg_size, 0
	.set _ZN9rocsparseL19gebsrmvn_3xn_kernelILj128ELj4ELj16EdEEvi20rocsparse_direction_NS_24const_host_device_scalarIT2_EEPKiS6_PKS3_S8_S4_PS3_21rocsparse_index_base_b.uses_vcc, 1
	.set _ZN9rocsparseL19gebsrmvn_3xn_kernelILj128ELj4ELj16EdEEvi20rocsparse_direction_NS_24const_host_device_scalarIT2_EEPKiS6_PKS3_S8_S4_PS3_21rocsparse_index_base_b.uses_flat_scratch, 0
	.set _ZN9rocsparseL19gebsrmvn_3xn_kernelILj128ELj4ELj16EdEEvi20rocsparse_direction_NS_24const_host_device_scalarIT2_EEPKiS6_PKS3_S8_S4_PS3_21rocsparse_index_base_b.has_dyn_sized_stack, 0
	.set _ZN9rocsparseL19gebsrmvn_3xn_kernelILj128ELj4ELj16EdEEvi20rocsparse_direction_NS_24const_host_device_scalarIT2_EEPKiS6_PKS3_S8_S4_PS3_21rocsparse_index_base_b.has_recursion, 0
	.set _ZN9rocsparseL19gebsrmvn_3xn_kernelILj128ELj4ELj16EdEEvi20rocsparse_direction_NS_24const_host_device_scalarIT2_EEPKiS6_PKS3_S8_S4_PS3_21rocsparse_index_base_b.has_indirect_call, 0
	.section	.AMDGPU.csdata,"",@progbits
; Kernel info:
; codeLenInByte = 2304
; TotalNumSgprs: 18
; NumVgprs: 50
; ScratchSize: 0
; MemoryBound: 0
; FloatMode: 240
; IeeeMode: 1
; LDSByteSize: 0 bytes/workgroup (compile time only)
; SGPRBlocks: 0
; VGPRBlocks: 6
; NumSGPRsForWavesPerEU: 18
; NumVGPRsForWavesPerEU: 50
; Occupancy: 16
; WaveLimiterHint : 1
; COMPUTE_PGM_RSRC2:SCRATCH_EN: 0
; COMPUTE_PGM_RSRC2:USER_SGPR: 6
; COMPUTE_PGM_RSRC2:TRAP_HANDLER: 0
; COMPUTE_PGM_RSRC2:TGID_X_EN: 1
; COMPUTE_PGM_RSRC2:TGID_Y_EN: 0
; COMPUTE_PGM_RSRC2:TGID_Z_EN: 0
; COMPUTE_PGM_RSRC2:TIDIG_COMP_CNT: 0
	.section	.text._ZN9rocsparseL19gebsrmvn_3xn_kernelILj128ELj4ELj32EdEEvi20rocsparse_direction_NS_24const_host_device_scalarIT2_EEPKiS6_PKS3_S8_S4_PS3_21rocsparse_index_base_b,"axG",@progbits,_ZN9rocsparseL19gebsrmvn_3xn_kernelILj128ELj4ELj32EdEEvi20rocsparse_direction_NS_24const_host_device_scalarIT2_EEPKiS6_PKS3_S8_S4_PS3_21rocsparse_index_base_b,comdat
	.globl	_ZN9rocsparseL19gebsrmvn_3xn_kernelILj128ELj4ELj32EdEEvi20rocsparse_direction_NS_24const_host_device_scalarIT2_EEPKiS6_PKS3_S8_S4_PS3_21rocsparse_index_base_b ; -- Begin function _ZN9rocsparseL19gebsrmvn_3xn_kernelILj128ELj4ELj32EdEEvi20rocsparse_direction_NS_24const_host_device_scalarIT2_EEPKiS6_PKS3_S8_S4_PS3_21rocsparse_index_base_b
	.p2align	8
	.type	_ZN9rocsparseL19gebsrmvn_3xn_kernelILj128ELj4ELj32EdEEvi20rocsparse_direction_NS_24const_host_device_scalarIT2_EEPKiS6_PKS3_S8_S4_PS3_21rocsparse_index_base_b,@function
_ZN9rocsparseL19gebsrmvn_3xn_kernelILj128ELj4ELj32EdEEvi20rocsparse_direction_NS_24const_host_device_scalarIT2_EEPKiS6_PKS3_S8_S4_PS3_21rocsparse_index_base_b: ; @_ZN9rocsparseL19gebsrmvn_3xn_kernelILj128ELj4ELj32EdEEvi20rocsparse_direction_NS_24const_host_device_scalarIT2_EEPKiS6_PKS3_S8_S4_PS3_21rocsparse_index_base_b
; %bb.0:
	s_clause 0x2
	s_load_dwordx2 s[2:3], s[4:5], 0x40
	s_load_dwordx2 s[8:9], s[4:5], 0x8
	;; [unrolled: 1-line block ×3, first 2 shown]
	s_waitcnt lgkmcnt(0)
	s_bitcmp1_b32 s3, 0
	v_mov_b32_e32 v1, s8
	v_mov_b32_e32 v2, s9
	s_cselect_b32 s3, -1, 0
	s_and_b32 vcc_lo, exec_lo, s3
	s_xor_b32 s3, s3, -1
	s_cbranch_vccnz .LBB50_2
; %bb.1:
	v_mov_b32_e32 v1, s8
	v_mov_b32_e32 v2, s9
	flat_load_dwordx2 v[1:2], v[1:2]
.LBB50_2:
	v_mov_b32_e32 v4, s1
	v_mov_b32_e32 v3, s0
	s_andn2_b32 vcc_lo, exec_lo, s3
	s_cbranch_vccnz .LBB50_4
; %bb.3:
	v_mov_b32_e32 v4, s1
	v_mov_b32_e32 v3, s0
	flat_load_dwordx2 v[3:4], v[3:4]
.LBB50_4:
	s_waitcnt vmcnt(0) lgkmcnt(0)
	v_cmp_neq_f64_e32 vcc_lo, 0, v[1:2]
	v_cmp_neq_f64_e64 s0, 1.0, v[3:4]
	s_or_b32 s0, vcc_lo, s0
	s_and_saveexec_b32 s1, s0
	s_cbranch_execz .LBB50_23
; %bb.5:
	s_load_dwordx2 s[0:1], s[4:5], 0x0
	v_lshrrev_b32_e32 v5, 5, v0
	v_lshl_or_b32 v5, s6, 2, v5
	s_waitcnt lgkmcnt(0)
	v_cmp_gt_i32_e32 vcc_lo, s0, v5
	s_and_b32 exec_lo, exec_lo, vcc_lo
	s_cbranch_execz .LBB50_23
; %bb.6:
	s_load_dwordx8 s[8:15], s[4:5], 0x10
	v_ashrrev_i32_e32 v6, 31, v5
	v_and_b32_e32 v0, 31, v0
	s_cmp_lg_u32 s1, 0
	v_lshlrev_b64 v[6:7], 2, v[5:6]
	s_waitcnt lgkmcnt(0)
	v_add_co_u32 v6, vcc_lo, s8, v6
	v_add_co_ci_u32_e64 v7, null, s9, v7, vcc_lo
	global_load_dwordx2 v[6:7], v[6:7], off
	s_waitcnt vmcnt(0)
	v_subrev_nc_u32_e32 v6, s2, v6
	v_subrev_nc_u32_e32 v19, s2, v7
	v_add_nc_u32_e32 v12, v6, v0
	v_cmp_lt_i32_e64 s0, v12, v19
	s_cbranch_scc0 .LBB50_12
; %bb.7:
	v_mov_b32_e32 v6, 0
	v_mov_b32_e32 v8, 0
	;; [unrolled: 1-line block ×6, first 2 shown]
	s_and_saveexec_b32 s3, s0
	s_cbranch_execz .LBB50_11
; %bb.8:
	v_mad_u64_u32 v[13:14], null, v12, 12, 11
	v_mov_b32_e32 v6, 0
	v_mov_b32_e32 v8, 0
	;; [unrolled: 1-line block ×8, first 2 shown]
	s_mov_b32 s6, 0
.LBB50_9:                               ; =>This Inner Loop Header: Depth=1
	v_ashrrev_i32_e32 v18, 31, v17
	v_mov_b32_e32 v21, v16
	v_lshlrev_b64 v[14:15], 2, v[17:18]
	v_add_nc_u32_e32 v17, 32, v17
	v_add_co_u32 v14, vcc_lo, s10, v14
	v_add_co_ci_u32_e64 v15, null, s11, v15, vcc_lo
	global_load_dword v18, v[14:15], off
	v_mov_b32_e32 v14, v16
	v_add_nc_u32_e32 v15, -11, v13
	v_lshlrev_b64 v[36:37], 3, v[13:14]
	v_lshlrev_b64 v[22:23], 3, v[15:16]
	v_add_nc_u32_e32 v15, -7, v13
	v_lshlrev_b64 v[38:39], 3, v[15:16]
	v_add_co_u32 v24, vcc_lo, s12, v22
	v_add_co_ci_u32_e64 v25, null, s13, v23, vcc_lo
	v_add_nc_u32_e32 v15, -6, v13
	v_add_co_u32 v38, s1, s12, v38
	v_add_co_ci_u32_e64 v39, null, s13, v39, s1
	v_lshlrev_b64 v[40:41], 3, v[15:16]
	v_add_nc_u32_e32 v15, -5, v13
	v_add_co_u32 v40, s1, s12, v40
	v_add_co_ci_u32_e64 v41, null, s13, v41, s1
	v_lshlrev_b64 v[42:43], 3, v[15:16]
	v_add_nc_u32_e32 v15, -4, v13
	v_lshlrev_b64 v[44:45], 3, v[15:16]
	v_add_nc_u32_e32 v15, -3, v13
	v_add_co_u32 v42, s1, s12, v42
	v_add_co_ci_u32_e64 v43, null, s13, v43, s1
	v_add_co_u32 v44, s1, s12, v44
	v_add_co_ci_u32_e64 v45, null, s13, v45, s1
	s_waitcnt vmcnt(0)
	v_subrev_nc_u32_e32 v14, s2, v18
	v_lshlrev_b32_e32 v20, 2, v14
	v_lshlrev_b64 v[14:15], 3, v[15:16]
	v_lshlrev_b64 v[20:21], 3, v[20:21]
	v_add_co_u32 v14, s1, s12, v14
	v_add_co_ci_u32_e64 v15, null, s13, v15, s1
	v_add_co_u32 v32, vcc_lo, s14, v20
	v_add_co_ci_u32_e64 v33, null, s15, v21, vcc_lo
	v_add_co_u32 v36, vcc_lo, s12, v36
	s_clause 0x1
	global_load_dwordx4 v[20:23], v[24:25], off offset:16
	global_load_dwordx4 v[24:27], v[24:25], off
	s_clause 0x1
	global_load_dwordx4 v[28:31], v[32:33], off
	global_load_dwordx4 v[32:35], v[32:33], off offset:16
	s_clause 0x4
	global_load_dwordx2 v[38:39], v[38:39], off
	global_load_dwordx2 v[40:41], v[40:41], off
	;; [unrolled: 1-line block ×5, first 2 shown]
	v_add_nc_u32_e32 v15, -2, v13
	v_add_co_ci_u32_e64 v37, null, s13, v37, vcc_lo
	v_lshlrev_b64 v[48:49], 3, v[15:16]
	v_add_nc_u32_e32 v15, -1, v13
	v_add_nc_u32_e32 v13, 0x180, v13
	v_lshlrev_b64 v[14:15], 3, v[15:16]
	v_add_co_u32 v48, vcc_lo, s12, v48
	v_add_co_ci_u32_e64 v49, null, s13, v49, vcc_lo
	v_add_co_u32 v14, vcc_lo, s12, v14
	v_add_co_ci_u32_e64 v15, null, s13, v15, vcc_lo
	s_clause 0x2
	global_load_dwordx2 v[48:49], v[48:49], off
	global_load_dwordx2 v[14:15], v[14:15], off
	;; [unrolled: 1-line block ×3, first 2 shown]
	v_cmp_ge_i32_e32 vcc_lo, v17, v19
	s_or_b32 s6, vcc_lo, s6
	s_waitcnt vmcnt(9)
	v_fma_f64 v[6:7], v[24:25], v[28:29], v[6:7]
	v_fma_f64 v[10:11], v[26:27], v[28:29], v[10:11]
	;; [unrolled: 1-line block ×4, first 2 shown]
	s_waitcnt vmcnt(7)
	v_fma_f64 v[10:11], v[38:39], v[30:31], v[10:11]
	s_waitcnt vmcnt(6)
	v_fma_f64 v[8:9], v[40:41], v[30:31], v[8:9]
	;; [unrolled: 2-line block ×8, first 2 shown]
	s_andn2_b32 exec_lo, exec_lo, s6
	s_cbranch_execnz .LBB50_9
; %bb.10:
	s_or_b32 exec_lo, exec_lo, s6
.LBB50_11:
	s_or_b32 exec_lo, exec_lo, s3
	s_cbranch_execz .LBB50_13
	s_branch .LBB50_18
.LBB50_12:
                                        ; implicit-def: $vgpr6_vgpr7
                                        ; implicit-def: $vgpr8_vgpr9
                                        ; implicit-def: $vgpr10_vgpr11
.LBB50_13:
	v_mov_b32_e32 v6, 0
	v_mov_b32_e32 v8, 0
	;; [unrolled: 1-line block ×6, first 2 shown]
	s_and_saveexec_b32 s1, s0
	s_cbranch_execz .LBB50_17
; %bb.14:
	v_mad_u64_u32 v[14:15], null, v12, 12, 11
	v_mov_b32_e32 v6, 0
	v_mov_b32_e32 v8, 0
	;; [unrolled: 1-line block ×7, first 2 shown]
	s_mov_b32 s0, 0
.LBB50_15:                              ; =>This Inner Loop Header: Depth=1
	v_ashrrev_i32_e32 v13, 31, v12
	v_add_nc_u32_e32 v15, -11, v14
	v_add_nc_u32_e32 v20, -3, v14
	v_mov_b32_e32 v21, v16
	v_mov_b32_e32 v29, v16
	v_lshlrev_b64 v[17:18], 2, v[12:13]
	v_lshlrev_b64 v[22:23], 3, v[15:16]
	v_add_nc_u32_e32 v15, -6, v14
	v_lshlrev_b64 v[20:21], 3, v[20:21]
	v_add_nc_u32_e32 v12, 32, v12
	v_add_co_u32 v17, vcc_lo, s10, v17
	v_add_co_ci_u32_e64 v18, null, s11, v18, vcc_lo
	v_add_co_u32 v24, vcc_lo, s12, v22
	v_add_co_ci_u32_e64 v25, null, s13, v23, vcc_lo
	global_load_dword v13, v[17:18], off
	v_add_nc_u32_e32 v17, -7, v14
	v_mov_b32_e32 v18, v16
	v_lshlrev_b64 v[36:37], 3, v[15:16]
	v_add_nc_u32_e32 v15, -2, v14
	v_lshlrev_b64 v[17:18], 3, v[17:18]
	v_lshlrev_b64 v[40:41], 3, v[15:16]
	v_add_nc_u32_e32 v15, -5, v14
	v_add_co_u32 v17, vcc_lo, s12, v17
	v_add_co_ci_u32_e64 v18, null, s13, v18, vcc_lo
	v_add_co_u32 v30, vcc_lo, s12, v20
	v_add_co_ci_u32_e64 v31, null, s13, v21, vcc_lo
	s_clause 0x1
	global_load_dwordx4 v[20:23], v[24:25], off offset:16
	global_load_dwordx4 v[24:27], v[24:25], off
	v_lshlrev_b64 v[42:43], 3, v[15:16]
	v_add_nc_u32_e32 v15, -1, v14
	v_lshlrev_b64 v[44:45], 3, v[15:16]
	v_mov_b32_e32 v15, v16
	v_lshlrev_b64 v[46:47], 3, v[14:15]
	v_add_nc_u32_e32 v15, -4, v14
	v_add_nc_u32_e32 v14, 0x180, v14
	v_lshlrev_b64 v[48:49], 3, v[15:16]
	s_waitcnt vmcnt(2)
	v_subrev_nc_u32_e32 v13, s2, v13
	v_lshlrev_b32_e32 v28, 2, v13
	v_lshlrev_b64 v[28:29], 3, v[28:29]
	v_add_co_u32 v32, vcc_lo, s14, v28
	v_add_co_ci_u32_e64 v33, null, s15, v29, vcc_lo
	s_clause 0x1
	global_load_dwordx2 v[17:18], v[17:18], off
	global_load_dwordx2 v[38:39], v[30:31], off
	s_clause 0x1
	global_load_dwordx4 v[28:31], v[32:33], off
	global_load_dwordx4 v[32:35], v[32:33], off offset:16
	v_add_co_u32 v36, vcc_lo, s12, v36
	v_add_co_ci_u32_e64 v37, null, s13, v37, vcc_lo
	v_add_co_u32 v40, vcc_lo, s12, v40
	v_add_co_ci_u32_e64 v41, null, s13, v41, vcc_lo
	s_clause 0x1
	global_load_dwordx2 v[36:37], v[36:37], off
	global_load_dwordx2 v[40:41], v[40:41], off
	v_add_co_u32 v42, vcc_lo, s12, v42
	v_add_co_ci_u32_e64 v43, null, s13, v43, vcc_lo
	v_add_co_u32 v44, vcc_lo, s12, v44
	v_add_co_ci_u32_e64 v45, null, s13, v45, vcc_lo
	s_clause 0x1
	global_load_dwordx2 v[42:43], v[42:43], off
	global_load_dwordx2 v[44:45], v[44:45], off
	;; [unrolled: 7-line block ×3, first 2 shown]
	v_cmp_ge_i32_e32 vcc_lo, v12, v19
	s_or_b32 s0, vcc_lo, s0
	s_waitcnt vmcnt(7)
	v_fma_f64 v[6:7], v[24:25], v[28:29], v[6:7]
	v_fma_f64 v[10:11], v[17:18], v[28:29], v[10:11]
	;; [unrolled: 1-line block ×4, first 2 shown]
	s_waitcnt vmcnt(5)
	v_fma_f64 v[10:11], v[36:37], v[30:31], v[10:11]
	s_waitcnt vmcnt(4)
	v_fma_f64 v[8:9], v[40:41], v[30:31], v[8:9]
	v_fma_f64 v[6:7], v[20:21], v[32:33], v[6:7]
	s_waitcnt vmcnt(3)
	v_fma_f64 v[10:11], v[42:43], v[32:33], v[10:11]
	s_waitcnt vmcnt(2)
	v_fma_f64 v[8:9], v[44:45], v[32:33], v[8:9]
	v_fma_f64 v[6:7], v[22:23], v[34:35], v[6:7]
	s_waitcnt vmcnt(1)
	v_fma_f64 v[10:11], v[48:49], v[34:35], v[10:11]
	s_waitcnt vmcnt(0)
	v_fma_f64 v[8:9], v[46:47], v[34:35], v[8:9]
	s_andn2_b32 exec_lo, exec_lo, s0
	s_cbranch_execnz .LBB50_15
; %bb.16:
	s_or_b32 exec_lo, exec_lo, s0
.LBB50_17:
	s_or_b32 exec_lo, exec_lo, s1
.LBB50_18:
	v_mbcnt_lo_u32_b32 v18, -1, 0
	v_xor_b32_e32 v12, 16, v18
	v_cmp_gt_i32_e32 vcc_lo, 32, v12
	v_cndmask_b32_e32 v12, v18, v12, vcc_lo
	v_lshlrev_b32_e32 v17, 2, v12
	ds_bpermute_b32 v12, v17, v6
	ds_bpermute_b32 v13, v17, v7
	;; [unrolled: 1-line block ×6, first 2 shown]
	s_waitcnt lgkmcnt(4)
	v_add_f64 v[6:7], v[6:7], v[12:13]
	v_xor_b32_e32 v12, 8, v18
	s_waitcnt lgkmcnt(2)
	v_add_f64 v[10:11], v[10:11], v[14:15]
	s_waitcnt lgkmcnt(0)
	v_add_f64 v[8:9], v[8:9], v[16:17]
	v_cmp_gt_i32_e32 vcc_lo, 32, v12
	v_cndmask_b32_e32 v12, v18, v12, vcc_lo
	v_lshlrev_b32_e32 v17, 2, v12
	ds_bpermute_b32 v12, v17, v6
	ds_bpermute_b32 v13, v17, v7
	;; [unrolled: 1-line block ×6, first 2 shown]
	s_waitcnt lgkmcnt(4)
	v_add_f64 v[6:7], v[6:7], v[12:13]
	v_xor_b32_e32 v12, 4, v18
	s_waitcnt lgkmcnt(2)
	v_add_f64 v[10:11], v[10:11], v[14:15]
	s_waitcnt lgkmcnt(0)
	v_add_f64 v[8:9], v[8:9], v[16:17]
	v_cmp_gt_i32_e32 vcc_lo, 32, v12
	v_cndmask_b32_e32 v12, v18, v12, vcc_lo
	v_lshlrev_b32_e32 v17, 2, v12
	ds_bpermute_b32 v12, v17, v6
	ds_bpermute_b32 v13, v17, v7
	;; [unrolled: 1-line block ×6, first 2 shown]
	s_waitcnt lgkmcnt(4)
	v_add_f64 v[6:7], v[6:7], v[12:13]
	s_waitcnt lgkmcnt(2)
	v_add_f64 v[10:11], v[10:11], v[14:15]
	;; [unrolled: 2-line block ×3, first 2 shown]
	v_xor_b32_e32 v8, 2, v18
	v_cmp_gt_i32_e32 vcc_lo, 32, v8
	v_cndmask_b32_e32 v8, v18, v8, vcc_lo
	v_lshlrev_b32_e32 v17, 2, v8
	ds_bpermute_b32 v8, v17, v6
	ds_bpermute_b32 v9, v17, v7
	;; [unrolled: 1-line block ×6, first 2 shown]
	s_waitcnt lgkmcnt(4)
	v_add_f64 v[8:9], v[6:7], v[8:9]
	s_waitcnt lgkmcnt(2)
	v_add_f64 v[6:7], v[10:11], v[14:15]
	v_xor_b32_e32 v10, 1, v18
	s_waitcnt lgkmcnt(0)
	v_add_f64 v[12:13], v[12:13], v[16:17]
	v_cmp_gt_i32_e32 vcc_lo, 32, v10
	v_cndmask_b32_e32 v10, v18, v10, vcc_lo
	v_cmp_eq_u32_e32 vcc_lo, 31, v0
	v_lshlrev_b32_e32 v15, 2, v10
	ds_bpermute_b32 v10, v15, v8
	ds_bpermute_b32 v11, v15, v9
	;; [unrolled: 1-line block ×6, first 2 shown]
	s_and_b32 exec_lo, exec_lo, vcc_lo
	s_cbranch_execz .LBB50_23
; %bb.19:
	s_waitcnt lgkmcnt(4)
	v_add_f64 v[10:11], v[8:9], v[10:11]
	s_waitcnt lgkmcnt(2)
	v_add_f64 v[8:9], v[6:7], v[16:17]
	;; [unrolled: 2-line block ×3, first 2 shown]
	s_load_dwordx2 s[0:1], s[4:5], 0x38
	s_mov_b32 s2, exec_lo
	v_cmpx_eq_f64_e32 0, v[3:4]
	s_xor_b32 s2, exec_lo, s2
	s_cbranch_execz .LBB50_21
; %bb.20:
	v_lshl_add_u32 v0, v5, 1, v5
	v_mul_f64 v[10:11], v[1:2], v[10:11]
	v_mul_f64 v[12:13], v[1:2], v[8:9]
	;; [unrolled: 1-line block ×3, first 2 shown]
                                        ; implicit-def: $vgpr5
                                        ; implicit-def: $vgpr8_vgpr9
                                        ; implicit-def: $vgpr6_vgpr7
	v_ashrrev_i32_e32 v1, 31, v0
	v_lshlrev_b64 v[0:1], 3, v[0:1]
	s_waitcnt lgkmcnt(0)
	v_add_co_u32 v0, vcc_lo, s0, v0
	v_add_co_ci_u32_e64 v1, null, s1, v1, vcc_lo
	global_store_dwordx4 v[0:1], v[10:13], off
	global_store_dwordx2 v[0:1], v[2:3], off offset:16
                                        ; implicit-def: $vgpr1_vgpr2
                                        ; implicit-def: $vgpr10_vgpr11
                                        ; implicit-def: $vgpr3_vgpr4
.LBB50_21:
	s_andn2_saveexec_b32 s2, s2
	s_cbranch_execz .LBB50_23
; %bb.22:
	v_lshl_add_u32 v12, v5, 1, v5
	v_mul_f64 v[10:11], v[1:2], v[10:11]
	v_mul_f64 v[8:9], v[1:2], v[8:9]
	;; [unrolled: 1-line block ×3, first 2 shown]
	v_ashrrev_i32_e32 v13, 31, v12
	v_lshlrev_b64 v[12:13], 3, v[12:13]
	s_waitcnt lgkmcnt(0)
	v_add_co_u32 v16, vcc_lo, s0, v12
	v_add_co_ci_u32_e64 v17, null, s1, v13, vcc_lo
	s_clause 0x1
	global_load_dwordx4 v[12:15], v[16:17], off
	global_load_dwordx2 v[18:19], v[16:17], off offset:16
	s_waitcnt vmcnt(1)
	v_fma_f64 v[5:6], v[3:4], v[12:13], v[10:11]
	v_fma_f64 v[7:8], v[3:4], v[14:15], v[8:9]
	s_waitcnt vmcnt(0)
	v_fma_f64 v[0:1], v[3:4], v[18:19], v[0:1]
	global_store_dwordx4 v[16:17], v[5:8], off
	global_store_dwordx2 v[16:17], v[0:1], off offset:16
.LBB50_23:
	s_endpgm
	.section	.rodata,"a",@progbits
	.p2align	6, 0x0
	.amdhsa_kernel _ZN9rocsparseL19gebsrmvn_3xn_kernelILj128ELj4ELj32EdEEvi20rocsparse_direction_NS_24const_host_device_scalarIT2_EEPKiS6_PKS3_S8_S4_PS3_21rocsparse_index_base_b
		.amdhsa_group_segment_fixed_size 0
		.amdhsa_private_segment_fixed_size 0
		.amdhsa_kernarg_size 72
		.amdhsa_user_sgpr_count 6
		.amdhsa_user_sgpr_private_segment_buffer 1
		.amdhsa_user_sgpr_dispatch_ptr 0
		.amdhsa_user_sgpr_queue_ptr 0
		.amdhsa_user_sgpr_kernarg_segment_ptr 1
		.amdhsa_user_sgpr_dispatch_id 0
		.amdhsa_user_sgpr_flat_scratch_init 0
		.amdhsa_user_sgpr_private_segment_size 0
		.amdhsa_wavefront_size32 1
		.amdhsa_uses_dynamic_stack 0
		.amdhsa_system_sgpr_private_segment_wavefront_offset 0
		.amdhsa_system_sgpr_workgroup_id_x 1
		.amdhsa_system_sgpr_workgroup_id_y 0
		.amdhsa_system_sgpr_workgroup_id_z 0
		.amdhsa_system_sgpr_workgroup_info 0
		.amdhsa_system_vgpr_workitem_id 0
		.amdhsa_next_free_vgpr 50
		.amdhsa_next_free_sgpr 16
		.amdhsa_reserve_vcc 1
		.amdhsa_reserve_flat_scratch 0
		.amdhsa_float_round_mode_32 0
		.amdhsa_float_round_mode_16_64 0
		.amdhsa_float_denorm_mode_32 3
		.amdhsa_float_denorm_mode_16_64 3
		.amdhsa_dx10_clamp 1
		.amdhsa_ieee_mode 1
		.amdhsa_fp16_overflow 0
		.amdhsa_workgroup_processor_mode 1
		.amdhsa_memory_ordered 1
		.amdhsa_forward_progress 1
		.amdhsa_shared_vgpr_count 0
		.amdhsa_exception_fp_ieee_invalid_op 0
		.amdhsa_exception_fp_denorm_src 0
		.amdhsa_exception_fp_ieee_div_zero 0
		.amdhsa_exception_fp_ieee_overflow 0
		.amdhsa_exception_fp_ieee_underflow 0
		.amdhsa_exception_fp_ieee_inexact 0
		.amdhsa_exception_int_div_zero 0
	.end_amdhsa_kernel
	.section	.text._ZN9rocsparseL19gebsrmvn_3xn_kernelILj128ELj4ELj32EdEEvi20rocsparse_direction_NS_24const_host_device_scalarIT2_EEPKiS6_PKS3_S8_S4_PS3_21rocsparse_index_base_b,"axG",@progbits,_ZN9rocsparseL19gebsrmvn_3xn_kernelILj128ELj4ELj32EdEEvi20rocsparse_direction_NS_24const_host_device_scalarIT2_EEPKiS6_PKS3_S8_S4_PS3_21rocsparse_index_base_b,comdat
.Lfunc_end50:
	.size	_ZN9rocsparseL19gebsrmvn_3xn_kernelILj128ELj4ELj32EdEEvi20rocsparse_direction_NS_24const_host_device_scalarIT2_EEPKiS6_PKS3_S8_S4_PS3_21rocsparse_index_base_b, .Lfunc_end50-_ZN9rocsparseL19gebsrmvn_3xn_kernelILj128ELj4ELj32EdEEvi20rocsparse_direction_NS_24const_host_device_scalarIT2_EEPKiS6_PKS3_S8_S4_PS3_21rocsparse_index_base_b
                                        ; -- End function
	.set _ZN9rocsparseL19gebsrmvn_3xn_kernelILj128ELj4ELj32EdEEvi20rocsparse_direction_NS_24const_host_device_scalarIT2_EEPKiS6_PKS3_S8_S4_PS3_21rocsparse_index_base_b.num_vgpr, 50
	.set _ZN9rocsparseL19gebsrmvn_3xn_kernelILj128ELj4ELj32EdEEvi20rocsparse_direction_NS_24const_host_device_scalarIT2_EEPKiS6_PKS3_S8_S4_PS3_21rocsparse_index_base_b.num_agpr, 0
	.set _ZN9rocsparseL19gebsrmvn_3xn_kernelILj128ELj4ELj32EdEEvi20rocsparse_direction_NS_24const_host_device_scalarIT2_EEPKiS6_PKS3_S8_S4_PS3_21rocsparse_index_base_b.numbered_sgpr, 16
	.set _ZN9rocsparseL19gebsrmvn_3xn_kernelILj128ELj4ELj32EdEEvi20rocsparse_direction_NS_24const_host_device_scalarIT2_EEPKiS6_PKS3_S8_S4_PS3_21rocsparse_index_base_b.num_named_barrier, 0
	.set _ZN9rocsparseL19gebsrmvn_3xn_kernelILj128ELj4ELj32EdEEvi20rocsparse_direction_NS_24const_host_device_scalarIT2_EEPKiS6_PKS3_S8_S4_PS3_21rocsparse_index_base_b.private_seg_size, 0
	.set _ZN9rocsparseL19gebsrmvn_3xn_kernelILj128ELj4ELj32EdEEvi20rocsparse_direction_NS_24const_host_device_scalarIT2_EEPKiS6_PKS3_S8_S4_PS3_21rocsparse_index_base_b.uses_vcc, 1
	.set _ZN9rocsparseL19gebsrmvn_3xn_kernelILj128ELj4ELj32EdEEvi20rocsparse_direction_NS_24const_host_device_scalarIT2_EEPKiS6_PKS3_S8_S4_PS3_21rocsparse_index_base_b.uses_flat_scratch, 0
	.set _ZN9rocsparseL19gebsrmvn_3xn_kernelILj128ELj4ELj32EdEEvi20rocsparse_direction_NS_24const_host_device_scalarIT2_EEPKiS6_PKS3_S8_S4_PS3_21rocsparse_index_base_b.has_dyn_sized_stack, 0
	.set _ZN9rocsparseL19gebsrmvn_3xn_kernelILj128ELj4ELj32EdEEvi20rocsparse_direction_NS_24const_host_device_scalarIT2_EEPKiS6_PKS3_S8_S4_PS3_21rocsparse_index_base_b.has_recursion, 0
	.set _ZN9rocsparseL19gebsrmvn_3xn_kernelILj128ELj4ELj32EdEEvi20rocsparse_direction_NS_24const_host_device_scalarIT2_EEPKiS6_PKS3_S8_S4_PS3_21rocsparse_index_base_b.has_indirect_call, 0
	.section	.AMDGPU.csdata,"",@progbits
; Kernel info:
; codeLenInByte = 2404
; TotalNumSgprs: 18
; NumVgprs: 50
; ScratchSize: 0
; MemoryBound: 0
; FloatMode: 240
; IeeeMode: 1
; LDSByteSize: 0 bytes/workgroup (compile time only)
; SGPRBlocks: 0
; VGPRBlocks: 6
; NumSGPRsForWavesPerEU: 18
; NumVGPRsForWavesPerEU: 50
; Occupancy: 16
; WaveLimiterHint : 1
; COMPUTE_PGM_RSRC2:SCRATCH_EN: 0
; COMPUTE_PGM_RSRC2:USER_SGPR: 6
; COMPUTE_PGM_RSRC2:TRAP_HANDLER: 0
; COMPUTE_PGM_RSRC2:TGID_X_EN: 1
; COMPUTE_PGM_RSRC2:TGID_Y_EN: 0
; COMPUTE_PGM_RSRC2:TGID_Z_EN: 0
; COMPUTE_PGM_RSRC2:TIDIG_COMP_CNT: 0
	.section	.text._ZN9rocsparseL19gebsrmvn_3xn_kernelILj128ELj4ELj64EdEEvi20rocsparse_direction_NS_24const_host_device_scalarIT2_EEPKiS6_PKS3_S8_S4_PS3_21rocsparse_index_base_b,"axG",@progbits,_ZN9rocsparseL19gebsrmvn_3xn_kernelILj128ELj4ELj64EdEEvi20rocsparse_direction_NS_24const_host_device_scalarIT2_EEPKiS6_PKS3_S8_S4_PS3_21rocsparse_index_base_b,comdat
	.globl	_ZN9rocsparseL19gebsrmvn_3xn_kernelILj128ELj4ELj64EdEEvi20rocsparse_direction_NS_24const_host_device_scalarIT2_EEPKiS6_PKS3_S8_S4_PS3_21rocsparse_index_base_b ; -- Begin function _ZN9rocsparseL19gebsrmvn_3xn_kernelILj128ELj4ELj64EdEEvi20rocsparse_direction_NS_24const_host_device_scalarIT2_EEPKiS6_PKS3_S8_S4_PS3_21rocsparse_index_base_b
	.p2align	8
	.type	_ZN9rocsparseL19gebsrmvn_3xn_kernelILj128ELj4ELj64EdEEvi20rocsparse_direction_NS_24const_host_device_scalarIT2_EEPKiS6_PKS3_S8_S4_PS3_21rocsparse_index_base_b,@function
_ZN9rocsparseL19gebsrmvn_3xn_kernelILj128ELj4ELj64EdEEvi20rocsparse_direction_NS_24const_host_device_scalarIT2_EEPKiS6_PKS3_S8_S4_PS3_21rocsparse_index_base_b: ; @_ZN9rocsparseL19gebsrmvn_3xn_kernelILj128ELj4ELj64EdEEvi20rocsparse_direction_NS_24const_host_device_scalarIT2_EEPKiS6_PKS3_S8_S4_PS3_21rocsparse_index_base_b
; %bb.0:
	s_clause 0x2
	s_load_dwordx2 s[2:3], s[4:5], 0x40
	s_load_dwordx2 s[8:9], s[4:5], 0x8
	;; [unrolled: 1-line block ×3, first 2 shown]
	s_waitcnt lgkmcnt(0)
	s_bitcmp1_b32 s3, 0
	v_mov_b32_e32 v1, s8
	v_mov_b32_e32 v2, s9
	s_cselect_b32 s3, -1, 0
	s_and_b32 vcc_lo, exec_lo, s3
	s_xor_b32 s3, s3, -1
	s_cbranch_vccnz .LBB51_2
; %bb.1:
	v_mov_b32_e32 v1, s8
	v_mov_b32_e32 v2, s9
	flat_load_dwordx2 v[1:2], v[1:2]
.LBB51_2:
	v_mov_b32_e32 v4, s1
	v_mov_b32_e32 v3, s0
	s_andn2_b32 vcc_lo, exec_lo, s3
	s_cbranch_vccnz .LBB51_4
; %bb.3:
	v_mov_b32_e32 v4, s1
	v_mov_b32_e32 v3, s0
	flat_load_dwordx2 v[3:4], v[3:4]
.LBB51_4:
	s_waitcnt vmcnt(0) lgkmcnt(0)
	v_cmp_neq_f64_e32 vcc_lo, 0, v[1:2]
	v_cmp_neq_f64_e64 s0, 1.0, v[3:4]
	s_or_b32 s0, vcc_lo, s0
	s_and_saveexec_b32 s1, s0
	s_cbranch_execz .LBB51_23
; %bb.5:
	s_load_dwordx2 s[0:1], s[4:5], 0x0
	v_lshrrev_b32_e32 v5, 6, v0
	v_lshl_or_b32 v5, s6, 1, v5
	s_waitcnt lgkmcnt(0)
	v_cmp_gt_i32_e32 vcc_lo, s0, v5
	s_and_b32 exec_lo, exec_lo, vcc_lo
	s_cbranch_execz .LBB51_23
; %bb.6:
	s_load_dwordx8 s[8:15], s[4:5], 0x10
	v_ashrrev_i32_e32 v6, 31, v5
	v_and_b32_e32 v0, 63, v0
	s_cmp_lg_u32 s1, 0
	v_lshlrev_b64 v[6:7], 2, v[5:6]
	s_waitcnt lgkmcnt(0)
	v_add_co_u32 v6, vcc_lo, s8, v6
	v_add_co_ci_u32_e64 v7, null, s9, v7, vcc_lo
	global_load_dwordx2 v[6:7], v[6:7], off
	s_waitcnt vmcnt(0)
	v_subrev_nc_u32_e32 v6, s2, v6
	v_subrev_nc_u32_e32 v19, s2, v7
	v_add_nc_u32_e32 v12, v6, v0
	v_cmp_lt_i32_e64 s0, v12, v19
	s_cbranch_scc0 .LBB51_12
; %bb.7:
	v_mov_b32_e32 v6, 0
	v_mov_b32_e32 v8, 0
	;; [unrolled: 1-line block ×6, first 2 shown]
	s_and_saveexec_b32 s3, s0
	s_cbranch_execz .LBB51_11
; %bb.8:
	v_mad_u64_u32 v[13:14], null, v12, 12, 11
	v_mov_b32_e32 v6, 0
	v_mov_b32_e32 v8, 0
	;; [unrolled: 1-line block ×8, first 2 shown]
	s_mov_b32 s6, 0
.LBB51_9:                               ; =>This Inner Loop Header: Depth=1
	v_ashrrev_i32_e32 v18, 31, v17
	v_mov_b32_e32 v21, v16
	v_lshlrev_b64 v[14:15], 2, v[17:18]
	v_add_nc_u32_e32 v17, 64, v17
	v_add_co_u32 v14, vcc_lo, s10, v14
	v_add_co_ci_u32_e64 v15, null, s11, v15, vcc_lo
	global_load_dword v18, v[14:15], off
	v_mov_b32_e32 v14, v16
	v_add_nc_u32_e32 v15, -11, v13
	v_lshlrev_b64 v[36:37], 3, v[13:14]
	v_lshlrev_b64 v[22:23], 3, v[15:16]
	v_add_nc_u32_e32 v15, -7, v13
	v_lshlrev_b64 v[38:39], 3, v[15:16]
	v_add_co_u32 v24, vcc_lo, s12, v22
	v_add_co_ci_u32_e64 v25, null, s13, v23, vcc_lo
	v_add_nc_u32_e32 v15, -6, v13
	v_add_co_u32 v38, s1, s12, v38
	v_add_co_ci_u32_e64 v39, null, s13, v39, s1
	v_lshlrev_b64 v[40:41], 3, v[15:16]
	v_add_nc_u32_e32 v15, -5, v13
	v_add_co_u32 v40, s1, s12, v40
	v_add_co_ci_u32_e64 v41, null, s13, v41, s1
	v_lshlrev_b64 v[42:43], 3, v[15:16]
	v_add_nc_u32_e32 v15, -4, v13
	v_lshlrev_b64 v[44:45], 3, v[15:16]
	v_add_nc_u32_e32 v15, -3, v13
	v_add_co_u32 v42, s1, s12, v42
	v_add_co_ci_u32_e64 v43, null, s13, v43, s1
	v_add_co_u32 v44, s1, s12, v44
	v_add_co_ci_u32_e64 v45, null, s13, v45, s1
	s_waitcnt vmcnt(0)
	v_subrev_nc_u32_e32 v14, s2, v18
	v_lshlrev_b32_e32 v20, 2, v14
	v_lshlrev_b64 v[14:15], 3, v[15:16]
	v_lshlrev_b64 v[20:21], 3, v[20:21]
	v_add_co_u32 v14, s1, s12, v14
	v_add_co_ci_u32_e64 v15, null, s13, v15, s1
	v_add_co_u32 v32, vcc_lo, s14, v20
	v_add_co_ci_u32_e64 v33, null, s15, v21, vcc_lo
	v_add_co_u32 v36, vcc_lo, s12, v36
	s_clause 0x1
	global_load_dwordx4 v[20:23], v[24:25], off offset:16
	global_load_dwordx4 v[24:27], v[24:25], off
	s_clause 0x1
	global_load_dwordx4 v[28:31], v[32:33], off
	global_load_dwordx4 v[32:35], v[32:33], off offset:16
	s_clause 0x4
	global_load_dwordx2 v[38:39], v[38:39], off
	global_load_dwordx2 v[40:41], v[40:41], off
	;; [unrolled: 1-line block ×5, first 2 shown]
	v_add_nc_u32_e32 v15, -2, v13
	v_add_co_ci_u32_e64 v37, null, s13, v37, vcc_lo
	v_lshlrev_b64 v[48:49], 3, v[15:16]
	v_add_nc_u32_e32 v15, -1, v13
	v_add_nc_u32_e32 v13, 0x300, v13
	v_lshlrev_b64 v[14:15], 3, v[15:16]
	v_add_co_u32 v48, vcc_lo, s12, v48
	v_add_co_ci_u32_e64 v49, null, s13, v49, vcc_lo
	v_add_co_u32 v14, vcc_lo, s12, v14
	v_add_co_ci_u32_e64 v15, null, s13, v15, vcc_lo
	s_clause 0x2
	global_load_dwordx2 v[48:49], v[48:49], off
	global_load_dwordx2 v[14:15], v[14:15], off
	;; [unrolled: 1-line block ×3, first 2 shown]
	v_cmp_ge_i32_e32 vcc_lo, v17, v19
	s_or_b32 s6, vcc_lo, s6
	s_waitcnt vmcnt(9)
	v_fma_f64 v[6:7], v[24:25], v[28:29], v[6:7]
	v_fma_f64 v[10:11], v[26:27], v[28:29], v[10:11]
	;; [unrolled: 1-line block ×4, first 2 shown]
	s_waitcnt vmcnt(7)
	v_fma_f64 v[10:11], v[38:39], v[30:31], v[10:11]
	s_waitcnt vmcnt(6)
	v_fma_f64 v[8:9], v[40:41], v[30:31], v[8:9]
	;; [unrolled: 2-line block ×8, first 2 shown]
	s_andn2_b32 exec_lo, exec_lo, s6
	s_cbranch_execnz .LBB51_9
; %bb.10:
	s_or_b32 exec_lo, exec_lo, s6
.LBB51_11:
	s_or_b32 exec_lo, exec_lo, s3
	s_cbranch_execz .LBB51_13
	s_branch .LBB51_18
.LBB51_12:
                                        ; implicit-def: $vgpr6_vgpr7
                                        ; implicit-def: $vgpr8_vgpr9
                                        ; implicit-def: $vgpr10_vgpr11
.LBB51_13:
	v_mov_b32_e32 v6, 0
	v_mov_b32_e32 v8, 0
	;; [unrolled: 1-line block ×6, first 2 shown]
	s_and_saveexec_b32 s1, s0
	s_cbranch_execz .LBB51_17
; %bb.14:
	v_mad_u64_u32 v[14:15], null, v12, 12, 11
	v_mov_b32_e32 v6, 0
	v_mov_b32_e32 v8, 0
	;; [unrolled: 1-line block ×7, first 2 shown]
	s_mov_b32 s0, 0
.LBB51_15:                              ; =>This Inner Loop Header: Depth=1
	v_ashrrev_i32_e32 v13, 31, v12
	v_add_nc_u32_e32 v15, -11, v14
	v_add_nc_u32_e32 v20, -3, v14
	v_mov_b32_e32 v21, v16
	v_mov_b32_e32 v29, v16
	v_lshlrev_b64 v[17:18], 2, v[12:13]
	v_lshlrev_b64 v[22:23], 3, v[15:16]
	v_add_nc_u32_e32 v15, -6, v14
	v_lshlrev_b64 v[20:21], 3, v[20:21]
	v_add_nc_u32_e32 v12, 64, v12
	v_add_co_u32 v17, vcc_lo, s10, v17
	v_add_co_ci_u32_e64 v18, null, s11, v18, vcc_lo
	v_add_co_u32 v24, vcc_lo, s12, v22
	v_add_co_ci_u32_e64 v25, null, s13, v23, vcc_lo
	global_load_dword v13, v[17:18], off
	v_add_nc_u32_e32 v17, -7, v14
	v_mov_b32_e32 v18, v16
	v_lshlrev_b64 v[36:37], 3, v[15:16]
	v_add_nc_u32_e32 v15, -2, v14
	v_lshlrev_b64 v[17:18], 3, v[17:18]
	v_lshlrev_b64 v[40:41], 3, v[15:16]
	v_add_nc_u32_e32 v15, -5, v14
	v_add_co_u32 v17, vcc_lo, s12, v17
	v_add_co_ci_u32_e64 v18, null, s13, v18, vcc_lo
	v_add_co_u32 v30, vcc_lo, s12, v20
	v_add_co_ci_u32_e64 v31, null, s13, v21, vcc_lo
	s_clause 0x1
	global_load_dwordx4 v[20:23], v[24:25], off offset:16
	global_load_dwordx4 v[24:27], v[24:25], off
	v_lshlrev_b64 v[42:43], 3, v[15:16]
	v_add_nc_u32_e32 v15, -1, v14
	v_lshlrev_b64 v[44:45], 3, v[15:16]
	v_mov_b32_e32 v15, v16
	v_lshlrev_b64 v[46:47], 3, v[14:15]
	v_add_nc_u32_e32 v15, -4, v14
	v_add_nc_u32_e32 v14, 0x300, v14
	v_lshlrev_b64 v[48:49], 3, v[15:16]
	s_waitcnt vmcnt(2)
	v_subrev_nc_u32_e32 v13, s2, v13
	v_lshlrev_b32_e32 v28, 2, v13
	v_lshlrev_b64 v[28:29], 3, v[28:29]
	v_add_co_u32 v32, vcc_lo, s14, v28
	v_add_co_ci_u32_e64 v33, null, s15, v29, vcc_lo
	s_clause 0x1
	global_load_dwordx2 v[17:18], v[17:18], off
	global_load_dwordx2 v[38:39], v[30:31], off
	s_clause 0x1
	global_load_dwordx4 v[28:31], v[32:33], off
	global_load_dwordx4 v[32:35], v[32:33], off offset:16
	v_add_co_u32 v36, vcc_lo, s12, v36
	v_add_co_ci_u32_e64 v37, null, s13, v37, vcc_lo
	v_add_co_u32 v40, vcc_lo, s12, v40
	v_add_co_ci_u32_e64 v41, null, s13, v41, vcc_lo
	s_clause 0x1
	global_load_dwordx2 v[36:37], v[36:37], off
	global_load_dwordx2 v[40:41], v[40:41], off
	v_add_co_u32 v42, vcc_lo, s12, v42
	v_add_co_ci_u32_e64 v43, null, s13, v43, vcc_lo
	v_add_co_u32 v44, vcc_lo, s12, v44
	v_add_co_ci_u32_e64 v45, null, s13, v45, vcc_lo
	s_clause 0x1
	global_load_dwordx2 v[42:43], v[42:43], off
	global_load_dwordx2 v[44:45], v[44:45], off
	;; [unrolled: 7-line block ×3, first 2 shown]
	v_cmp_ge_i32_e32 vcc_lo, v12, v19
	s_or_b32 s0, vcc_lo, s0
	s_waitcnt vmcnt(7)
	v_fma_f64 v[6:7], v[24:25], v[28:29], v[6:7]
	v_fma_f64 v[10:11], v[17:18], v[28:29], v[10:11]
	;; [unrolled: 1-line block ×4, first 2 shown]
	s_waitcnt vmcnt(5)
	v_fma_f64 v[10:11], v[36:37], v[30:31], v[10:11]
	s_waitcnt vmcnt(4)
	v_fma_f64 v[8:9], v[40:41], v[30:31], v[8:9]
	v_fma_f64 v[6:7], v[20:21], v[32:33], v[6:7]
	s_waitcnt vmcnt(3)
	v_fma_f64 v[10:11], v[42:43], v[32:33], v[10:11]
	s_waitcnt vmcnt(2)
	v_fma_f64 v[8:9], v[44:45], v[32:33], v[8:9]
	v_fma_f64 v[6:7], v[22:23], v[34:35], v[6:7]
	s_waitcnt vmcnt(1)
	v_fma_f64 v[10:11], v[48:49], v[34:35], v[10:11]
	s_waitcnt vmcnt(0)
	v_fma_f64 v[8:9], v[46:47], v[34:35], v[8:9]
	s_andn2_b32 exec_lo, exec_lo, s0
	s_cbranch_execnz .LBB51_15
; %bb.16:
	s_or_b32 exec_lo, exec_lo, s0
.LBB51_17:
	s_or_b32 exec_lo, exec_lo, s1
.LBB51_18:
	v_mbcnt_lo_u32_b32 v18, -1, 0
	v_or_b32_e32 v12, 32, v18
	v_cmp_gt_i32_e32 vcc_lo, 32, v12
	v_cndmask_b32_e32 v12, v18, v12, vcc_lo
	v_lshlrev_b32_e32 v17, 2, v12
	ds_bpermute_b32 v12, v17, v6
	ds_bpermute_b32 v13, v17, v7
	ds_bpermute_b32 v14, v17, v10
	ds_bpermute_b32 v15, v17, v11
	ds_bpermute_b32 v16, v17, v8
	ds_bpermute_b32 v17, v17, v9
	s_waitcnt lgkmcnt(4)
	v_add_f64 v[6:7], v[6:7], v[12:13]
	v_xor_b32_e32 v12, 16, v18
	s_waitcnt lgkmcnt(2)
	v_add_f64 v[10:11], v[10:11], v[14:15]
	s_waitcnt lgkmcnt(0)
	v_add_f64 v[8:9], v[8:9], v[16:17]
	v_cmp_gt_i32_e32 vcc_lo, 32, v12
	v_cndmask_b32_e32 v12, v18, v12, vcc_lo
	v_lshlrev_b32_e32 v17, 2, v12
	ds_bpermute_b32 v12, v17, v6
	ds_bpermute_b32 v13, v17, v7
	ds_bpermute_b32 v14, v17, v10
	ds_bpermute_b32 v15, v17, v11
	ds_bpermute_b32 v16, v17, v8
	ds_bpermute_b32 v17, v17, v9
	s_waitcnt lgkmcnt(4)
	v_add_f64 v[6:7], v[6:7], v[12:13]
	v_xor_b32_e32 v12, 8, v18
	s_waitcnt lgkmcnt(2)
	v_add_f64 v[10:11], v[10:11], v[14:15]
	s_waitcnt lgkmcnt(0)
	v_add_f64 v[8:9], v[8:9], v[16:17]
	;; [unrolled: 16-line block ×3, first 2 shown]
	v_cmp_gt_i32_e32 vcc_lo, 32, v12
	v_cndmask_b32_e32 v12, v18, v12, vcc_lo
	v_lshlrev_b32_e32 v17, 2, v12
	ds_bpermute_b32 v12, v17, v6
	ds_bpermute_b32 v13, v17, v7
	;; [unrolled: 1-line block ×6, first 2 shown]
	s_waitcnt lgkmcnt(4)
	v_add_f64 v[6:7], v[6:7], v[12:13]
	s_waitcnt lgkmcnt(2)
	v_add_f64 v[10:11], v[10:11], v[14:15]
	;; [unrolled: 2-line block ×3, first 2 shown]
	v_xor_b32_e32 v8, 2, v18
	v_cmp_gt_i32_e32 vcc_lo, 32, v8
	v_cndmask_b32_e32 v8, v18, v8, vcc_lo
	v_lshlrev_b32_e32 v17, 2, v8
	ds_bpermute_b32 v8, v17, v6
	ds_bpermute_b32 v9, v17, v7
	;; [unrolled: 1-line block ×6, first 2 shown]
	s_waitcnt lgkmcnt(4)
	v_add_f64 v[8:9], v[6:7], v[8:9]
	s_waitcnt lgkmcnt(2)
	v_add_f64 v[6:7], v[10:11], v[14:15]
	v_xor_b32_e32 v10, 1, v18
	s_waitcnt lgkmcnt(0)
	v_add_f64 v[12:13], v[12:13], v[16:17]
	v_cmp_gt_i32_e32 vcc_lo, 32, v10
	v_cndmask_b32_e32 v10, v18, v10, vcc_lo
	v_cmp_eq_u32_e32 vcc_lo, 63, v0
	v_lshlrev_b32_e32 v15, 2, v10
	ds_bpermute_b32 v10, v15, v8
	ds_bpermute_b32 v11, v15, v9
	;; [unrolled: 1-line block ×6, first 2 shown]
	s_and_b32 exec_lo, exec_lo, vcc_lo
	s_cbranch_execz .LBB51_23
; %bb.19:
	s_waitcnt lgkmcnt(4)
	v_add_f64 v[10:11], v[8:9], v[10:11]
	s_waitcnt lgkmcnt(2)
	v_add_f64 v[8:9], v[6:7], v[16:17]
	;; [unrolled: 2-line block ×3, first 2 shown]
	s_load_dwordx2 s[0:1], s[4:5], 0x38
	s_mov_b32 s2, exec_lo
	v_cmpx_eq_f64_e32 0, v[3:4]
	s_xor_b32 s2, exec_lo, s2
	s_cbranch_execz .LBB51_21
; %bb.20:
	v_lshl_add_u32 v0, v5, 1, v5
	v_mul_f64 v[10:11], v[1:2], v[10:11]
	v_mul_f64 v[12:13], v[1:2], v[8:9]
	;; [unrolled: 1-line block ×3, first 2 shown]
                                        ; implicit-def: $vgpr5
                                        ; implicit-def: $vgpr8_vgpr9
                                        ; implicit-def: $vgpr6_vgpr7
	v_ashrrev_i32_e32 v1, 31, v0
	v_lshlrev_b64 v[0:1], 3, v[0:1]
	s_waitcnt lgkmcnt(0)
	v_add_co_u32 v0, vcc_lo, s0, v0
	v_add_co_ci_u32_e64 v1, null, s1, v1, vcc_lo
	global_store_dwordx4 v[0:1], v[10:13], off
	global_store_dwordx2 v[0:1], v[2:3], off offset:16
                                        ; implicit-def: $vgpr1_vgpr2
                                        ; implicit-def: $vgpr10_vgpr11
                                        ; implicit-def: $vgpr3_vgpr4
.LBB51_21:
	s_andn2_saveexec_b32 s2, s2
	s_cbranch_execz .LBB51_23
; %bb.22:
	v_lshl_add_u32 v12, v5, 1, v5
	v_mul_f64 v[10:11], v[1:2], v[10:11]
	v_mul_f64 v[8:9], v[1:2], v[8:9]
	v_mul_f64 v[0:1], v[1:2], v[6:7]
	v_ashrrev_i32_e32 v13, 31, v12
	v_lshlrev_b64 v[12:13], 3, v[12:13]
	s_waitcnt lgkmcnt(0)
	v_add_co_u32 v16, vcc_lo, s0, v12
	v_add_co_ci_u32_e64 v17, null, s1, v13, vcc_lo
	s_clause 0x1
	global_load_dwordx4 v[12:15], v[16:17], off
	global_load_dwordx2 v[18:19], v[16:17], off offset:16
	s_waitcnt vmcnt(1)
	v_fma_f64 v[5:6], v[3:4], v[12:13], v[10:11]
	v_fma_f64 v[7:8], v[3:4], v[14:15], v[8:9]
	s_waitcnt vmcnt(0)
	v_fma_f64 v[0:1], v[3:4], v[18:19], v[0:1]
	global_store_dwordx4 v[16:17], v[5:8], off
	global_store_dwordx2 v[16:17], v[0:1], off offset:16
.LBB51_23:
	s_endpgm
	.section	.rodata,"a",@progbits
	.p2align	6, 0x0
	.amdhsa_kernel _ZN9rocsparseL19gebsrmvn_3xn_kernelILj128ELj4ELj64EdEEvi20rocsparse_direction_NS_24const_host_device_scalarIT2_EEPKiS6_PKS3_S8_S4_PS3_21rocsparse_index_base_b
		.amdhsa_group_segment_fixed_size 0
		.amdhsa_private_segment_fixed_size 0
		.amdhsa_kernarg_size 72
		.amdhsa_user_sgpr_count 6
		.amdhsa_user_sgpr_private_segment_buffer 1
		.amdhsa_user_sgpr_dispatch_ptr 0
		.amdhsa_user_sgpr_queue_ptr 0
		.amdhsa_user_sgpr_kernarg_segment_ptr 1
		.amdhsa_user_sgpr_dispatch_id 0
		.amdhsa_user_sgpr_flat_scratch_init 0
		.amdhsa_user_sgpr_private_segment_size 0
		.amdhsa_wavefront_size32 1
		.amdhsa_uses_dynamic_stack 0
		.amdhsa_system_sgpr_private_segment_wavefront_offset 0
		.amdhsa_system_sgpr_workgroup_id_x 1
		.amdhsa_system_sgpr_workgroup_id_y 0
		.amdhsa_system_sgpr_workgroup_id_z 0
		.amdhsa_system_sgpr_workgroup_info 0
		.amdhsa_system_vgpr_workitem_id 0
		.amdhsa_next_free_vgpr 50
		.amdhsa_next_free_sgpr 16
		.amdhsa_reserve_vcc 1
		.amdhsa_reserve_flat_scratch 0
		.amdhsa_float_round_mode_32 0
		.amdhsa_float_round_mode_16_64 0
		.amdhsa_float_denorm_mode_32 3
		.amdhsa_float_denorm_mode_16_64 3
		.amdhsa_dx10_clamp 1
		.amdhsa_ieee_mode 1
		.amdhsa_fp16_overflow 0
		.amdhsa_workgroup_processor_mode 1
		.amdhsa_memory_ordered 1
		.amdhsa_forward_progress 1
		.amdhsa_shared_vgpr_count 0
		.amdhsa_exception_fp_ieee_invalid_op 0
		.amdhsa_exception_fp_denorm_src 0
		.amdhsa_exception_fp_ieee_div_zero 0
		.amdhsa_exception_fp_ieee_overflow 0
		.amdhsa_exception_fp_ieee_underflow 0
		.amdhsa_exception_fp_ieee_inexact 0
		.amdhsa_exception_int_div_zero 0
	.end_amdhsa_kernel
	.section	.text._ZN9rocsparseL19gebsrmvn_3xn_kernelILj128ELj4ELj64EdEEvi20rocsparse_direction_NS_24const_host_device_scalarIT2_EEPKiS6_PKS3_S8_S4_PS3_21rocsparse_index_base_b,"axG",@progbits,_ZN9rocsparseL19gebsrmvn_3xn_kernelILj128ELj4ELj64EdEEvi20rocsparse_direction_NS_24const_host_device_scalarIT2_EEPKiS6_PKS3_S8_S4_PS3_21rocsparse_index_base_b,comdat
.Lfunc_end51:
	.size	_ZN9rocsparseL19gebsrmvn_3xn_kernelILj128ELj4ELj64EdEEvi20rocsparse_direction_NS_24const_host_device_scalarIT2_EEPKiS6_PKS3_S8_S4_PS3_21rocsparse_index_base_b, .Lfunc_end51-_ZN9rocsparseL19gebsrmvn_3xn_kernelILj128ELj4ELj64EdEEvi20rocsparse_direction_NS_24const_host_device_scalarIT2_EEPKiS6_PKS3_S8_S4_PS3_21rocsparse_index_base_b
                                        ; -- End function
	.set _ZN9rocsparseL19gebsrmvn_3xn_kernelILj128ELj4ELj64EdEEvi20rocsparse_direction_NS_24const_host_device_scalarIT2_EEPKiS6_PKS3_S8_S4_PS3_21rocsparse_index_base_b.num_vgpr, 50
	.set _ZN9rocsparseL19gebsrmvn_3xn_kernelILj128ELj4ELj64EdEEvi20rocsparse_direction_NS_24const_host_device_scalarIT2_EEPKiS6_PKS3_S8_S4_PS3_21rocsparse_index_base_b.num_agpr, 0
	.set _ZN9rocsparseL19gebsrmvn_3xn_kernelILj128ELj4ELj64EdEEvi20rocsparse_direction_NS_24const_host_device_scalarIT2_EEPKiS6_PKS3_S8_S4_PS3_21rocsparse_index_base_b.numbered_sgpr, 16
	.set _ZN9rocsparseL19gebsrmvn_3xn_kernelILj128ELj4ELj64EdEEvi20rocsparse_direction_NS_24const_host_device_scalarIT2_EEPKiS6_PKS3_S8_S4_PS3_21rocsparse_index_base_b.num_named_barrier, 0
	.set _ZN9rocsparseL19gebsrmvn_3xn_kernelILj128ELj4ELj64EdEEvi20rocsparse_direction_NS_24const_host_device_scalarIT2_EEPKiS6_PKS3_S8_S4_PS3_21rocsparse_index_base_b.private_seg_size, 0
	.set _ZN9rocsparseL19gebsrmvn_3xn_kernelILj128ELj4ELj64EdEEvi20rocsparse_direction_NS_24const_host_device_scalarIT2_EEPKiS6_PKS3_S8_S4_PS3_21rocsparse_index_base_b.uses_vcc, 1
	.set _ZN9rocsparseL19gebsrmvn_3xn_kernelILj128ELj4ELj64EdEEvi20rocsparse_direction_NS_24const_host_device_scalarIT2_EEPKiS6_PKS3_S8_S4_PS3_21rocsparse_index_base_b.uses_flat_scratch, 0
	.set _ZN9rocsparseL19gebsrmvn_3xn_kernelILj128ELj4ELj64EdEEvi20rocsparse_direction_NS_24const_host_device_scalarIT2_EEPKiS6_PKS3_S8_S4_PS3_21rocsparse_index_base_b.has_dyn_sized_stack, 0
	.set _ZN9rocsparseL19gebsrmvn_3xn_kernelILj128ELj4ELj64EdEEvi20rocsparse_direction_NS_24const_host_device_scalarIT2_EEPKiS6_PKS3_S8_S4_PS3_21rocsparse_index_base_b.has_recursion, 0
	.set _ZN9rocsparseL19gebsrmvn_3xn_kernelILj128ELj4ELj64EdEEvi20rocsparse_direction_NS_24const_host_device_scalarIT2_EEPKiS6_PKS3_S8_S4_PS3_21rocsparse_index_base_b.has_indirect_call, 0
	.section	.AMDGPU.csdata,"",@progbits
; Kernel info:
; codeLenInByte = 2504
; TotalNumSgprs: 18
; NumVgprs: 50
; ScratchSize: 0
; MemoryBound: 0
; FloatMode: 240
; IeeeMode: 1
; LDSByteSize: 0 bytes/workgroup (compile time only)
; SGPRBlocks: 0
; VGPRBlocks: 6
; NumSGPRsForWavesPerEU: 18
; NumVGPRsForWavesPerEU: 50
; Occupancy: 16
; WaveLimiterHint : 1
; COMPUTE_PGM_RSRC2:SCRATCH_EN: 0
; COMPUTE_PGM_RSRC2:USER_SGPR: 6
; COMPUTE_PGM_RSRC2:TRAP_HANDLER: 0
; COMPUTE_PGM_RSRC2:TGID_X_EN: 1
; COMPUTE_PGM_RSRC2:TGID_Y_EN: 0
; COMPUTE_PGM_RSRC2:TGID_Z_EN: 0
; COMPUTE_PGM_RSRC2:TIDIG_COMP_CNT: 0
	.section	.text._ZN9rocsparseL19gebsrmvn_3xn_kernelILj128ELj5ELj4EdEEvi20rocsparse_direction_NS_24const_host_device_scalarIT2_EEPKiS6_PKS3_S8_S4_PS3_21rocsparse_index_base_b,"axG",@progbits,_ZN9rocsparseL19gebsrmvn_3xn_kernelILj128ELj5ELj4EdEEvi20rocsparse_direction_NS_24const_host_device_scalarIT2_EEPKiS6_PKS3_S8_S4_PS3_21rocsparse_index_base_b,comdat
	.globl	_ZN9rocsparseL19gebsrmvn_3xn_kernelILj128ELj5ELj4EdEEvi20rocsparse_direction_NS_24const_host_device_scalarIT2_EEPKiS6_PKS3_S8_S4_PS3_21rocsparse_index_base_b ; -- Begin function _ZN9rocsparseL19gebsrmvn_3xn_kernelILj128ELj5ELj4EdEEvi20rocsparse_direction_NS_24const_host_device_scalarIT2_EEPKiS6_PKS3_S8_S4_PS3_21rocsparse_index_base_b
	.p2align	8
	.type	_ZN9rocsparseL19gebsrmvn_3xn_kernelILj128ELj5ELj4EdEEvi20rocsparse_direction_NS_24const_host_device_scalarIT2_EEPKiS6_PKS3_S8_S4_PS3_21rocsparse_index_base_b,@function
_ZN9rocsparseL19gebsrmvn_3xn_kernelILj128ELj5ELj4EdEEvi20rocsparse_direction_NS_24const_host_device_scalarIT2_EEPKiS6_PKS3_S8_S4_PS3_21rocsparse_index_base_b: ; @_ZN9rocsparseL19gebsrmvn_3xn_kernelILj128ELj5ELj4EdEEvi20rocsparse_direction_NS_24const_host_device_scalarIT2_EEPKiS6_PKS3_S8_S4_PS3_21rocsparse_index_base_b
; %bb.0:
	s_clause 0x2
	s_load_dwordx2 s[2:3], s[4:5], 0x40
	s_load_dwordx2 s[8:9], s[4:5], 0x8
	;; [unrolled: 1-line block ×3, first 2 shown]
	s_waitcnt lgkmcnt(0)
	s_bitcmp1_b32 s3, 0
	v_mov_b32_e32 v1, s8
	v_mov_b32_e32 v2, s9
	s_cselect_b32 s3, -1, 0
	s_and_b32 vcc_lo, exec_lo, s3
	s_xor_b32 s3, s3, -1
	s_cbranch_vccnz .LBB52_2
; %bb.1:
	v_mov_b32_e32 v1, s8
	v_mov_b32_e32 v2, s9
	flat_load_dwordx2 v[1:2], v[1:2]
.LBB52_2:
	v_mov_b32_e32 v4, s1
	v_mov_b32_e32 v3, s0
	s_andn2_b32 vcc_lo, exec_lo, s3
	s_cbranch_vccnz .LBB52_4
; %bb.3:
	v_mov_b32_e32 v4, s1
	v_mov_b32_e32 v3, s0
	flat_load_dwordx2 v[3:4], v[3:4]
.LBB52_4:
	s_waitcnt vmcnt(0) lgkmcnt(0)
	v_cmp_neq_f64_e32 vcc_lo, 0, v[1:2]
	v_cmp_neq_f64_e64 s0, 1.0, v[3:4]
	s_or_b32 s0, vcc_lo, s0
	s_and_saveexec_b32 s1, s0
	s_cbranch_execz .LBB52_23
; %bb.5:
	s_load_dwordx2 s[0:1], s[4:5], 0x0
	v_lshrrev_b32_e32 v5, 2, v0
	v_lshl_or_b32 v5, s6, 5, v5
	s_waitcnt lgkmcnt(0)
	v_cmp_gt_i32_e32 vcc_lo, s0, v5
	s_and_b32 exec_lo, exec_lo, vcc_lo
	s_cbranch_execz .LBB52_23
; %bb.6:
	s_load_dwordx8 s[8:15], s[4:5], 0x10
	v_ashrrev_i32_e32 v6, 31, v5
	v_and_b32_e32 v0, 3, v0
	s_cmp_lg_u32 s1, 0
	v_lshlrev_b64 v[6:7], 2, v[5:6]
	s_waitcnt lgkmcnt(0)
	v_add_co_u32 v6, vcc_lo, s8, v6
	v_add_co_ci_u32_e64 v7, null, s9, v7, vcc_lo
	global_load_dwordx2 v[6:7], v[6:7], off
	s_waitcnt vmcnt(0)
	v_subrev_nc_u32_e32 v6, s2, v6
	v_subrev_nc_u32_e32 v20, s2, v7
	v_add_nc_u32_e32 v8, v6, v0
	v_cmp_lt_i32_e64 s0, v8, v20
	s_cbranch_scc0 .LBB52_12
; %bb.7:
	v_mov_b32_e32 v6, 0
	v_mov_b32_e32 v10, 0
	;; [unrolled: 1-line block ×6, first 2 shown]
	s_and_saveexec_b32 s1, s0
	s_cbranch_execz .LBB52_11
; %bb.8:
	v_mad_u64_u32 v[14:15], null, v8, 15, 14
	v_mov_b32_e32 v6, 0
	v_mov_b32_e32 v10, 0
	;; [unrolled: 1-line block ×8, first 2 shown]
	s_mov_b32 s3, 0
.LBB52_9:                               ; =>This Inner Loop Header: Depth=1
	v_ashrrev_i32_e32 v19, 31, v18
	v_mov_b32_e32 v22, v17
	v_lshlrev_b64 v[15:16], 2, v[18:19]
	v_add_nc_u32_e32 v18, 4, v18
	v_add_co_u32 v15, vcc_lo, s10, v15
	v_add_co_ci_u32_e64 v16, null, s11, v16, vcc_lo
	global_load_dword v9, v[15:16], off
	v_add_nc_u32_e32 v16, -14, v14
	v_mov_b32_e32 v15, v17
	v_lshlrev_b64 v[23:24], 3, v[16:17]
	v_add_nc_u32_e32 v16, -13, v14
	v_lshlrev_b64 v[25:26], 3, v[14:15]
	v_lshlrev_b64 v[27:28], 3, v[16:17]
	v_add_nc_u32_e32 v16, -12, v14
	v_add_co_u32 v23, vcc_lo, s12, v23
	v_add_co_ci_u32_e64 v24, null, s13, v24, vcc_lo
	v_lshlrev_b64 v[29:30], 3, v[16:17]
	v_add_nc_u32_e32 v16, -11, v14
	v_add_co_u32 v25, vcc_lo, s12, v25
	v_add_co_ci_u32_e64 v26, null, s13, v26, vcc_lo
	v_lshlrev_b64 v[15:16], 3, v[16:17]
	v_add_co_u32 v27, vcc_lo, s12, v27
	v_add_co_ci_u32_e64 v28, null, s13, v28, vcc_lo
	v_add_co_u32 v29, vcc_lo, s12, v29
	v_add_co_ci_u32_e64 v30, null, s13, v30, vcc_lo
	;; [unrolled: 2-line block ×3, first 2 shown]
	s_clause 0x3
	global_load_dwordx2 v[23:24], v[23:24], off
	global_load_dwordx2 v[27:28], v[27:28], off
	;; [unrolled: 1-line block ×4, first 2 shown]
	s_waitcnt vmcnt(4)
	v_subrev_nc_u32_e32 v9, s2, v9
	v_lshl_add_u32 v21, v9, 2, v9
	v_lshlrev_b64 v[33:34], 3, v[21:22]
	v_add_nc_u32_e32 v16, 1, v21
	v_lshlrev_b64 v[35:36], 3, v[16:17]
	v_add_co_u32 v33, vcc_lo, s14, v33
	v_add_co_ci_u32_e64 v34, null, s15, v34, vcc_lo
	v_add_nc_u32_e32 v16, -10, v14
	v_add_co_u32 v35, vcc_lo, s14, v35
	global_load_dwordx2 v[33:34], v[33:34], off
	v_add_co_ci_u32_e64 v36, null, s15, v36, vcc_lo
	v_lshlrev_b64 v[37:38], 3, v[16:17]
	v_add_nc_u32_e32 v16, -9, v14
	global_load_dwordx2 v[35:36], v[35:36], off
	v_lshlrev_b64 v[39:40], 3, v[16:17]
	v_add_nc_u32_e32 v16, -8, v14
	v_add_co_u32 v37, vcc_lo, s12, v37
	v_add_co_ci_u32_e64 v38, null, s13, v38, vcc_lo
	v_add_co_u32 v39, vcc_lo, s12, v39
	v_lshlrev_b64 v[41:42], 3, v[16:17]
	v_add_nc_u32_e32 v16, 2, v21
	v_add_co_ci_u32_e64 v40, null, s13, v40, vcc_lo
	global_load_dwordx2 v[37:38], v[37:38], off
	v_lshlrev_b64 v[43:44], 3, v[16:17]
	v_add_nc_u32_e32 v16, -7, v14
	global_load_dwordx2 v[39:40], v[39:40], off
	v_add_co_u32 v41, vcc_lo, s12, v41
	v_add_co_ci_u32_e64 v42, null, s13, v42, vcc_lo
	v_lshlrev_b64 v[45:46], 3, v[16:17]
	v_add_nc_u32_e32 v16, -6, v14
	v_add_co_u32 v43, vcc_lo, s14, v43
	v_add_co_ci_u32_e64 v44, null, s15, v44, vcc_lo
	v_lshlrev_b64 v[47:48], 3, v[16:17]
	v_add_nc_u32_e32 v16, -5, v14
	v_add_co_u32 v45, vcc_lo, s12, v45
	v_add_co_ci_u32_e64 v46, null, s13, v46, vcc_lo
	v_add_co_u32 v47, vcc_lo, s12, v47
	v_lshlrev_b64 v[49:50], 3, v[16:17]
	v_add_nc_u32_e32 v16, 3, v21
	v_add_co_ci_u32_e64 v48, null, s13, v48, vcc_lo
	global_load_dwordx2 v[41:42], v[41:42], off
	global_load_dwordx2 v[43:44], v[43:44], off
	s_clause 0x1
	global_load_dwordx2 v[45:46], v[45:46], off
	global_load_dwordx2 v[47:48], v[47:48], off
	v_lshlrev_b64 v[51:52], 3, v[16:17]
	v_add_nc_u32_e32 v16, -4, v14
	v_add_co_u32 v49, vcc_lo, s12, v49
	v_add_co_ci_u32_e64 v50, null, s13, v50, vcc_lo
	v_lshlrev_b64 v[53:54], 3, v[16:17]
	v_add_nc_u32_e32 v16, -3, v14
	v_add_co_u32 v51, vcc_lo, s14, v51
	v_add_co_ci_u32_e64 v52, null, s15, v52, vcc_lo
	;; [unrolled: 4-line block ×3, first 2 shown]
	v_add_co_u32 v15, vcc_lo, s12, v55
	v_lshlrev_b64 v[57:58], 3, v[16:17]
	v_add_co_ci_u32_e64 v16, null, s13, v56, vcc_lo
	global_load_dwordx2 v[49:50], v[49:50], off
	global_load_dwordx2 v[51:52], v[51:52], off
	s_clause 0x1
	global_load_dwordx2 v[53:54], v[53:54], off
	global_load_dwordx2 v[55:56], v[15:16], off
	v_add_nc_u32_e32 v16, 4, v21
	v_add_co_u32 v57, vcc_lo, s12, v57
	v_add_co_ci_u32_e64 v58, null, s13, v58, vcc_lo
	v_lshlrev_b64 v[21:22], 3, v[16:17]
	v_add_nc_u32_e32 v16, -1, v14
	v_add_nc_u32_e32 v14, 60, v14
	v_lshlrev_b64 v[15:16], 3, v[16:17]
	v_add_co_u32 v21, vcc_lo, s14, v21
	v_add_co_ci_u32_e64 v22, null, s15, v22, vcc_lo
	v_add_co_u32 v15, vcc_lo, s12, v15
	v_add_co_ci_u32_e64 v16, null, s13, v16, vcc_lo
	global_load_dwordx2 v[57:58], v[57:58], off
	global_load_dwordx2 v[21:22], v[21:22], off
	s_clause 0x1
	global_load_dwordx2 v[15:16], v[15:16], off
	global_load_dwordx2 v[25:26], v[25:26], off
	v_cmp_ge_i32_e32 vcc_lo, v18, v20
	s_or_b32 s3, vcc_lo, s3
	s_waitcnt vmcnt(15)
	v_fma_f64 v[6:7], v[23:24], v[33:34], v[6:7]
	v_fma_f64 v[12:13], v[27:28], v[33:34], v[12:13]
	;; [unrolled: 1-line block ×3, first 2 shown]
	s_waitcnt vmcnt(14)
	v_fma_f64 v[6:7], v[31:32], v[35:36], v[6:7]
	s_waitcnt vmcnt(13)
	v_fma_f64 v[11:12], v[37:38], v[35:36], v[12:13]
	;; [unrolled: 2-line block ×12, first 2 shown]
	s_andn2_b32 exec_lo, exec_lo, s3
	s_cbranch_execnz .LBB52_9
; %bb.10:
	s_or_b32 exec_lo, exec_lo, s3
.LBB52_11:
	s_or_b32 exec_lo, exec_lo, s1
	s_cbranch_execz .LBB52_13
	s_branch .LBB52_18
.LBB52_12:
                                        ; implicit-def: $vgpr6_vgpr7
                                        ; implicit-def: $vgpr10_vgpr11
                                        ; implicit-def: $vgpr12_vgpr13
.LBB52_13:
	v_mov_b32_e32 v6, 0
	v_mov_b32_e32 v10, 0
	;; [unrolled: 1-line block ×6, first 2 shown]
	s_and_saveexec_b32 s1, s0
	s_cbranch_execz .LBB52_17
; %bb.14:
	v_mad_u64_u32 v[14:15], null, v8, 15, 14
	v_mov_b32_e32 v6, 0
	v_mov_b32_e32 v10, 0
	;; [unrolled: 1-line block ×7, first 2 shown]
	s_mov_b32 s0, 0
.LBB52_15:                              ; =>This Inner Loop Header: Depth=1
	v_ashrrev_i32_e32 v9, 31, v8
	v_add_nc_u32_e32 v18, -9, v14
	v_mov_b32_e32 v19, v17
	v_add_nc_u32_e32 v21, -4, v14
	v_mov_b32_e32 v22, v17
	v_lshlrev_b64 v[15:16], 2, v[8:9]
	v_mov_b32_e32 v23, v17
	v_lshlrev_b64 v[18:19], 3, v[18:19]
	v_add_nc_u32_e32 v8, 4, v8
	v_lshlrev_b64 v[21:22], 3, v[21:22]
	v_add_co_u32 v15, vcc_lo, s10, v15
	v_add_co_ci_u32_e64 v16, null, s11, v16, vcc_lo
	global_load_dword v9, v[15:16], off
	v_add_nc_u32_e32 v16, -14, v14
	v_mov_b32_e32 v15, v17
	v_lshlrev_b64 v[24:25], 3, v[16:17]
	v_add_nc_u32_e32 v16, -13, v14
	v_lshlrev_b64 v[26:27], 3, v[14:15]
	v_lshlrev_b64 v[15:16], 3, v[16:17]
	v_add_co_u32 v24, vcc_lo, s12, v24
	v_add_co_ci_u32_e64 v25, null, s13, v25, vcc_lo
	v_add_co_u32 v18, vcc_lo, s12, v18
	v_add_co_ci_u32_e64 v19, null, s13, v19, vcc_lo
	;; [unrolled: 2-line block ×5, first 2 shown]
	s_clause 0x3
	global_load_dwordx2 v[24:25], v[24:25], off
	global_load_dwordx2 v[18:19], v[18:19], off
	;; [unrolled: 1-line block ×4, first 2 shown]
	s_waitcnt vmcnt(4)
	v_subrev_nc_u32_e32 v9, s2, v9
	v_lshl_add_u32 v22, v9, 2, v9
	v_lshlrev_b64 v[32:33], 3, v[22:23]
	v_add_nc_u32_e32 v16, 1, v22
	v_lshlrev_b64 v[34:35], 3, v[16:17]
	v_add_co_u32 v32, vcc_lo, s14, v32
	v_add_co_ci_u32_e64 v33, null, s15, v33, vcc_lo
	v_add_nc_u32_e32 v16, -8, v14
	v_add_co_u32 v34, vcc_lo, s14, v34
	global_load_dwordx2 v[32:33], v[32:33], off
	v_add_co_ci_u32_e64 v35, null, s15, v35, vcc_lo
	v_lshlrev_b64 v[36:37], 3, v[16:17]
	v_add_nc_u32_e32 v16, -3, v14
	global_load_dwordx2 v[34:35], v[34:35], off
	v_lshlrev_b64 v[38:39], 3, v[16:17]
	v_add_nc_u32_e32 v16, -12, v14
	v_add_co_u32 v36, vcc_lo, s12, v36
	v_add_co_ci_u32_e64 v37, null, s13, v37, vcc_lo
	v_add_co_u32 v38, vcc_lo, s12, v38
	v_lshlrev_b64 v[40:41], 3, v[16:17]
	v_add_nc_u32_e32 v16, 2, v22
	v_add_co_ci_u32_e64 v39, null, s13, v39, vcc_lo
	global_load_dwordx2 v[36:37], v[36:37], off
	v_lshlrev_b64 v[42:43], 3, v[16:17]
	v_add_nc_u32_e32 v16, -7, v14
	global_load_dwordx2 v[38:39], v[38:39], off
	v_add_co_u32 v40, vcc_lo, s12, v40
	v_add_co_ci_u32_e64 v41, null, s13, v41, vcc_lo
	v_lshlrev_b64 v[44:45], 3, v[16:17]
	v_add_nc_u32_e32 v16, -2, v14
	v_add_co_u32 v42, vcc_lo, s14, v42
	v_add_co_ci_u32_e64 v43, null, s15, v43, vcc_lo
	v_lshlrev_b64 v[46:47], 3, v[16:17]
	v_add_nc_u32_e32 v16, -11, v14
	v_add_co_u32 v44, vcc_lo, s12, v44
	v_add_co_ci_u32_e64 v45, null, s13, v45, vcc_lo
	v_add_co_u32 v46, vcc_lo, s12, v46
	v_lshlrev_b64 v[48:49], 3, v[16:17]
	v_add_nc_u32_e32 v16, 3, v22
	v_add_co_ci_u32_e64 v47, null, s13, v47, vcc_lo
	global_load_dwordx2 v[40:41], v[40:41], off
	global_load_dwordx2 v[42:43], v[42:43], off
	s_clause 0x1
	global_load_dwordx2 v[44:45], v[44:45], off
	global_load_dwordx2 v[46:47], v[46:47], off
	v_lshlrev_b64 v[50:51], 3, v[16:17]
	v_add_nc_u32_e32 v16, -6, v14
	v_add_co_u32 v48, vcc_lo, s12, v48
	v_add_co_ci_u32_e64 v49, null, s13, v49, vcc_lo
	v_lshlrev_b64 v[52:53], 3, v[16:17]
	v_add_nc_u32_e32 v16, -1, v14
	v_add_co_u32 v50, vcc_lo, s14, v50
	v_add_co_ci_u32_e64 v51, null, s15, v51, vcc_lo
	;; [unrolled: 4-line block ×3, first 2 shown]
	v_add_co_u32 v15, vcc_lo, s12, v54
	v_lshlrev_b64 v[56:57], 3, v[16:17]
	v_add_co_ci_u32_e64 v16, null, s13, v55, vcc_lo
	global_load_dwordx2 v[48:49], v[48:49], off
	global_load_dwordx2 v[50:51], v[50:51], off
	s_clause 0x1
	global_load_dwordx2 v[52:53], v[52:53], off
	global_load_dwordx2 v[54:55], v[15:16], off
	v_add_nc_u32_e32 v16, 4, v22
	v_add_co_u32 v56, vcc_lo, s12, v56
	v_add_co_ci_u32_e64 v57, null, s13, v57, vcc_lo
	v_lshlrev_b64 v[21:22], 3, v[16:17]
	v_add_nc_u32_e32 v16, -5, v14
	v_add_nc_u32_e32 v14, 60, v14
	v_lshlrev_b64 v[15:16], 3, v[16:17]
	v_add_co_u32 v21, vcc_lo, s14, v21
	v_add_co_ci_u32_e64 v22, null, s15, v22, vcc_lo
	v_add_co_u32 v15, vcc_lo, s12, v15
	v_add_co_ci_u32_e64 v16, null, s13, v16, vcc_lo
	global_load_dwordx2 v[56:57], v[56:57], off
	global_load_dwordx2 v[21:22], v[21:22], off
	s_clause 0x1
	global_load_dwordx2 v[15:16], v[15:16], off
	global_load_dwordx2 v[26:27], v[26:27], off
	v_cmp_ge_i32_e32 vcc_lo, v8, v20
	s_or_b32 s0, vcc_lo, s0
	s_waitcnt vmcnt(15)
	v_fma_f64 v[6:7], v[24:25], v[32:33], v[6:7]
	v_fma_f64 v[12:13], v[18:19], v[32:33], v[12:13]
	;; [unrolled: 1-line block ×3, first 2 shown]
	s_waitcnt vmcnt(14)
	v_fma_f64 v[6:7], v[30:31], v[34:35], v[6:7]
	s_waitcnt vmcnt(13)
	v_fma_f64 v[11:12], v[36:37], v[34:35], v[12:13]
	;; [unrolled: 2-line block ×12, first 2 shown]
	s_andn2_b32 exec_lo, exec_lo, s0
	s_cbranch_execnz .LBB52_15
; %bb.16:
	s_or_b32 exec_lo, exec_lo, s0
.LBB52_17:
	s_or_b32 exec_lo, exec_lo, s1
.LBB52_18:
	v_mbcnt_lo_u32_b32 v18, -1, 0
	v_xor_b32_e32 v8, 2, v18
	v_cmp_gt_i32_e32 vcc_lo, 32, v8
	v_cndmask_b32_e32 v8, v18, v8, vcc_lo
	v_lshlrev_b32_e32 v17, 2, v8
	ds_bpermute_b32 v8, v17, v6
	ds_bpermute_b32 v9, v17, v7
	;; [unrolled: 1-line block ×6, first 2 shown]
	s_waitcnt lgkmcnt(4)
	v_add_f64 v[8:9], v[6:7], v[8:9]
	s_waitcnt lgkmcnt(2)
	v_add_f64 v[6:7], v[12:13], v[14:15]
	;; [unrolled: 2-line block ×3, first 2 shown]
	v_xor_b32_e32 v10, 1, v18
	v_cmp_gt_i32_e32 vcc_lo, 32, v10
	v_cndmask_b32_e32 v10, v18, v10, vcc_lo
	v_cmp_eq_u32_e32 vcc_lo, 3, v0
	v_lshlrev_b32_e32 v15, 2, v10
	ds_bpermute_b32 v10, v15, v8
	ds_bpermute_b32 v11, v15, v9
	;; [unrolled: 1-line block ×6, first 2 shown]
	s_and_b32 exec_lo, exec_lo, vcc_lo
	s_cbranch_execz .LBB52_23
; %bb.19:
	s_waitcnt lgkmcnt(4)
	v_add_f64 v[10:11], v[8:9], v[10:11]
	s_waitcnt lgkmcnt(2)
	v_add_f64 v[8:9], v[6:7], v[16:17]
	;; [unrolled: 2-line block ×3, first 2 shown]
	s_load_dwordx2 s[0:1], s[4:5], 0x38
	s_mov_b32 s2, exec_lo
	v_cmpx_eq_f64_e32 0, v[3:4]
	s_xor_b32 s2, exec_lo, s2
	s_cbranch_execz .LBB52_21
; %bb.20:
	v_lshl_add_u32 v0, v5, 1, v5
	v_mul_f64 v[10:11], v[1:2], v[10:11]
	v_mul_f64 v[12:13], v[1:2], v[8:9]
	;; [unrolled: 1-line block ×3, first 2 shown]
                                        ; implicit-def: $vgpr5
                                        ; implicit-def: $vgpr8_vgpr9
                                        ; implicit-def: $vgpr6_vgpr7
	v_ashrrev_i32_e32 v1, 31, v0
	v_lshlrev_b64 v[0:1], 3, v[0:1]
	s_waitcnt lgkmcnt(0)
	v_add_co_u32 v0, vcc_lo, s0, v0
	v_add_co_ci_u32_e64 v1, null, s1, v1, vcc_lo
	global_store_dwordx4 v[0:1], v[10:13], off
	global_store_dwordx2 v[0:1], v[2:3], off offset:16
                                        ; implicit-def: $vgpr1_vgpr2
                                        ; implicit-def: $vgpr10_vgpr11
                                        ; implicit-def: $vgpr3_vgpr4
.LBB52_21:
	s_andn2_saveexec_b32 s2, s2
	s_cbranch_execz .LBB52_23
; %bb.22:
	v_lshl_add_u32 v12, v5, 1, v5
	v_mul_f64 v[10:11], v[1:2], v[10:11]
	v_mul_f64 v[8:9], v[1:2], v[8:9]
	;; [unrolled: 1-line block ×3, first 2 shown]
	v_ashrrev_i32_e32 v13, 31, v12
	v_lshlrev_b64 v[12:13], 3, v[12:13]
	s_waitcnt lgkmcnt(0)
	v_add_co_u32 v16, vcc_lo, s0, v12
	v_add_co_ci_u32_e64 v17, null, s1, v13, vcc_lo
	s_clause 0x1
	global_load_dwordx4 v[12:15], v[16:17], off
	global_load_dwordx2 v[18:19], v[16:17], off offset:16
	s_waitcnt vmcnt(1)
	v_fma_f64 v[5:6], v[3:4], v[12:13], v[10:11]
	v_fma_f64 v[7:8], v[3:4], v[14:15], v[8:9]
	s_waitcnt vmcnt(0)
	v_fma_f64 v[0:1], v[3:4], v[18:19], v[0:1]
	global_store_dwordx4 v[16:17], v[5:8], off
	global_store_dwordx2 v[16:17], v[0:1], off offset:16
.LBB52_23:
	s_endpgm
	.section	.rodata,"a",@progbits
	.p2align	6, 0x0
	.amdhsa_kernel _ZN9rocsparseL19gebsrmvn_3xn_kernelILj128ELj5ELj4EdEEvi20rocsparse_direction_NS_24const_host_device_scalarIT2_EEPKiS6_PKS3_S8_S4_PS3_21rocsparse_index_base_b
		.amdhsa_group_segment_fixed_size 0
		.amdhsa_private_segment_fixed_size 0
		.amdhsa_kernarg_size 72
		.amdhsa_user_sgpr_count 6
		.amdhsa_user_sgpr_private_segment_buffer 1
		.amdhsa_user_sgpr_dispatch_ptr 0
		.amdhsa_user_sgpr_queue_ptr 0
		.amdhsa_user_sgpr_kernarg_segment_ptr 1
		.amdhsa_user_sgpr_dispatch_id 0
		.amdhsa_user_sgpr_flat_scratch_init 0
		.amdhsa_user_sgpr_private_segment_size 0
		.amdhsa_wavefront_size32 1
		.amdhsa_uses_dynamic_stack 0
		.amdhsa_system_sgpr_private_segment_wavefront_offset 0
		.amdhsa_system_sgpr_workgroup_id_x 1
		.amdhsa_system_sgpr_workgroup_id_y 0
		.amdhsa_system_sgpr_workgroup_id_z 0
		.amdhsa_system_sgpr_workgroup_info 0
		.amdhsa_system_vgpr_workitem_id 0
		.amdhsa_next_free_vgpr 59
		.amdhsa_next_free_sgpr 16
		.amdhsa_reserve_vcc 1
		.amdhsa_reserve_flat_scratch 0
		.amdhsa_float_round_mode_32 0
		.amdhsa_float_round_mode_16_64 0
		.amdhsa_float_denorm_mode_32 3
		.amdhsa_float_denorm_mode_16_64 3
		.amdhsa_dx10_clamp 1
		.amdhsa_ieee_mode 1
		.amdhsa_fp16_overflow 0
		.amdhsa_workgroup_processor_mode 1
		.amdhsa_memory_ordered 1
		.amdhsa_forward_progress 1
		.amdhsa_shared_vgpr_count 0
		.amdhsa_exception_fp_ieee_invalid_op 0
		.amdhsa_exception_fp_denorm_src 0
		.amdhsa_exception_fp_ieee_div_zero 0
		.amdhsa_exception_fp_ieee_overflow 0
		.amdhsa_exception_fp_ieee_underflow 0
		.amdhsa_exception_fp_ieee_inexact 0
		.amdhsa_exception_int_div_zero 0
	.end_amdhsa_kernel
	.section	.text._ZN9rocsparseL19gebsrmvn_3xn_kernelILj128ELj5ELj4EdEEvi20rocsparse_direction_NS_24const_host_device_scalarIT2_EEPKiS6_PKS3_S8_S4_PS3_21rocsparse_index_base_b,"axG",@progbits,_ZN9rocsparseL19gebsrmvn_3xn_kernelILj128ELj5ELj4EdEEvi20rocsparse_direction_NS_24const_host_device_scalarIT2_EEPKiS6_PKS3_S8_S4_PS3_21rocsparse_index_base_b,comdat
.Lfunc_end52:
	.size	_ZN9rocsparseL19gebsrmvn_3xn_kernelILj128ELj5ELj4EdEEvi20rocsparse_direction_NS_24const_host_device_scalarIT2_EEPKiS6_PKS3_S8_S4_PS3_21rocsparse_index_base_b, .Lfunc_end52-_ZN9rocsparseL19gebsrmvn_3xn_kernelILj128ELj5ELj4EdEEvi20rocsparse_direction_NS_24const_host_device_scalarIT2_EEPKiS6_PKS3_S8_S4_PS3_21rocsparse_index_base_b
                                        ; -- End function
	.set _ZN9rocsparseL19gebsrmvn_3xn_kernelILj128ELj5ELj4EdEEvi20rocsparse_direction_NS_24const_host_device_scalarIT2_EEPKiS6_PKS3_S8_S4_PS3_21rocsparse_index_base_b.num_vgpr, 59
	.set _ZN9rocsparseL19gebsrmvn_3xn_kernelILj128ELj5ELj4EdEEvi20rocsparse_direction_NS_24const_host_device_scalarIT2_EEPKiS6_PKS3_S8_S4_PS3_21rocsparse_index_base_b.num_agpr, 0
	.set _ZN9rocsparseL19gebsrmvn_3xn_kernelILj128ELj5ELj4EdEEvi20rocsparse_direction_NS_24const_host_device_scalarIT2_EEPKiS6_PKS3_S8_S4_PS3_21rocsparse_index_base_b.numbered_sgpr, 16
	.set _ZN9rocsparseL19gebsrmvn_3xn_kernelILj128ELj5ELj4EdEEvi20rocsparse_direction_NS_24const_host_device_scalarIT2_EEPKiS6_PKS3_S8_S4_PS3_21rocsparse_index_base_b.num_named_barrier, 0
	.set _ZN9rocsparseL19gebsrmvn_3xn_kernelILj128ELj5ELj4EdEEvi20rocsparse_direction_NS_24const_host_device_scalarIT2_EEPKiS6_PKS3_S8_S4_PS3_21rocsparse_index_base_b.private_seg_size, 0
	.set _ZN9rocsparseL19gebsrmvn_3xn_kernelILj128ELj5ELj4EdEEvi20rocsparse_direction_NS_24const_host_device_scalarIT2_EEPKiS6_PKS3_S8_S4_PS3_21rocsparse_index_base_b.uses_vcc, 1
	.set _ZN9rocsparseL19gebsrmvn_3xn_kernelILj128ELj5ELj4EdEEvi20rocsparse_direction_NS_24const_host_device_scalarIT2_EEPKiS6_PKS3_S8_S4_PS3_21rocsparse_index_base_b.uses_flat_scratch, 0
	.set _ZN9rocsparseL19gebsrmvn_3xn_kernelILj128ELj5ELj4EdEEvi20rocsparse_direction_NS_24const_host_device_scalarIT2_EEPKiS6_PKS3_S8_S4_PS3_21rocsparse_index_base_b.has_dyn_sized_stack, 0
	.set _ZN9rocsparseL19gebsrmvn_3xn_kernelILj128ELj5ELj4EdEEvi20rocsparse_direction_NS_24const_host_device_scalarIT2_EEPKiS6_PKS3_S8_S4_PS3_21rocsparse_index_base_b.has_recursion, 0
	.set _ZN9rocsparseL19gebsrmvn_3xn_kernelILj128ELj5ELj4EdEEvi20rocsparse_direction_NS_24const_host_device_scalarIT2_EEPKiS6_PKS3_S8_S4_PS3_21rocsparse_index_base_b.has_indirect_call, 0
	.section	.AMDGPU.csdata,"",@progbits
; Kernel info:
; codeLenInByte = 2872
; TotalNumSgprs: 18
; NumVgprs: 59
; ScratchSize: 0
; MemoryBound: 0
; FloatMode: 240
; IeeeMode: 1
; LDSByteSize: 0 bytes/workgroup (compile time only)
; SGPRBlocks: 0
; VGPRBlocks: 7
; NumSGPRsForWavesPerEU: 18
; NumVGPRsForWavesPerEU: 59
; Occupancy: 16
; WaveLimiterHint : 1
; COMPUTE_PGM_RSRC2:SCRATCH_EN: 0
; COMPUTE_PGM_RSRC2:USER_SGPR: 6
; COMPUTE_PGM_RSRC2:TRAP_HANDLER: 0
; COMPUTE_PGM_RSRC2:TGID_X_EN: 1
; COMPUTE_PGM_RSRC2:TGID_Y_EN: 0
; COMPUTE_PGM_RSRC2:TGID_Z_EN: 0
; COMPUTE_PGM_RSRC2:TIDIG_COMP_CNT: 0
	.section	.text._ZN9rocsparseL19gebsrmvn_3xn_kernelILj128ELj5ELj8EdEEvi20rocsparse_direction_NS_24const_host_device_scalarIT2_EEPKiS6_PKS3_S8_S4_PS3_21rocsparse_index_base_b,"axG",@progbits,_ZN9rocsparseL19gebsrmvn_3xn_kernelILj128ELj5ELj8EdEEvi20rocsparse_direction_NS_24const_host_device_scalarIT2_EEPKiS6_PKS3_S8_S4_PS3_21rocsparse_index_base_b,comdat
	.globl	_ZN9rocsparseL19gebsrmvn_3xn_kernelILj128ELj5ELj8EdEEvi20rocsparse_direction_NS_24const_host_device_scalarIT2_EEPKiS6_PKS3_S8_S4_PS3_21rocsparse_index_base_b ; -- Begin function _ZN9rocsparseL19gebsrmvn_3xn_kernelILj128ELj5ELj8EdEEvi20rocsparse_direction_NS_24const_host_device_scalarIT2_EEPKiS6_PKS3_S8_S4_PS3_21rocsparse_index_base_b
	.p2align	8
	.type	_ZN9rocsparseL19gebsrmvn_3xn_kernelILj128ELj5ELj8EdEEvi20rocsparse_direction_NS_24const_host_device_scalarIT2_EEPKiS6_PKS3_S8_S4_PS3_21rocsparse_index_base_b,@function
_ZN9rocsparseL19gebsrmvn_3xn_kernelILj128ELj5ELj8EdEEvi20rocsparse_direction_NS_24const_host_device_scalarIT2_EEPKiS6_PKS3_S8_S4_PS3_21rocsparse_index_base_b: ; @_ZN9rocsparseL19gebsrmvn_3xn_kernelILj128ELj5ELj8EdEEvi20rocsparse_direction_NS_24const_host_device_scalarIT2_EEPKiS6_PKS3_S8_S4_PS3_21rocsparse_index_base_b
; %bb.0:
	s_clause 0x2
	s_load_dwordx2 s[2:3], s[4:5], 0x40
	s_load_dwordx2 s[8:9], s[4:5], 0x8
	;; [unrolled: 1-line block ×3, first 2 shown]
	s_waitcnt lgkmcnt(0)
	s_bitcmp1_b32 s3, 0
	v_mov_b32_e32 v1, s8
	v_mov_b32_e32 v2, s9
	s_cselect_b32 s3, -1, 0
	s_and_b32 vcc_lo, exec_lo, s3
	s_xor_b32 s3, s3, -1
	s_cbranch_vccnz .LBB53_2
; %bb.1:
	v_mov_b32_e32 v1, s8
	v_mov_b32_e32 v2, s9
	flat_load_dwordx2 v[1:2], v[1:2]
.LBB53_2:
	v_mov_b32_e32 v4, s1
	v_mov_b32_e32 v3, s0
	s_andn2_b32 vcc_lo, exec_lo, s3
	s_cbranch_vccnz .LBB53_4
; %bb.3:
	v_mov_b32_e32 v4, s1
	v_mov_b32_e32 v3, s0
	flat_load_dwordx2 v[3:4], v[3:4]
.LBB53_4:
	s_waitcnt vmcnt(0) lgkmcnt(0)
	v_cmp_neq_f64_e32 vcc_lo, 0, v[1:2]
	v_cmp_neq_f64_e64 s0, 1.0, v[3:4]
	s_or_b32 s0, vcc_lo, s0
	s_and_saveexec_b32 s1, s0
	s_cbranch_execz .LBB53_23
; %bb.5:
	s_load_dwordx2 s[0:1], s[4:5], 0x0
	v_lshrrev_b32_e32 v5, 3, v0
	v_lshl_or_b32 v5, s6, 4, v5
	s_waitcnt lgkmcnt(0)
	v_cmp_gt_i32_e32 vcc_lo, s0, v5
	s_and_b32 exec_lo, exec_lo, vcc_lo
	s_cbranch_execz .LBB53_23
; %bb.6:
	s_load_dwordx8 s[8:15], s[4:5], 0x10
	v_ashrrev_i32_e32 v6, 31, v5
	v_and_b32_e32 v0, 7, v0
	s_cmp_lg_u32 s1, 0
	v_lshlrev_b64 v[6:7], 2, v[5:6]
	s_waitcnt lgkmcnt(0)
	v_add_co_u32 v6, vcc_lo, s8, v6
	v_add_co_ci_u32_e64 v7, null, s9, v7, vcc_lo
	global_load_dwordx2 v[6:7], v[6:7], off
	s_waitcnt vmcnt(0)
	v_subrev_nc_u32_e32 v6, s2, v6
	v_subrev_nc_u32_e32 v20, s2, v7
	v_add_nc_u32_e32 v10, v6, v0
	v_cmp_lt_i32_e64 s0, v10, v20
	s_cbranch_scc0 .LBB53_12
; %bb.7:
	v_mov_b32_e32 v6, 0
	v_mov_b32_e32 v8, 0
	;; [unrolled: 1-line block ×6, first 2 shown]
	s_and_saveexec_b32 s1, s0
	s_cbranch_execz .LBB53_11
; %bb.8:
	v_mad_u64_u32 v[14:15], null, v10, 15, 14
	v_mov_b32_e32 v6, 0
	v_mov_b32_e32 v8, 0
	;; [unrolled: 1-line block ×8, first 2 shown]
	s_mov_b32 s3, 0
.LBB53_9:                               ; =>This Inner Loop Header: Depth=1
	v_ashrrev_i32_e32 v19, 31, v18
	v_mov_b32_e32 v22, v17
	v_lshlrev_b64 v[15:16], 2, v[18:19]
	v_add_nc_u32_e32 v18, 8, v18
	v_add_co_u32 v15, vcc_lo, s10, v15
	v_add_co_ci_u32_e64 v16, null, s11, v16, vcc_lo
	global_load_dword v11, v[15:16], off
	v_add_nc_u32_e32 v16, -14, v14
	v_mov_b32_e32 v15, v17
	v_lshlrev_b64 v[23:24], 3, v[16:17]
	v_add_nc_u32_e32 v16, -13, v14
	v_lshlrev_b64 v[25:26], 3, v[14:15]
	v_lshlrev_b64 v[27:28], 3, v[16:17]
	v_add_nc_u32_e32 v16, -12, v14
	v_add_co_u32 v23, vcc_lo, s12, v23
	v_add_co_ci_u32_e64 v24, null, s13, v24, vcc_lo
	v_lshlrev_b64 v[29:30], 3, v[16:17]
	v_add_nc_u32_e32 v16, -11, v14
	v_add_co_u32 v25, vcc_lo, s12, v25
	v_add_co_ci_u32_e64 v26, null, s13, v26, vcc_lo
	v_lshlrev_b64 v[15:16], 3, v[16:17]
	v_add_co_u32 v27, vcc_lo, s12, v27
	v_add_co_ci_u32_e64 v28, null, s13, v28, vcc_lo
	v_add_co_u32 v29, vcc_lo, s12, v29
	v_add_co_ci_u32_e64 v30, null, s13, v30, vcc_lo
	;; [unrolled: 2-line block ×3, first 2 shown]
	s_clause 0x3
	global_load_dwordx2 v[23:24], v[23:24], off
	global_load_dwordx2 v[27:28], v[27:28], off
	global_load_dwordx2 v[29:30], v[29:30], off
	global_load_dwordx2 v[31:32], v[15:16], off
	s_waitcnt vmcnt(4)
	v_subrev_nc_u32_e32 v11, s2, v11
	v_lshl_add_u32 v21, v11, 2, v11
	v_lshlrev_b64 v[33:34], 3, v[21:22]
	v_add_nc_u32_e32 v16, 1, v21
	v_lshlrev_b64 v[35:36], 3, v[16:17]
	v_add_co_u32 v33, vcc_lo, s14, v33
	v_add_co_ci_u32_e64 v34, null, s15, v34, vcc_lo
	v_add_nc_u32_e32 v16, -10, v14
	v_add_co_u32 v35, vcc_lo, s14, v35
	global_load_dwordx2 v[33:34], v[33:34], off
	v_add_co_ci_u32_e64 v36, null, s15, v36, vcc_lo
	v_lshlrev_b64 v[37:38], 3, v[16:17]
	v_add_nc_u32_e32 v16, -9, v14
	global_load_dwordx2 v[35:36], v[35:36], off
	v_lshlrev_b64 v[39:40], 3, v[16:17]
	v_add_nc_u32_e32 v16, -8, v14
	v_add_co_u32 v37, vcc_lo, s12, v37
	v_add_co_ci_u32_e64 v38, null, s13, v38, vcc_lo
	v_add_co_u32 v39, vcc_lo, s12, v39
	v_lshlrev_b64 v[41:42], 3, v[16:17]
	v_add_nc_u32_e32 v16, 2, v21
	v_add_co_ci_u32_e64 v40, null, s13, v40, vcc_lo
	global_load_dwordx2 v[37:38], v[37:38], off
	v_lshlrev_b64 v[43:44], 3, v[16:17]
	v_add_nc_u32_e32 v16, -7, v14
	global_load_dwordx2 v[39:40], v[39:40], off
	v_add_co_u32 v41, vcc_lo, s12, v41
	v_add_co_ci_u32_e64 v42, null, s13, v42, vcc_lo
	v_lshlrev_b64 v[45:46], 3, v[16:17]
	v_add_nc_u32_e32 v16, -6, v14
	v_add_co_u32 v43, vcc_lo, s14, v43
	v_add_co_ci_u32_e64 v44, null, s15, v44, vcc_lo
	v_lshlrev_b64 v[47:48], 3, v[16:17]
	v_add_nc_u32_e32 v16, -5, v14
	v_add_co_u32 v45, vcc_lo, s12, v45
	v_add_co_ci_u32_e64 v46, null, s13, v46, vcc_lo
	v_add_co_u32 v47, vcc_lo, s12, v47
	v_lshlrev_b64 v[49:50], 3, v[16:17]
	v_add_nc_u32_e32 v16, 3, v21
	v_add_co_ci_u32_e64 v48, null, s13, v48, vcc_lo
	global_load_dwordx2 v[41:42], v[41:42], off
	global_load_dwordx2 v[43:44], v[43:44], off
	s_clause 0x1
	global_load_dwordx2 v[45:46], v[45:46], off
	global_load_dwordx2 v[47:48], v[47:48], off
	v_lshlrev_b64 v[51:52], 3, v[16:17]
	v_add_nc_u32_e32 v16, -4, v14
	v_add_co_u32 v49, vcc_lo, s12, v49
	v_add_co_ci_u32_e64 v50, null, s13, v50, vcc_lo
	v_lshlrev_b64 v[53:54], 3, v[16:17]
	v_add_nc_u32_e32 v16, -3, v14
	v_add_co_u32 v51, vcc_lo, s14, v51
	v_add_co_ci_u32_e64 v52, null, s15, v52, vcc_lo
	;; [unrolled: 4-line block ×3, first 2 shown]
	v_add_co_u32 v15, vcc_lo, s12, v55
	v_lshlrev_b64 v[57:58], 3, v[16:17]
	v_add_co_ci_u32_e64 v16, null, s13, v56, vcc_lo
	global_load_dwordx2 v[49:50], v[49:50], off
	global_load_dwordx2 v[51:52], v[51:52], off
	s_clause 0x1
	global_load_dwordx2 v[53:54], v[53:54], off
	global_load_dwordx2 v[55:56], v[15:16], off
	v_add_nc_u32_e32 v16, 4, v21
	v_add_co_u32 v57, vcc_lo, s12, v57
	v_add_co_ci_u32_e64 v58, null, s13, v58, vcc_lo
	v_lshlrev_b64 v[21:22], 3, v[16:17]
	v_add_nc_u32_e32 v16, -1, v14
	v_add_nc_u32_e32 v14, 0x78, v14
	v_lshlrev_b64 v[15:16], 3, v[16:17]
	v_add_co_u32 v21, vcc_lo, s14, v21
	v_add_co_ci_u32_e64 v22, null, s15, v22, vcc_lo
	v_add_co_u32 v15, vcc_lo, s12, v15
	v_add_co_ci_u32_e64 v16, null, s13, v16, vcc_lo
	global_load_dwordx2 v[57:58], v[57:58], off
	global_load_dwordx2 v[21:22], v[21:22], off
	s_clause 0x1
	global_load_dwordx2 v[15:16], v[15:16], off
	global_load_dwordx2 v[25:26], v[25:26], off
	v_cmp_ge_i32_e32 vcc_lo, v18, v20
	s_or_b32 s3, vcc_lo, s3
	s_waitcnt vmcnt(15)
	v_fma_f64 v[6:7], v[23:24], v[33:34], v[6:7]
	v_fma_f64 v[11:12], v[27:28], v[33:34], v[12:13]
	;; [unrolled: 1-line block ×3, first 2 shown]
	s_waitcnt vmcnt(14)
	v_fma_f64 v[6:7], v[31:32], v[35:36], v[6:7]
	s_waitcnt vmcnt(13)
	v_fma_f64 v[11:12], v[37:38], v[35:36], v[11:12]
	;; [unrolled: 2-line block ×12, first 2 shown]
	s_andn2_b32 exec_lo, exec_lo, s3
	s_cbranch_execnz .LBB53_9
; %bb.10:
	s_or_b32 exec_lo, exec_lo, s3
.LBB53_11:
	s_or_b32 exec_lo, exec_lo, s1
	s_cbranch_execz .LBB53_13
	s_branch .LBB53_18
.LBB53_12:
                                        ; implicit-def: $vgpr6_vgpr7
                                        ; implicit-def: $vgpr8_vgpr9
                                        ; implicit-def: $vgpr12_vgpr13
.LBB53_13:
	v_mov_b32_e32 v6, 0
	v_mov_b32_e32 v8, 0
	v_mov_b32_e32 v12, 0
	v_mov_b32_e32 v7, 0
	v_mov_b32_e32 v9, 0
	v_mov_b32_e32 v13, 0
	s_and_saveexec_b32 s1, s0
	s_cbranch_execz .LBB53_17
; %bb.14:
	v_mad_u64_u32 v[14:15], null, v10, 15, 14
	v_mov_b32_e32 v6, 0
	v_mov_b32_e32 v8, 0
	;; [unrolled: 1-line block ×7, first 2 shown]
	s_mov_b32 s0, 0
.LBB53_15:                              ; =>This Inner Loop Header: Depth=1
	v_ashrrev_i32_e32 v11, 31, v10
	v_add_nc_u32_e32 v18, -9, v14
	v_mov_b32_e32 v19, v17
	v_add_nc_u32_e32 v21, -4, v14
	v_mov_b32_e32 v22, v17
	v_lshlrev_b64 v[15:16], 2, v[10:11]
	v_mov_b32_e32 v23, v17
	v_lshlrev_b64 v[18:19], 3, v[18:19]
	v_add_nc_u32_e32 v10, 8, v10
	v_lshlrev_b64 v[21:22], 3, v[21:22]
	v_add_co_u32 v15, vcc_lo, s10, v15
	v_add_co_ci_u32_e64 v16, null, s11, v16, vcc_lo
	global_load_dword v11, v[15:16], off
	v_add_nc_u32_e32 v16, -14, v14
	v_mov_b32_e32 v15, v17
	v_lshlrev_b64 v[24:25], 3, v[16:17]
	v_add_nc_u32_e32 v16, -13, v14
	v_lshlrev_b64 v[26:27], 3, v[14:15]
	v_lshlrev_b64 v[15:16], 3, v[16:17]
	v_add_co_u32 v24, vcc_lo, s12, v24
	v_add_co_ci_u32_e64 v25, null, s13, v25, vcc_lo
	v_add_co_u32 v18, vcc_lo, s12, v18
	v_add_co_ci_u32_e64 v19, null, s13, v19, vcc_lo
	;; [unrolled: 2-line block ×5, first 2 shown]
	s_clause 0x3
	global_load_dwordx2 v[24:25], v[24:25], off
	global_load_dwordx2 v[18:19], v[18:19], off
	;; [unrolled: 1-line block ×4, first 2 shown]
	s_waitcnt vmcnt(4)
	v_subrev_nc_u32_e32 v11, s2, v11
	v_lshl_add_u32 v22, v11, 2, v11
	v_lshlrev_b64 v[32:33], 3, v[22:23]
	v_add_nc_u32_e32 v16, 1, v22
	v_lshlrev_b64 v[34:35], 3, v[16:17]
	v_add_co_u32 v32, vcc_lo, s14, v32
	v_add_co_ci_u32_e64 v33, null, s15, v33, vcc_lo
	v_add_nc_u32_e32 v16, -8, v14
	v_add_co_u32 v34, vcc_lo, s14, v34
	global_load_dwordx2 v[32:33], v[32:33], off
	v_add_co_ci_u32_e64 v35, null, s15, v35, vcc_lo
	v_lshlrev_b64 v[36:37], 3, v[16:17]
	v_add_nc_u32_e32 v16, -3, v14
	global_load_dwordx2 v[34:35], v[34:35], off
	v_lshlrev_b64 v[38:39], 3, v[16:17]
	v_add_nc_u32_e32 v16, -12, v14
	v_add_co_u32 v36, vcc_lo, s12, v36
	v_add_co_ci_u32_e64 v37, null, s13, v37, vcc_lo
	v_add_co_u32 v38, vcc_lo, s12, v38
	v_lshlrev_b64 v[40:41], 3, v[16:17]
	v_add_nc_u32_e32 v16, 2, v22
	v_add_co_ci_u32_e64 v39, null, s13, v39, vcc_lo
	global_load_dwordx2 v[36:37], v[36:37], off
	v_lshlrev_b64 v[42:43], 3, v[16:17]
	v_add_nc_u32_e32 v16, -7, v14
	global_load_dwordx2 v[38:39], v[38:39], off
	v_add_co_u32 v40, vcc_lo, s12, v40
	v_add_co_ci_u32_e64 v41, null, s13, v41, vcc_lo
	v_lshlrev_b64 v[44:45], 3, v[16:17]
	v_add_nc_u32_e32 v16, -2, v14
	v_add_co_u32 v42, vcc_lo, s14, v42
	v_add_co_ci_u32_e64 v43, null, s15, v43, vcc_lo
	v_lshlrev_b64 v[46:47], 3, v[16:17]
	v_add_nc_u32_e32 v16, -11, v14
	v_add_co_u32 v44, vcc_lo, s12, v44
	v_add_co_ci_u32_e64 v45, null, s13, v45, vcc_lo
	v_add_co_u32 v46, vcc_lo, s12, v46
	v_lshlrev_b64 v[48:49], 3, v[16:17]
	v_add_nc_u32_e32 v16, 3, v22
	v_add_co_ci_u32_e64 v47, null, s13, v47, vcc_lo
	global_load_dwordx2 v[40:41], v[40:41], off
	global_load_dwordx2 v[42:43], v[42:43], off
	s_clause 0x1
	global_load_dwordx2 v[44:45], v[44:45], off
	global_load_dwordx2 v[46:47], v[46:47], off
	v_lshlrev_b64 v[50:51], 3, v[16:17]
	v_add_nc_u32_e32 v16, -6, v14
	v_add_co_u32 v48, vcc_lo, s12, v48
	v_add_co_ci_u32_e64 v49, null, s13, v49, vcc_lo
	v_lshlrev_b64 v[52:53], 3, v[16:17]
	v_add_nc_u32_e32 v16, -1, v14
	v_add_co_u32 v50, vcc_lo, s14, v50
	v_add_co_ci_u32_e64 v51, null, s15, v51, vcc_lo
	;; [unrolled: 4-line block ×3, first 2 shown]
	v_add_co_u32 v15, vcc_lo, s12, v54
	v_lshlrev_b64 v[56:57], 3, v[16:17]
	v_add_co_ci_u32_e64 v16, null, s13, v55, vcc_lo
	global_load_dwordx2 v[48:49], v[48:49], off
	global_load_dwordx2 v[50:51], v[50:51], off
	s_clause 0x1
	global_load_dwordx2 v[52:53], v[52:53], off
	global_load_dwordx2 v[54:55], v[15:16], off
	v_add_nc_u32_e32 v16, 4, v22
	v_add_co_u32 v56, vcc_lo, s12, v56
	v_add_co_ci_u32_e64 v57, null, s13, v57, vcc_lo
	v_lshlrev_b64 v[21:22], 3, v[16:17]
	v_add_nc_u32_e32 v16, -5, v14
	v_add_nc_u32_e32 v14, 0x78, v14
	v_lshlrev_b64 v[15:16], 3, v[16:17]
	v_add_co_u32 v21, vcc_lo, s14, v21
	v_add_co_ci_u32_e64 v22, null, s15, v22, vcc_lo
	v_add_co_u32 v15, vcc_lo, s12, v15
	v_add_co_ci_u32_e64 v16, null, s13, v16, vcc_lo
	global_load_dwordx2 v[56:57], v[56:57], off
	global_load_dwordx2 v[21:22], v[21:22], off
	s_clause 0x1
	global_load_dwordx2 v[15:16], v[15:16], off
	global_load_dwordx2 v[26:27], v[26:27], off
	v_cmp_ge_i32_e32 vcc_lo, v10, v20
	s_or_b32 s0, vcc_lo, s0
	s_waitcnt vmcnt(15)
	v_fma_f64 v[6:7], v[24:25], v[32:33], v[6:7]
	v_fma_f64 v[11:12], v[18:19], v[32:33], v[12:13]
	;; [unrolled: 1-line block ×3, first 2 shown]
	s_waitcnt vmcnt(14)
	v_fma_f64 v[6:7], v[30:31], v[34:35], v[6:7]
	s_waitcnt vmcnt(13)
	v_fma_f64 v[11:12], v[36:37], v[34:35], v[11:12]
	;; [unrolled: 2-line block ×12, first 2 shown]
	s_andn2_b32 exec_lo, exec_lo, s0
	s_cbranch_execnz .LBB53_15
; %bb.16:
	s_or_b32 exec_lo, exec_lo, s0
.LBB53_17:
	s_or_b32 exec_lo, exec_lo, s1
.LBB53_18:
	v_mbcnt_lo_u32_b32 v18, -1, 0
	v_xor_b32_e32 v10, 4, v18
	v_cmp_gt_i32_e32 vcc_lo, 32, v10
	v_cndmask_b32_e32 v10, v18, v10, vcc_lo
	v_lshlrev_b32_e32 v17, 2, v10
	ds_bpermute_b32 v10, v17, v6
	ds_bpermute_b32 v11, v17, v7
	;; [unrolled: 1-line block ×6, first 2 shown]
	s_waitcnt lgkmcnt(4)
	v_add_f64 v[6:7], v[6:7], v[10:11]
	s_waitcnt lgkmcnt(2)
	v_add_f64 v[10:11], v[12:13], v[14:15]
	;; [unrolled: 2-line block ×3, first 2 shown]
	v_xor_b32_e32 v8, 2, v18
	v_cmp_gt_i32_e32 vcc_lo, 32, v8
	v_cndmask_b32_e32 v8, v18, v8, vcc_lo
	v_lshlrev_b32_e32 v17, 2, v8
	ds_bpermute_b32 v8, v17, v6
	ds_bpermute_b32 v9, v17, v7
	;; [unrolled: 1-line block ×6, first 2 shown]
	s_waitcnt lgkmcnt(4)
	v_add_f64 v[8:9], v[6:7], v[8:9]
	s_waitcnt lgkmcnt(2)
	v_add_f64 v[6:7], v[10:11], v[14:15]
	v_xor_b32_e32 v10, 1, v18
	s_waitcnt lgkmcnt(0)
	v_add_f64 v[12:13], v[12:13], v[16:17]
	v_cmp_gt_i32_e32 vcc_lo, 32, v10
	v_cndmask_b32_e32 v10, v18, v10, vcc_lo
	v_cmp_eq_u32_e32 vcc_lo, 7, v0
	v_lshlrev_b32_e32 v15, 2, v10
	ds_bpermute_b32 v10, v15, v8
	ds_bpermute_b32 v11, v15, v9
	;; [unrolled: 1-line block ×6, first 2 shown]
	s_and_b32 exec_lo, exec_lo, vcc_lo
	s_cbranch_execz .LBB53_23
; %bb.19:
	s_waitcnt lgkmcnt(4)
	v_add_f64 v[10:11], v[8:9], v[10:11]
	s_waitcnt lgkmcnt(2)
	v_add_f64 v[8:9], v[6:7], v[16:17]
	;; [unrolled: 2-line block ×3, first 2 shown]
	s_load_dwordx2 s[0:1], s[4:5], 0x38
	s_mov_b32 s2, exec_lo
	v_cmpx_eq_f64_e32 0, v[3:4]
	s_xor_b32 s2, exec_lo, s2
	s_cbranch_execz .LBB53_21
; %bb.20:
	v_lshl_add_u32 v0, v5, 1, v5
	v_mul_f64 v[10:11], v[1:2], v[10:11]
	v_mul_f64 v[12:13], v[1:2], v[8:9]
	;; [unrolled: 1-line block ×3, first 2 shown]
                                        ; implicit-def: $vgpr5
                                        ; implicit-def: $vgpr8_vgpr9
                                        ; implicit-def: $vgpr6_vgpr7
	v_ashrrev_i32_e32 v1, 31, v0
	v_lshlrev_b64 v[0:1], 3, v[0:1]
	s_waitcnt lgkmcnt(0)
	v_add_co_u32 v0, vcc_lo, s0, v0
	v_add_co_ci_u32_e64 v1, null, s1, v1, vcc_lo
	global_store_dwordx4 v[0:1], v[10:13], off
	global_store_dwordx2 v[0:1], v[2:3], off offset:16
                                        ; implicit-def: $vgpr1_vgpr2
                                        ; implicit-def: $vgpr10_vgpr11
                                        ; implicit-def: $vgpr3_vgpr4
.LBB53_21:
	s_andn2_saveexec_b32 s2, s2
	s_cbranch_execz .LBB53_23
; %bb.22:
	v_lshl_add_u32 v12, v5, 1, v5
	v_mul_f64 v[10:11], v[1:2], v[10:11]
	v_mul_f64 v[8:9], v[1:2], v[8:9]
	;; [unrolled: 1-line block ×3, first 2 shown]
	v_ashrrev_i32_e32 v13, 31, v12
	v_lshlrev_b64 v[12:13], 3, v[12:13]
	s_waitcnt lgkmcnt(0)
	v_add_co_u32 v16, vcc_lo, s0, v12
	v_add_co_ci_u32_e64 v17, null, s1, v13, vcc_lo
	s_clause 0x1
	global_load_dwordx4 v[12:15], v[16:17], off
	global_load_dwordx2 v[18:19], v[16:17], off offset:16
	s_waitcnt vmcnt(1)
	v_fma_f64 v[5:6], v[3:4], v[12:13], v[10:11]
	v_fma_f64 v[7:8], v[3:4], v[14:15], v[8:9]
	s_waitcnt vmcnt(0)
	v_fma_f64 v[0:1], v[3:4], v[18:19], v[0:1]
	global_store_dwordx4 v[16:17], v[5:8], off
	global_store_dwordx2 v[16:17], v[0:1], off offset:16
.LBB53_23:
	s_endpgm
	.section	.rodata,"a",@progbits
	.p2align	6, 0x0
	.amdhsa_kernel _ZN9rocsparseL19gebsrmvn_3xn_kernelILj128ELj5ELj8EdEEvi20rocsparse_direction_NS_24const_host_device_scalarIT2_EEPKiS6_PKS3_S8_S4_PS3_21rocsparse_index_base_b
		.amdhsa_group_segment_fixed_size 0
		.amdhsa_private_segment_fixed_size 0
		.amdhsa_kernarg_size 72
		.amdhsa_user_sgpr_count 6
		.amdhsa_user_sgpr_private_segment_buffer 1
		.amdhsa_user_sgpr_dispatch_ptr 0
		.amdhsa_user_sgpr_queue_ptr 0
		.amdhsa_user_sgpr_kernarg_segment_ptr 1
		.amdhsa_user_sgpr_dispatch_id 0
		.amdhsa_user_sgpr_flat_scratch_init 0
		.amdhsa_user_sgpr_private_segment_size 0
		.amdhsa_wavefront_size32 1
		.amdhsa_uses_dynamic_stack 0
		.amdhsa_system_sgpr_private_segment_wavefront_offset 0
		.amdhsa_system_sgpr_workgroup_id_x 1
		.amdhsa_system_sgpr_workgroup_id_y 0
		.amdhsa_system_sgpr_workgroup_id_z 0
		.amdhsa_system_sgpr_workgroup_info 0
		.amdhsa_system_vgpr_workitem_id 0
		.amdhsa_next_free_vgpr 59
		.amdhsa_next_free_sgpr 16
		.amdhsa_reserve_vcc 1
		.amdhsa_reserve_flat_scratch 0
		.amdhsa_float_round_mode_32 0
		.amdhsa_float_round_mode_16_64 0
		.amdhsa_float_denorm_mode_32 3
		.amdhsa_float_denorm_mode_16_64 3
		.amdhsa_dx10_clamp 1
		.amdhsa_ieee_mode 1
		.amdhsa_fp16_overflow 0
		.amdhsa_workgroup_processor_mode 1
		.amdhsa_memory_ordered 1
		.amdhsa_forward_progress 1
		.amdhsa_shared_vgpr_count 0
		.amdhsa_exception_fp_ieee_invalid_op 0
		.amdhsa_exception_fp_denorm_src 0
		.amdhsa_exception_fp_ieee_div_zero 0
		.amdhsa_exception_fp_ieee_overflow 0
		.amdhsa_exception_fp_ieee_underflow 0
		.amdhsa_exception_fp_ieee_inexact 0
		.amdhsa_exception_int_div_zero 0
	.end_amdhsa_kernel
	.section	.text._ZN9rocsparseL19gebsrmvn_3xn_kernelILj128ELj5ELj8EdEEvi20rocsparse_direction_NS_24const_host_device_scalarIT2_EEPKiS6_PKS3_S8_S4_PS3_21rocsparse_index_base_b,"axG",@progbits,_ZN9rocsparseL19gebsrmvn_3xn_kernelILj128ELj5ELj8EdEEvi20rocsparse_direction_NS_24const_host_device_scalarIT2_EEPKiS6_PKS3_S8_S4_PS3_21rocsparse_index_base_b,comdat
.Lfunc_end53:
	.size	_ZN9rocsparseL19gebsrmvn_3xn_kernelILj128ELj5ELj8EdEEvi20rocsparse_direction_NS_24const_host_device_scalarIT2_EEPKiS6_PKS3_S8_S4_PS3_21rocsparse_index_base_b, .Lfunc_end53-_ZN9rocsparseL19gebsrmvn_3xn_kernelILj128ELj5ELj8EdEEvi20rocsparse_direction_NS_24const_host_device_scalarIT2_EEPKiS6_PKS3_S8_S4_PS3_21rocsparse_index_base_b
                                        ; -- End function
	.set _ZN9rocsparseL19gebsrmvn_3xn_kernelILj128ELj5ELj8EdEEvi20rocsparse_direction_NS_24const_host_device_scalarIT2_EEPKiS6_PKS3_S8_S4_PS3_21rocsparse_index_base_b.num_vgpr, 59
	.set _ZN9rocsparseL19gebsrmvn_3xn_kernelILj128ELj5ELj8EdEEvi20rocsparse_direction_NS_24const_host_device_scalarIT2_EEPKiS6_PKS3_S8_S4_PS3_21rocsparse_index_base_b.num_agpr, 0
	.set _ZN9rocsparseL19gebsrmvn_3xn_kernelILj128ELj5ELj8EdEEvi20rocsparse_direction_NS_24const_host_device_scalarIT2_EEPKiS6_PKS3_S8_S4_PS3_21rocsparse_index_base_b.numbered_sgpr, 16
	.set _ZN9rocsparseL19gebsrmvn_3xn_kernelILj128ELj5ELj8EdEEvi20rocsparse_direction_NS_24const_host_device_scalarIT2_EEPKiS6_PKS3_S8_S4_PS3_21rocsparse_index_base_b.num_named_barrier, 0
	.set _ZN9rocsparseL19gebsrmvn_3xn_kernelILj128ELj5ELj8EdEEvi20rocsparse_direction_NS_24const_host_device_scalarIT2_EEPKiS6_PKS3_S8_S4_PS3_21rocsparse_index_base_b.private_seg_size, 0
	.set _ZN9rocsparseL19gebsrmvn_3xn_kernelILj128ELj5ELj8EdEEvi20rocsparse_direction_NS_24const_host_device_scalarIT2_EEPKiS6_PKS3_S8_S4_PS3_21rocsparse_index_base_b.uses_vcc, 1
	.set _ZN9rocsparseL19gebsrmvn_3xn_kernelILj128ELj5ELj8EdEEvi20rocsparse_direction_NS_24const_host_device_scalarIT2_EEPKiS6_PKS3_S8_S4_PS3_21rocsparse_index_base_b.uses_flat_scratch, 0
	.set _ZN9rocsparseL19gebsrmvn_3xn_kernelILj128ELj5ELj8EdEEvi20rocsparse_direction_NS_24const_host_device_scalarIT2_EEPKiS6_PKS3_S8_S4_PS3_21rocsparse_index_base_b.has_dyn_sized_stack, 0
	.set _ZN9rocsparseL19gebsrmvn_3xn_kernelILj128ELj5ELj8EdEEvi20rocsparse_direction_NS_24const_host_device_scalarIT2_EEPKiS6_PKS3_S8_S4_PS3_21rocsparse_index_base_b.has_recursion, 0
	.set _ZN9rocsparseL19gebsrmvn_3xn_kernelILj128ELj5ELj8EdEEvi20rocsparse_direction_NS_24const_host_device_scalarIT2_EEPKiS6_PKS3_S8_S4_PS3_21rocsparse_index_base_b.has_indirect_call, 0
	.section	.AMDGPU.csdata,"",@progbits
; Kernel info:
; codeLenInByte = 2980
; TotalNumSgprs: 18
; NumVgprs: 59
; ScratchSize: 0
; MemoryBound: 0
; FloatMode: 240
; IeeeMode: 1
; LDSByteSize: 0 bytes/workgroup (compile time only)
; SGPRBlocks: 0
; VGPRBlocks: 7
; NumSGPRsForWavesPerEU: 18
; NumVGPRsForWavesPerEU: 59
; Occupancy: 16
; WaveLimiterHint : 1
; COMPUTE_PGM_RSRC2:SCRATCH_EN: 0
; COMPUTE_PGM_RSRC2:USER_SGPR: 6
; COMPUTE_PGM_RSRC2:TRAP_HANDLER: 0
; COMPUTE_PGM_RSRC2:TGID_X_EN: 1
; COMPUTE_PGM_RSRC2:TGID_Y_EN: 0
; COMPUTE_PGM_RSRC2:TGID_Z_EN: 0
; COMPUTE_PGM_RSRC2:TIDIG_COMP_CNT: 0
	.section	.text._ZN9rocsparseL19gebsrmvn_3xn_kernelILj128ELj5ELj16EdEEvi20rocsparse_direction_NS_24const_host_device_scalarIT2_EEPKiS6_PKS3_S8_S4_PS3_21rocsparse_index_base_b,"axG",@progbits,_ZN9rocsparseL19gebsrmvn_3xn_kernelILj128ELj5ELj16EdEEvi20rocsparse_direction_NS_24const_host_device_scalarIT2_EEPKiS6_PKS3_S8_S4_PS3_21rocsparse_index_base_b,comdat
	.globl	_ZN9rocsparseL19gebsrmvn_3xn_kernelILj128ELj5ELj16EdEEvi20rocsparse_direction_NS_24const_host_device_scalarIT2_EEPKiS6_PKS3_S8_S4_PS3_21rocsparse_index_base_b ; -- Begin function _ZN9rocsparseL19gebsrmvn_3xn_kernelILj128ELj5ELj16EdEEvi20rocsparse_direction_NS_24const_host_device_scalarIT2_EEPKiS6_PKS3_S8_S4_PS3_21rocsparse_index_base_b
	.p2align	8
	.type	_ZN9rocsparseL19gebsrmvn_3xn_kernelILj128ELj5ELj16EdEEvi20rocsparse_direction_NS_24const_host_device_scalarIT2_EEPKiS6_PKS3_S8_S4_PS3_21rocsparse_index_base_b,@function
_ZN9rocsparseL19gebsrmvn_3xn_kernelILj128ELj5ELj16EdEEvi20rocsparse_direction_NS_24const_host_device_scalarIT2_EEPKiS6_PKS3_S8_S4_PS3_21rocsparse_index_base_b: ; @_ZN9rocsparseL19gebsrmvn_3xn_kernelILj128ELj5ELj16EdEEvi20rocsparse_direction_NS_24const_host_device_scalarIT2_EEPKiS6_PKS3_S8_S4_PS3_21rocsparse_index_base_b
; %bb.0:
	s_clause 0x2
	s_load_dwordx2 s[2:3], s[4:5], 0x40
	s_load_dwordx2 s[8:9], s[4:5], 0x8
	;; [unrolled: 1-line block ×3, first 2 shown]
	s_waitcnt lgkmcnt(0)
	s_bitcmp1_b32 s3, 0
	v_mov_b32_e32 v1, s8
	v_mov_b32_e32 v2, s9
	s_cselect_b32 s3, -1, 0
	s_and_b32 vcc_lo, exec_lo, s3
	s_xor_b32 s3, s3, -1
	s_cbranch_vccnz .LBB54_2
; %bb.1:
	v_mov_b32_e32 v1, s8
	v_mov_b32_e32 v2, s9
	flat_load_dwordx2 v[1:2], v[1:2]
.LBB54_2:
	v_mov_b32_e32 v4, s1
	v_mov_b32_e32 v3, s0
	s_andn2_b32 vcc_lo, exec_lo, s3
	s_cbranch_vccnz .LBB54_4
; %bb.3:
	v_mov_b32_e32 v4, s1
	v_mov_b32_e32 v3, s0
	flat_load_dwordx2 v[3:4], v[3:4]
.LBB54_4:
	s_waitcnt vmcnt(0) lgkmcnt(0)
	v_cmp_neq_f64_e32 vcc_lo, 0, v[1:2]
	v_cmp_neq_f64_e64 s0, 1.0, v[3:4]
	s_or_b32 s0, vcc_lo, s0
	s_and_saveexec_b32 s1, s0
	s_cbranch_execz .LBB54_23
; %bb.5:
	s_load_dwordx2 s[0:1], s[4:5], 0x0
	v_lshrrev_b32_e32 v5, 4, v0
	v_lshl_or_b32 v5, s6, 3, v5
	s_waitcnt lgkmcnt(0)
	v_cmp_gt_i32_e32 vcc_lo, s0, v5
	s_and_b32 exec_lo, exec_lo, vcc_lo
	s_cbranch_execz .LBB54_23
; %bb.6:
	s_load_dwordx8 s[8:15], s[4:5], 0x10
	v_ashrrev_i32_e32 v6, 31, v5
	v_and_b32_e32 v0, 15, v0
	s_cmp_lg_u32 s1, 0
	v_lshlrev_b64 v[6:7], 2, v[5:6]
	s_waitcnt lgkmcnt(0)
	v_add_co_u32 v6, vcc_lo, s8, v6
	v_add_co_ci_u32_e64 v7, null, s9, v7, vcc_lo
	global_load_dwordx2 v[6:7], v[6:7], off
	s_waitcnt vmcnt(0)
	v_subrev_nc_u32_e32 v6, s2, v6
	v_subrev_nc_u32_e32 v19, s2, v7
	v_add_nc_u32_e32 v12, v6, v0
	v_cmp_lt_i32_e64 s0, v12, v19
	s_cbranch_scc0 .LBB54_12
; %bb.7:
	v_mov_b32_e32 v6, 0
	v_mov_b32_e32 v8, 0
	;; [unrolled: 1-line block ×6, first 2 shown]
	s_and_saveexec_b32 s1, s0
	s_cbranch_execz .LBB54_11
; %bb.8:
	v_mad_u64_u32 v[13:14], null, v12, 15, 14
	v_mov_b32_e32 v6, 0
	v_mov_b32_e32 v8, 0
	;; [unrolled: 1-line block ×8, first 2 shown]
	s_mov_b32 s3, 0
.LBB54_9:                               ; =>This Inner Loop Header: Depth=1
	v_ashrrev_i32_e32 v18, 31, v17
	v_mov_b32_e32 v21, v16
	v_lshlrev_b64 v[14:15], 2, v[17:18]
	v_add_nc_u32_e32 v17, 16, v17
	v_add_co_u32 v14, vcc_lo, s10, v14
	v_add_co_ci_u32_e64 v15, null, s11, v15, vcc_lo
	global_load_dword v18, v[14:15], off
	v_add_nc_u32_e32 v15, -14, v13
	v_mov_b32_e32 v14, v16
	v_lshlrev_b64 v[22:23], 3, v[15:16]
	v_add_nc_u32_e32 v15, -13, v13
	v_lshlrev_b64 v[24:25], 3, v[13:14]
	v_lshlrev_b64 v[26:27], 3, v[15:16]
	v_add_nc_u32_e32 v15, -12, v13
	v_add_co_u32 v22, vcc_lo, s12, v22
	v_add_co_ci_u32_e64 v23, null, s13, v23, vcc_lo
	v_lshlrev_b64 v[28:29], 3, v[15:16]
	v_add_nc_u32_e32 v15, -11, v13
	v_add_co_u32 v24, vcc_lo, s12, v24
	v_add_co_ci_u32_e64 v25, null, s13, v25, vcc_lo
	v_lshlrev_b64 v[14:15], 3, v[15:16]
	v_add_co_u32 v26, vcc_lo, s12, v26
	v_add_co_ci_u32_e64 v27, null, s13, v27, vcc_lo
	v_add_co_u32 v28, vcc_lo, s12, v28
	v_add_co_ci_u32_e64 v29, null, s13, v29, vcc_lo
	;; [unrolled: 2-line block ×3, first 2 shown]
	s_clause 0x3
	global_load_dwordx2 v[22:23], v[22:23], off
	global_load_dwordx2 v[26:27], v[26:27], off
	;; [unrolled: 1-line block ×4, first 2 shown]
	s_waitcnt vmcnt(4)
	v_subrev_nc_u32_e32 v14, s2, v18
	v_lshl_add_u32 v20, v14, 2, v14
	v_lshlrev_b64 v[32:33], 3, v[20:21]
	v_add_nc_u32_e32 v15, 1, v20
	v_lshlrev_b64 v[34:35], 3, v[15:16]
	v_add_co_u32 v32, vcc_lo, s14, v32
	v_add_co_ci_u32_e64 v33, null, s15, v33, vcc_lo
	v_add_nc_u32_e32 v15, -10, v13
	v_add_co_u32 v34, vcc_lo, s14, v34
	global_load_dwordx2 v[32:33], v[32:33], off
	v_add_co_ci_u32_e64 v35, null, s15, v35, vcc_lo
	v_lshlrev_b64 v[36:37], 3, v[15:16]
	v_add_nc_u32_e32 v15, -9, v13
	global_load_dwordx2 v[34:35], v[34:35], off
	v_lshlrev_b64 v[38:39], 3, v[15:16]
	v_add_nc_u32_e32 v15, -8, v13
	v_add_co_u32 v36, vcc_lo, s12, v36
	v_add_co_ci_u32_e64 v37, null, s13, v37, vcc_lo
	v_add_co_u32 v38, vcc_lo, s12, v38
	v_lshlrev_b64 v[40:41], 3, v[15:16]
	v_add_nc_u32_e32 v15, 2, v20
	v_add_co_ci_u32_e64 v39, null, s13, v39, vcc_lo
	global_load_dwordx2 v[36:37], v[36:37], off
	v_lshlrev_b64 v[42:43], 3, v[15:16]
	v_add_nc_u32_e32 v15, -7, v13
	global_load_dwordx2 v[38:39], v[38:39], off
	v_add_co_u32 v40, vcc_lo, s12, v40
	v_add_co_ci_u32_e64 v41, null, s13, v41, vcc_lo
	v_lshlrev_b64 v[44:45], 3, v[15:16]
	v_add_nc_u32_e32 v15, -6, v13
	v_add_co_u32 v42, vcc_lo, s14, v42
	v_add_co_ci_u32_e64 v43, null, s15, v43, vcc_lo
	v_lshlrev_b64 v[46:47], 3, v[15:16]
	v_add_nc_u32_e32 v15, -5, v13
	v_add_co_u32 v44, vcc_lo, s12, v44
	v_add_co_ci_u32_e64 v45, null, s13, v45, vcc_lo
	v_add_co_u32 v46, vcc_lo, s12, v46
	v_lshlrev_b64 v[48:49], 3, v[15:16]
	v_add_nc_u32_e32 v15, 3, v20
	v_add_co_ci_u32_e64 v47, null, s13, v47, vcc_lo
	global_load_dwordx2 v[40:41], v[40:41], off
	global_load_dwordx2 v[42:43], v[42:43], off
	s_clause 0x1
	global_load_dwordx2 v[44:45], v[44:45], off
	global_load_dwordx2 v[46:47], v[46:47], off
	v_lshlrev_b64 v[50:51], 3, v[15:16]
	v_add_nc_u32_e32 v15, -4, v13
	v_add_co_u32 v48, vcc_lo, s12, v48
	v_add_co_ci_u32_e64 v49, null, s13, v49, vcc_lo
	v_lshlrev_b64 v[52:53], 3, v[15:16]
	v_add_nc_u32_e32 v15, -3, v13
	v_add_co_u32 v50, vcc_lo, s14, v50
	v_add_co_ci_u32_e64 v51, null, s15, v51, vcc_lo
	;; [unrolled: 4-line block ×3, first 2 shown]
	v_add_co_u32 v14, vcc_lo, s12, v54
	v_lshlrev_b64 v[56:57], 3, v[15:16]
	v_add_co_ci_u32_e64 v15, null, s13, v55, vcc_lo
	global_load_dwordx2 v[48:49], v[48:49], off
	global_load_dwordx2 v[50:51], v[50:51], off
	s_clause 0x1
	global_load_dwordx2 v[52:53], v[52:53], off
	global_load_dwordx2 v[54:55], v[14:15], off
	v_add_nc_u32_e32 v15, 4, v20
	v_add_co_u32 v56, vcc_lo, s12, v56
	v_add_co_ci_u32_e64 v57, null, s13, v57, vcc_lo
	v_lshlrev_b64 v[20:21], 3, v[15:16]
	v_add_nc_u32_e32 v15, -1, v13
	v_add_nc_u32_e32 v13, 0xf0, v13
	v_lshlrev_b64 v[14:15], 3, v[15:16]
	v_add_co_u32 v20, vcc_lo, s14, v20
	v_add_co_ci_u32_e64 v21, null, s15, v21, vcc_lo
	v_add_co_u32 v14, vcc_lo, s12, v14
	v_add_co_ci_u32_e64 v15, null, s13, v15, vcc_lo
	global_load_dwordx2 v[56:57], v[56:57], off
	global_load_dwordx2 v[20:21], v[20:21], off
	s_clause 0x1
	global_load_dwordx2 v[14:15], v[14:15], off
	global_load_dwordx2 v[24:25], v[24:25], off
	v_cmp_ge_i32_e32 vcc_lo, v17, v19
	s_or_b32 s3, vcc_lo, s3
	s_waitcnt vmcnt(15)
	v_fma_f64 v[6:7], v[22:23], v[32:33], v[6:7]
	v_fma_f64 v[10:11], v[26:27], v[32:33], v[10:11]
	v_fma_f64 v[8:9], v[28:29], v[32:33], v[8:9]
	s_waitcnt vmcnt(14)
	v_fma_f64 v[6:7], v[30:31], v[34:35], v[6:7]
	s_waitcnt vmcnt(13)
	v_fma_f64 v[10:11], v[36:37], v[34:35], v[10:11]
	s_waitcnt vmcnt(12)
	v_fma_f64 v[8:9], v[38:39], v[34:35], v[8:9]
	s_waitcnt vmcnt(10)
	v_fma_f64 v[6:7], v[40:41], v[42:43], v[6:7]
	s_waitcnt vmcnt(9)
	v_fma_f64 v[10:11], v[44:45], v[42:43], v[10:11]
	s_waitcnt vmcnt(8)
	v_fma_f64 v[8:9], v[46:47], v[42:43], v[8:9]
	s_waitcnt vmcnt(6)
	v_fma_f64 v[6:7], v[48:49], v[50:51], v[6:7]
	s_waitcnt vmcnt(5)
	v_fma_f64 v[10:11], v[52:53], v[50:51], v[10:11]
	s_waitcnt vmcnt(4)
	v_fma_f64 v[8:9], v[54:55], v[50:51], v[8:9]
	s_waitcnt vmcnt(2)
	v_fma_f64 v[6:7], v[56:57], v[20:21], v[6:7]
	s_waitcnt vmcnt(1)
	v_fma_f64 v[10:11], v[14:15], v[20:21], v[10:11]
	s_waitcnt vmcnt(0)
	v_fma_f64 v[8:9], v[24:25], v[20:21], v[8:9]
	s_andn2_b32 exec_lo, exec_lo, s3
	s_cbranch_execnz .LBB54_9
; %bb.10:
	s_or_b32 exec_lo, exec_lo, s3
.LBB54_11:
	s_or_b32 exec_lo, exec_lo, s1
	s_cbranch_execz .LBB54_13
	s_branch .LBB54_18
.LBB54_12:
                                        ; implicit-def: $vgpr6_vgpr7
                                        ; implicit-def: $vgpr8_vgpr9
                                        ; implicit-def: $vgpr10_vgpr11
.LBB54_13:
	v_mov_b32_e32 v6, 0
	v_mov_b32_e32 v8, 0
	;; [unrolled: 1-line block ×6, first 2 shown]
	s_and_saveexec_b32 s1, s0
	s_cbranch_execz .LBB54_17
; %bb.14:
	v_mad_u64_u32 v[14:15], null, v12, 15, 14
	v_mov_b32_e32 v6, 0
	v_mov_b32_e32 v8, 0
	;; [unrolled: 1-line block ×7, first 2 shown]
	s_mov_b32 s0, 0
.LBB54_15:                              ; =>This Inner Loop Header: Depth=1
	v_ashrrev_i32_e32 v13, 31, v12
	v_add_nc_u32_e32 v20, -9, v14
	v_mov_b32_e32 v21, v17
	v_add_nc_u32_e32 v22, -4, v14
	v_mov_b32_e32 v23, v17
	v_lshlrev_b64 v[15:16], 2, v[12:13]
	v_mov_b32_e32 v24, v17
	v_lshlrev_b64 v[20:21], 3, v[20:21]
	v_add_nc_u32_e32 v12, 16, v12
	v_lshlrev_b64 v[22:23], 3, v[22:23]
	v_add_co_u32 v15, vcc_lo, s10, v15
	v_add_co_ci_u32_e64 v16, null, s11, v16, vcc_lo
	global_load_dword v13, v[15:16], off
	v_add_nc_u32_e32 v16, -14, v14
	v_mov_b32_e32 v15, v17
	v_lshlrev_b64 v[25:26], 3, v[16:17]
	v_add_nc_u32_e32 v16, -13, v14
	v_lshlrev_b64 v[27:28], 3, v[14:15]
	v_lshlrev_b64 v[15:16], 3, v[16:17]
	v_add_co_u32 v25, vcc_lo, s12, v25
	v_add_co_ci_u32_e64 v26, null, s13, v26, vcc_lo
	v_add_co_u32 v20, vcc_lo, s12, v20
	v_add_co_ci_u32_e64 v21, null, s13, v21, vcc_lo
	;; [unrolled: 2-line block ×5, first 2 shown]
	s_clause 0x3
	global_load_dwordx2 v[25:26], v[25:26], off
	global_load_dwordx2 v[20:21], v[20:21], off
	;; [unrolled: 1-line block ×4, first 2 shown]
	s_waitcnt vmcnt(4)
	v_subrev_nc_u32_e32 v13, s2, v13
	v_lshl_add_u32 v23, v13, 2, v13
	v_lshlrev_b64 v[33:34], 3, v[23:24]
	v_add_nc_u32_e32 v16, 1, v23
	v_lshlrev_b64 v[35:36], 3, v[16:17]
	v_add_co_u32 v33, vcc_lo, s14, v33
	v_add_co_ci_u32_e64 v34, null, s15, v34, vcc_lo
	v_add_nc_u32_e32 v16, -8, v14
	v_add_co_u32 v35, vcc_lo, s14, v35
	global_load_dwordx2 v[33:34], v[33:34], off
	v_add_co_ci_u32_e64 v36, null, s15, v36, vcc_lo
	v_lshlrev_b64 v[37:38], 3, v[16:17]
	v_add_nc_u32_e32 v16, -3, v14
	global_load_dwordx2 v[35:36], v[35:36], off
	v_lshlrev_b64 v[39:40], 3, v[16:17]
	v_add_nc_u32_e32 v16, -12, v14
	v_add_co_u32 v37, vcc_lo, s12, v37
	v_add_co_ci_u32_e64 v38, null, s13, v38, vcc_lo
	v_add_co_u32 v39, vcc_lo, s12, v39
	v_lshlrev_b64 v[41:42], 3, v[16:17]
	v_add_nc_u32_e32 v16, 2, v23
	v_add_co_ci_u32_e64 v40, null, s13, v40, vcc_lo
	global_load_dwordx2 v[37:38], v[37:38], off
	v_lshlrev_b64 v[43:44], 3, v[16:17]
	v_add_nc_u32_e32 v16, -7, v14
	global_load_dwordx2 v[39:40], v[39:40], off
	v_add_co_u32 v41, vcc_lo, s12, v41
	v_add_co_ci_u32_e64 v42, null, s13, v42, vcc_lo
	v_lshlrev_b64 v[45:46], 3, v[16:17]
	v_add_nc_u32_e32 v16, -2, v14
	v_add_co_u32 v43, vcc_lo, s14, v43
	v_add_co_ci_u32_e64 v44, null, s15, v44, vcc_lo
	v_lshlrev_b64 v[47:48], 3, v[16:17]
	v_add_nc_u32_e32 v16, -11, v14
	v_add_co_u32 v45, vcc_lo, s12, v45
	v_add_co_ci_u32_e64 v46, null, s13, v46, vcc_lo
	v_add_co_u32 v47, vcc_lo, s12, v47
	v_lshlrev_b64 v[49:50], 3, v[16:17]
	v_add_nc_u32_e32 v16, 3, v23
	v_add_co_ci_u32_e64 v48, null, s13, v48, vcc_lo
	global_load_dwordx2 v[41:42], v[41:42], off
	global_load_dwordx2 v[43:44], v[43:44], off
	s_clause 0x1
	global_load_dwordx2 v[45:46], v[45:46], off
	global_load_dwordx2 v[47:48], v[47:48], off
	v_lshlrev_b64 v[51:52], 3, v[16:17]
	v_add_nc_u32_e32 v16, -6, v14
	v_add_co_u32 v49, vcc_lo, s12, v49
	v_add_co_ci_u32_e64 v50, null, s13, v50, vcc_lo
	v_lshlrev_b64 v[53:54], 3, v[16:17]
	v_add_nc_u32_e32 v16, -1, v14
	v_add_co_u32 v51, vcc_lo, s14, v51
	v_add_co_ci_u32_e64 v52, null, s15, v52, vcc_lo
	;; [unrolled: 4-line block ×3, first 2 shown]
	v_add_co_u32 v15, vcc_lo, s12, v55
	v_lshlrev_b64 v[57:58], 3, v[16:17]
	v_add_co_ci_u32_e64 v16, null, s13, v56, vcc_lo
	global_load_dwordx2 v[49:50], v[49:50], off
	global_load_dwordx2 v[51:52], v[51:52], off
	s_clause 0x1
	global_load_dwordx2 v[53:54], v[53:54], off
	global_load_dwordx2 v[55:56], v[15:16], off
	v_add_nc_u32_e32 v16, 4, v23
	v_add_co_u32 v57, vcc_lo, s12, v57
	v_add_co_ci_u32_e64 v58, null, s13, v58, vcc_lo
	v_lshlrev_b64 v[22:23], 3, v[16:17]
	v_add_nc_u32_e32 v16, -5, v14
	v_add_nc_u32_e32 v14, 0xf0, v14
	v_lshlrev_b64 v[15:16], 3, v[16:17]
	v_add_co_u32 v22, vcc_lo, s14, v22
	v_add_co_ci_u32_e64 v23, null, s15, v23, vcc_lo
	v_add_co_u32 v15, vcc_lo, s12, v15
	v_add_co_ci_u32_e64 v16, null, s13, v16, vcc_lo
	global_load_dwordx2 v[57:58], v[57:58], off
	global_load_dwordx2 v[22:23], v[22:23], off
	s_clause 0x1
	global_load_dwordx2 v[15:16], v[15:16], off
	global_load_dwordx2 v[27:28], v[27:28], off
	v_cmp_ge_i32_e32 vcc_lo, v12, v19
	s_or_b32 s0, vcc_lo, s0
	s_waitcnt vmcnt(15)
	v_fma_f64 v[6:7], v[25:26], v[33:34], v[6:7]
	v_fma_f64 v[10:11], v[20:21], v[33:34], v[10:11]
	;; [unrolled: 1-line block ×3, first 2 shown]
	s_waitcnt vmcnt(14)
	v_fma_f64 v[6:7], v[31:32], v[35:36], v[6:7]
	s_waitcnt vmcnt(13)
	v_fma_f64 v[10:11], v[37:38], v[35:36], v[10:11]
	;; [unrolled: 2-line block ×12, first 2 shown]
	s_andn2_b32 exec_lo, exec_lo, s0
	s_cbranch_execnz .LBB54_15
; %bb.16:
	s_or_b32 exec_lo, exec_lo, s0
.LBB54_17:
	s_or_b32 exec_lo, exec_lo, s1
.LBB54_18:
	v_mbcnt_lo_u32_b32 v18, -1, 0
	v_xor_b32_e32 v12, 8, v18
	v_cmp_gt_i32_e32 vcc_lo, 32, v12
	v_cndmask_b32_e32 v12, v18, v12, vcc_lo
	v_lshlrev_b32_e32 v17, 2, v12
	ds_bpermute_b32 v12, v17, v6
	ds_bpermute_b32 v13, v17, v7
	;; [unrolled: 1-line block ×6, first 2 shown]
	s_waitcnt lgkmcnt(4)
	v_add_f64 v[6:7], v[6:7], v[12:13]
	v_xor_b32_e32 v12, 4, v18
	s_waitcnt lgkmcnt(2)
	v_add_f64 v[10:11], v[10:11], v[14:15]
	s_waitcnt lgkmcnt(0)
	v_add_f64 v[8:9], v[8:9], v[16:17]
	v_cmp_gt_i32_e32 vcc_lo, 32, v12
	v_cndmask_b32_e32 v12, v18, v12, vcc_lo
	v_lshlrev_b32_e32 v17, 2, v12
	ds_bpermute_b32 v12, v17, v6
	ds_bpermute_b32 v13, v17, v7
	;; [unrolled: 1-line block ×6, first 2 shown]
	s_waitcnt lgkmcnt(4)
	v_add_f64 v[6:7], v[6:7], v[12:13]
	s_waitcnt lgkmcnt(2)
	v_add_f64 v[10:11], v[10:11], v[14:15]
	;; [unrolled: 2-line block ×3, first 2 shown]
	v_xor_b32_e32 v8, 2, v18
	v_cmp_gt_i32_e32 vcc_lo, 32, v8
	v_cndmask_b32_e32 v8, v18, v8, vcc_lo
	v_lshlrev_b32_e32 v17, 2, v8
	ds_bpermute_b32 v8, v17, v6
	ds_bpermute_b32 v9, v17, v7
	;; [unrolled: 1-line block ×6, first 2 shown]
	s_waitcnt lgkmcnt(4)
	v_add_f64 v[8:9], v[6:7], v[8:9]
	s_waitcnt lgkmcnt(2)
	v_add_f64 v[6:7], v[10:11], v[14:15]
	v_xor_b32_e32 v10, 1, v18
	s_waitcnt lgkmcnt(0)
	v_add_f64 v[12:13], v[12:13], v[16:17]
	v_cmp_gt_i32_e32 vcc_lo, 32, v10
	v_cndmask_b32_e32 v10, v18, v10, vcc_lo
	v_cmp_eq_u32_e32 vcc_lo, 15, v0
	v_lshlrev_b32_e32 v15, 2, v10
	ds_bpermute_b32 v10, v15, v8
	ds_bpermute_b32 v11, v15, v9
	;; [unrolled: 1-line block ×6, first 2 shown]
	s_and_b32 exec_lo, exec_lo, vcc_lo
	s_cbranch_execz .LBB54_23
; %bb.19:
	s_waitcnt lgkmcnt(4)
	v_add_f64 v[10:11], v[8:9], v[10:11]
	s_waitcnt lgkmcnt(2)
	v_add_f64 v[8:9], v[6:7], v[16:17]
	s_waitcnt lgkmcnt(0)
	v_add_f64 v[6:7], v[12:13], v[14:15]
	s_load_dwordx2 s[0:1], s[4:5], 0x38
	s_mov_b32 s2, exec_lo
	v_cmpx_eq_f64_e32 0, v[3:4]
	s_xor_b32 s2, exec_lo, s2
	s_cbranch_execz .LBB54_21
; %bb.20:
	v_lshl_add_u32 v0, v5, 1, v5
	v_mul_f64 v[10:11], v[1:2], v[10:11]
	v_mul_f64 v[12:13], v[1:2], v[8:9]
	;; [unrolled: 1-line block ×3, first 2 shown]
                                        ; implicit-def: $vgpr5
                                        ; implicit-def: $vgpr8_vgpr9
                                        ; implicit-def: $vgpr6_vgpr7
	v_ashrrev_i32_e32 v1, 31, v0
	v_lshlrev_b64 v[0:1], 3, v[0:1]
	s_waitcnt lgkmcnt(0)
	v_add_co_u32 v0, vcc_lo, s0, v0
	v_add_co_ci_u32_e64 v1, null, s1, v1, vcc_lo
	global_store_dwordx4 v[0:1], v[10:13], off
	global_store_dwordx2 v[0:1], v[2:3], off offset:16
                                        ; implicit-def: $vgpr1_vgpr2
                                        ; implicit-def: $vgpr10_vgpr11
                                        ; implicit-def: $vgpr3_vgpr4
.LBB54_21:
	s_andn2_saveexec_b32 s2, s2
	s_cbranch_execz .LBB54_23
; %bb.22:
	v_lshl_add_u32 v12, v5, 1, v5
	v_mul_f64 v[10:11], v[1:2], v[10:11]
	v_mul_f64 v[8:9], v[1:2], v[8:9]
	;; [unrolled: 1-line block ×3, first 2 shown]
	v_ashrrev_i32_e32 v13, 31, v12
	v_lshlrev_b64 v[12:13], 3, v[12:13]
	s_waitcnt lgkmcnt(0)
	v_add_co_u32 v16, vcc_lo, s0, v12
	v_add_co_ci_u32_e64 v17, null, s1, v13, vcc_lo
	s_clause 0x1
	global_load_dwordx4 v[12:15], v[16:17], off
	global_load_dwordx2 v[18:19], v[16:17], off offset:16
	s_waitcnt vmcnt(1)
	v_fma_f64 v[5:6], v[3:4], v[12:13], v[10:11]
	v_fma_f64 v[7:8], v[3:4], v[14:15], v[8:9]
	s_waitcnt vmcnt(0)
	v_fma_f64 v[0:1], v[3:4], v[18:19], v[0:1]
	global_store_dwordx4 v[16:17], v[5:8], off
	global_store_dwordx2 v[16:17], v[0:1], off offset:16
.LBB54_23:
	s_endpgm
	.section	.rodata,"a",@progbits
	.p2align	6, 0x0
	.amdhsa_kernel _ZN9rocsparseL19gebsrmvn_3xn_kernelILj128ELj5ELj16EdEEvi20rocsparse_direction_NS_24const_host_device_scalarIT2_EEPKiS6_PKS3_S8_S4_PS3_21rocsparse_index_base_b
		.amdhsa_group_segment_fixed_size 0
		.amdhsa_private_segment_fixed_size 0
		.amdhsa_kernarg_size 72
		.amdhsa_user_sgpr_count 6
		.amdhsa_user_sgpr_private_segment_buffer 1
		.amdhsa_user_sgpr_dispatch_ptr 0
		.amdhsa_user_sgpr_queue_ptr 0
		.amdhsa_user_sgpr_kernarg_segment_ptr 1
		.amdhsa_user_sgpr_dispatch_id 0
		.amdhsa_user_sgpr_flat_scratch_init 0
		.amdhsa_user_sgpr_private_segment_size 0
		.amdhsa_wavefront_size32 1
		.amdhsa_uses_dynamic_stack 0
		.amdhsa_system_sgpr_private_segment_wavefront_offset 0
		.amdhsa_system_sgpr_workgroup_id_x 1
		.amdhsa_system_sgpr_workgroup_id_y 0
		.amdhsa_system_sgpr_workgroup_id_z 0
		.amdhsa_system_sgpr_workgroup_info 0
		.amdhsa_system_vgpr_workitem_id 0
		.amdhsa_next_free_vgpr 59
		.amdhsa_next_free_sgpr 16
		.amdhsa_reserve_vcc 1
		.amdhsa_reserve_flat_scratch 0
		.amdhsa_float_round_mode_32 0
		.amdhsa_float_round_mode_16_64 0
		.amdhsa_float_denorm_mode_32 3
		.amdhsa_float_denorm_mode_16_64 3
		.amdhsa_dx10_clamp 1
		.amdhsa_ieee_mode 1
		.amdhsa_fp16_overflow 0
		.amdhsa_workgroup_processor_mode 1
		.amdhsa_memory_ordered 1
		.amdhsa_forward_progress 1
		.amdhsa_shared_vgpr_count 0
		.amdhsa_exception_fp_ieee_invalid_op 0
		.amdhsa_exception_fp_denorm_src 0
		.amdhsa_exception_fp_ieee_div_zero 0
		.amdhsa_exception_fp_ieee_overflow 0
		.amdhsa_exception_fp_ieee_underflow 0
		.amdhsa_exception_fp_ieee_inexact 0
		.amdhsa_exception_int_div_zero 0
	.end_amdhsa_kernel
	.section	.text._ZN9rocsparseL19gebsrmvn_3xn_kernelILj128ELj5ELj16EdEEvi20rocsparse_direction_NS_24const_host_device_scalarIT2_EEPKiS6_PKS3_S8_S4_PS3_21rocsparse_index_base_b,"axG",@progbits,_ZN9rocsparseL19gebsrmvn_3xn_kernelILj128ELj5ELj16EdEEvi20rocsparse_direction_NS_24const_host_device_scalarIT2_EEPKiS6_PKS3_S8_S4_PS3_21rocsparse_index_base_b,comdat
.Lfunc_end54:
	.size	_ZN9rocsparseL19gebsrmvn_3xn_kernelILj128ELj5ELj16EdEEvi20rocsparse_direction_NS_24const_host_device_scalarIT2_EEPKiS6_PKS3_S8_S4_PS3_21rocsparse_index_base_b, .Lfunc_end54-_ZN9rocsparseL19gebsrmvn_3xn_kernelILj128ELj5ELj16EdEEvi20rocsparse_direction_NS_24const_host_device_scalarIT2_EEPKiS6_PKS3_S8_S4_PS3_21rocsparse_index_base_b
                                        ; -- End function
	.set _ZN9rocsparseL19gebsrmvn_3xn_kernelILj128ELj5ELj16EdEEvi20rocsparse_direction_NS_24const_host_device_scalarIT2_EEPKiS6_PKS3_S8_S4_PS3_21rocsparse_index_base_b.num_vgpr, 59
	.set _ZN9rocsparseL19gebsrmvn_3xn_kernelILj128ELj5ELj16EdEEvi20rocsparse_direction_NS_24const_host_device_scalarIT2_EEPKiS6_PKS3_S8_S4_PS3_21rocsparse_index_base_b.num_agpr, 0
	.set _ZN9rocsparseL19gebsrmvn_3xn_kernelILj128ELj5ELj16EdEEvi20rocsparse_direction_NS_24const_host_device_scalarIT2_EEPKiS6_PKS3_S8_S4_PS3_21rocsparse_index_base_b.numbered_sgpr, 16
	.set _ZN9rocsparseL19gebsrmvn_3xn_kernelILj128ELj5ELj16EdEEvi20rocsparse_direction_NS_24const_host_device_scalarIT2_EEPKiS6_PKS3_S8_S4_PS3_21rocsparse_index_base_b.num_named_barrier, 0
	.set _ZN9rocsparseL19gebsrmvn_3xn_kernelILj128ELj5ELj16EdEEvi20rocsparse_direction_NS_24const_host_device_scalarIT2_EEPKiS6_PKS3_S8_S4_PS3_21rocsparse_index_base_b.private_seg_size, 0
	.set _ZN9rocsparseL19gebsrmvn_3xn_kernelILj128ELj5ELj16EdEEvi20rocsparse_direction_NS_24const_host_device_scalarIT2_EEPKiS6_PKS3_S8_S4_PS3_21rocsparse_index_base_b.uses_vcc, 1
	.set _ZN9rocsparseL19gebsrmvn_3xn_kernelILj128ELj5ELj16EdEEvi20rocsparse_direction_NS_24const_host_device_scalarIT2_EEPKiS6_PKS3_S8_S4_PS3_21rocsparse_index_base_b.uses_flat_scratch, 0
	.set _ZN9rocsparseL19gebsrmvn_3xn_kernelILj128ELj5ELj16EdEEvi20rocsparse_direction_NS_24const_host_device_scalarIT2_EEPKiS6_PKS3_S8_S4_PS3_21rocsparse_index_base_b.has_dyn_sized_stack, 0
	.set _ZN9rocsparseL19gebsrmvn_3xn_kernelILj128ELj5ELj16EdEEvi20rocsparse_direction_NS_24const_host_device_scalarIT2_EEPKiS6_PKS3_S8_S4_PS3_21rocsparse_index_base_b.has_recursion, 0
	.set _ZN9rocsparseL19gebsrmvn_3xn_kernelILj128ELj5ELj16EdEEvi20rocsparse_direction_NS_24const_host_device_scalarIT2_EEPKiS6_PKS3_S8_S4_PS3_21rocsparse_index_base_b.has_indirect_call, 0
	.section	.AMDGPU.csdata,"",@progbits
; Kernel info:
; codeLenInByte = 3080
; TotalNumSgprs: 18
; NumVgprs: 59
; ScratchSize: 0
; MemoryBound: 0
; FloatMode: 240
; IeeeMode: 1
; LDSByteSize: 0 bytes/workgroup (compile time only)
; SGPRBlocks: 0
; VGPRBlocks: 7
; NumSGPRsForWavesPerEU: 18
; NumVGPRsForWavesPerEU: 59
; Occupancy: 16
; WaveLimiterHint : 1
; COMPUTE_PGM_RSRC2:SCRATCH_EN: 0
; COMPUTE_PGM_RSRC2:USER_SGPR: 6
; COMPUTE_PGM_RSRC2:TRAP_HANDLER: 0
; COMPUTE_PGM_RSRC2:TGID_X_EN: 1
; COMPUTE_PGM_RSRC2:TGID_Y_EN: 0
; COMPUTE_PGM_RSRC2:TGID_Z_EN: 0
; COMPUTE_PGM_RSRC2:TIDIG_COMP_CNT: 0
	.section	.text._ZN9rocsparseL19gebsrmvn_3xn_kernelILj128ELj5ELj32EdEEvi20rocsparse_direction_NS_24const_host_device_scalarIT2_EEPKiS6_PKS3_S8_S4_PS3_21rocsparse_index_base_b,"axG",@progbits,_ZN9rocsparseL19gebsrmvn_3xn_kernelILj128ELj5ELj32EdEEvi20rocsparse_direction_NS_24const_host_device_scalarIT2_EEPKiS6_PKS3_S8_S4_PS3_21rocsparse_index_base_b,comdat
	.globl	_ZN9rocsparseL19gebsrmvn_3xn_kernelILj128ELj5ELj32EdEEvi20rocsparse_direction_NS_24const_host_device_scalarIT2_EEPKiS6_PKS3_S8_S4_PS3_21rocsparse_index_base_b ; -- Begin function _ZN9rocsparseL19gebsrmvn_3xn_kernelILj128ELj5ELj32EdEEvi20rocsparse_direction_NS_24const_host_device_scalarIT2_EEPKiS6_PKS3_S8_S4_PS3_21rocsparse_index_base_b
	.p2align	8
	.type	_ZN9rocsparseL19gebsrmvn_3xn_kernelILj128ELj5ELj32EdEEvi20rocsparse_direction_NS_24const_host_device_scalarIT2_EEPKiS6_PKS3_S8_S4_PS3_21rocsparse_index_base_b,@function
_ZN9rocsparseL19gebsrmvn_3xn_kernelILj128ELj5ELj32EdEEvi20rocsparse_direction_NS_24const_host_device_scalarIT2_EEPKiS6_PKS3_S8_S4_PS3_21rocsparse_index_base_b: ; @_ZN9rocsparseL19gebsrmvn_3xn_kernelILj128ELj5ELj32EdEEvi20rocsparse_direction_NS_24const_host_device_scalarIT2_EEPKiS6_PKS3_S8_S4_PS3_21rocsparse_index_base_b
; %bb.0:
	s_clause 0x2
	s_load_dwordx2 s[2:3], s[4:5], 0x40
	s_load_dwordx2 s[8:9], s[4:5], 0x8
	;; [unrolled: 1-line block ×3, first 2 shown]
	s_waitcnt lgkmcnt(0)
	s_bitcmp1_b32 s3, 0
	v_mov_b32_e32 v1, s8
	v_mov_b32_e32 v2, s9
	s_cselect_b32 s3, -1, 0
	s_and_b32 vcc_lo, exec_lo, s3
	s_xor_b32 s3, s3, -1
	s_cbranch_vccnz .LBB55_2
; %bb.1:
	v_mov_b32_e32 v1, s8
	v_mov_b32_e32 v2, s9
	flat_load_dwordx2 v[1:2], v[1:2]
.LBB55_2:
	v_mov_b32_e32 v4, s1
	v_mov_b32_e32 v3, s0
	s_andn2_b32 vcc_lo, exec_lo, s3
	s_cbranch_vccnz .LBB55_4
; %bb.3:
	v_mov_b32_e32 v4, s1
	v_mov_b32_e32 v3, s0
	flat_load_dwordx2 v[3:4], v[3:4]
.LBB55_4:
	s_waitcnt vmcnt(0) lgkmcnt(0)
	v_cmp_neq_f64_e32 vcc_lo, 0, v[1:2]
	v_cmp_neq_f64_e64 s0, 1.0, v[3:4]
	s_or_b32 s0, vcc_lo, s0
	s_and_saveexec_b32 s1, s0
	s_cbranch_execz .LBB55_23
; %bb.5:
	s_load_dwordx2 s[0:1], s[4:5], 0x0
	v_lshrrev_b32_e32 v5, 5, v0
	v_lshl_or_b32 v5, s6, 2, v5
	s_waitcnt lgkmcnt(0)
	v_cmp_gt_i32_e32 vcc_lo, s0, v5
	s_and_b32 exec_lo, exec_lo, vcc_lo
	s_cbranch_execz .LBB55_23
; %bb.6:
	s_load_dwordx8 s[8:15], s[4:5], 0x10
	v_ashrrev_i32_e32 v6, 31, v5
	v_and_b32_e32 v0, 31, v0
	s_cmp_lg_u32 s1, 0
	v_lshlrev_b64 v[6:7], 2, v[5:6]
	s_waitcnt lgkmcnt(0)
	v_add_co_u32 v6, vcc_lo, s8, v6
	v_add_co_ci_u32_e64 v7, null, s9, v7, vcc_lo
	global_load_dwordx2 v[6:7], v[6:7], off
	s_waitcnt vmcnt(0)
	v_subrev_nc_u32_e32 v6, s2, v6
	v_subrev_nc_u32_e32 v19, s2, v7
	v_add_nc_u32_e32 v12, v6, v0
	v_cmp_lt_i32_e64 s0, v12, v19
	s_cbranch_scc0 .LBB55_12
; %bb.7:
	v_mov_b32_e32 v6, 0
	v_mov_b32_e32 v8, 0
	;; [unrolled: 1-line block ×6, first 2 shown]
	s_and_saveexec_b32 s1, s0
	s_cbranch_execz .LBB55_11
; %bb.8:
	v_mad_u64_u32 v[13:14], null, v12, 15, 14
	v_mov_b32_e32 v6, 0
	v_mov_b32_e32 v8, 0
	;; [unrolled: 1-line block ×8, first 2 shown]
	s_mov_b32 s3, 0
.LBB55_9:                               ; =>This Inner Loop Header: Depth=1
	v_ashrrev_i32_e32 v18, 31, v17
	v_mov_b32_e32 v21, v16
	v_lshlrev_b64 v[14:15], 2, v[17:18]
	v_add_nc_u32_e32 v17, 32, v17
	v_add_co_u32 v14, vcc_lo, s10, v14
	v_add_co_ci_u32_e64 v15, null, s11, v15, vcc_lo
	global_load_dword v18, v[14:15], off
	v_add_nc_u32_e32 v15, -14, v13
	v_mov_b32_e32 v14, v16
	v_lshlrev_b64 v[22:23], 3, v[15:16]
	v_add_nc_u32_e32 v15, -13, v13
	v_lshlrev_b64 v[24:25], 3, v[13:14]
	v_lshlrev_b64 v[26:27], 3, v[15:16]
	v_add_nc_u32_e32 v15, -12, v13
	v_add_co_u32 v22, vcc_lo, s12, v22
	v_add_co_ci_u32_e64 v23, null, s13, v23, vcc_lo
	v_lshlrev_b64 v[28:29], 3, v[15:16]
	v_add_nc_u32_e32 v15, -11, v13
	v_add_co_u32 v24, vcc_lo, s12, v24
	v_add_co_ci_u32_e64 v25, null, s13, v25, vcc_lo
	v_lshlrev_b64 v[14:15], 3, v[15:16]
	v_add_co_u32 v26, vcc_lo, s12, v26
	v_add_co_ci_u32_e64 v27, null, s13, v27, vcc_lo
	v_add_co_u32 v28, vcc_lo, s12, v28
	v_add_co_ci_u32_e64 v29, null, s13, v29, vcc_lo
	;; [unrolled: 2-line block ×3, first 2 shown]
	s_clause 0x3
	global_load_dwordx2 v[22:23], v[22:23], off
	global_load_dwordx2 v[26:27], v[26:27], off
	;; [unrolled: 1-line block ×4, first 2 shown]
	s_waitcnt vmcnt(4)
	v_subrev_nc_u32_e32 v14, s2, v18
	v_lshl_add_u32 v20, v14, 2, v14
	v_lshlrev_b64 v[32:33], 3, v[20:21]
	v_add_nc_u32_e32 v15, 1, v20
	v_lshlrev_b64 v[34:35], 3, v[15:16]
	v_add_co_u32 v32, vcc_lo, s14, v32
	v_add_co_ci_u32_e64 v33, null, s15, v33, vcc_lo
	v_add_nc_u32_e32 v15, -10, v13
	v_add_co_u32 v34, vcc_lo, s14, v34
	global_load_dwordx2 v[32:33], v[32:33], off
	v_add_co_ci_u32_e64 v35, null, s15, v35, vcc_lo
	v_lshlrev_b64 v[36:37], 3, v[15:16]
	v_add_nc_u32_e32 v15, -9, v13
	global_load_dwordx2 v[34:35], v[34:35], off
	v_lshlrev_b64 v[38:39], 3, v[15:16]
	v_add_nc_u32_e32 v15, -8, v13
	v_add_co_u32 v36, vcc_lo, s12, v36
	v_add_co_ci_u32_e64 v37, null, s13, v37, vcc_lo
	v_add_co_u32 v38, vcc_lo, s12, v38
	v_lshlrev_b64 v[40:41], 3, v[15:16]
	v_add_nc_u32_e32 v15, 2, v20
	v_add_co_ci_u32_e64 v39, null, s13, v39, vcc_lo
	global_load_dwordx2 v[36:37], v[36:37], off
	v_lshlrev_b64 v[42:43], 3, v[15:16]
	v_add_nc_u32_e32 v15, -7, v13
	global_load_dwordx2 v[38:39], v[38:39], off
	v_add_co_u32 v40, vcc_lo, s12, v40
	v_add_co_ci_u32_e64 v41, null, s13, v41, vcc_lo
	v_lshlrev_b64 v[44:45], 3, v[15:16]
	v_add_nc_u32_e32 v15, -6, v13
	v_add_co_u32 v42, vcc_lo, s14, v42
	v_add_co_ci_u32_e64 v43, null, s15, v43, vcc_lo
	v_lshlrev_b64 v[46:47], 3, v[15:16]
	v_add_nc_u32_e32 v15, -5, v13
	v_add_co_u32 v44, vcc_lo, s12, v44
	v_add_co_ci_u32_e64 v45, null, s13, v45, vcc_lo
	v_add_co_u32 v46, vcc_lo, s12, v46
	v_lshlrev_b64 v[48:49], 3, v[15:16]
	v_add_nc_u32_e32 v15, 3, v20
	v_add_co_ci_u32_e64 v47, null, s13, v47, vcc_lo
	global_load_dwordx2 v[40:41], v[40:41], off
	global_load_dwordx2 v[42:43], v[42:43], off
	s_clause 0x1
	global_load_dwordx2 v[44:45], v[44:45], off
	global_load_dwordx2 v[46:47], v[46:47], off
	v_lshlrev_b64 v[50:51], 3, v[15:16]
	v_add_nc_u32_e32 v15, -4, v13
	v_add_co_u32 v48, vcc_lo, s12, v48
	v_add_co_ci_u32_e64 v49, null, s13, v49, vcc_lo
	v_lshlrev_b64 v[52:53], 3, v[15:16]
	v_add_nc_u32_e32 v15, -3, v13
	v_add_co_u32 v50, vcc_lo, s14, v50
	v_add_co_ci_u32_e64 v51, null, s15, v51, vcc_lo
	;; [unrolled: 4-line block ×3, first 2 shown]
	v_add_co_u32 v14, vcc_lo, s12, v54
	v_lshlrev_b64 v[56:57], 3, v[15:16]
	v_add_co_ci_u32_e64 v15, null, s13, v55, vcc_lo
	global_load_dwordx2 v[48:49], v[48:49], off
	global_load_dwordx2 v[50:51], v[50:51], off
	s_clause 0x1
	global_load_dwordx2 v[52:53], v[52:53], off
	global_load_dwordx2 v[54:55], v[14:15], off
	v_add_nc_u32_e32 v15, 4, v20
	v_add_co_u32 v56, vcc_lo, s12, v56
	v_add_co_ci_u32_e64 v57, null, s13, v57, vcc_lo
	v_lshlrev_b64 v[20:21], 3, v[15:16]
	v_add_nc_u32_e32 v15, -1, v13
	v_add_nc_u32_e32 v13, 0x1e0, v13
	v_lshlrev_b64 v[14:15], 3, v[15:16]
	v_add_co_u32 v20, vcc_lo, s14, v20
	v_add_co_ci_u32_e64 v21, null, s15, v21, vcc_lo
	v_add_co_u32 v14, vcc_lo, s12, v14
	v_add_co_ci_u32_e64 v15, null, s13, v15, vcc_lo
	global_load_dwordx2 v[56:57], v[56:57], off
	global_load_dwordx2 v[20:21], v[20:21], off
	s_clause 0x1
	global_load_dwordx2 v[14:15], v[14:15], off
	global_load_dwordx2 v[24:25], v[24:25], off
	v_cmp_ge_i32_e32 vcc_lo, v17, v19
	s_or_b32 s3, vcc_lo, s3
	s_waitcnt vmcnt(15)
	v_fma_f64 v[6:7], v[22:23], v[32:33], v[6:7]
	v_fma_f64 v[10:11], v[26:27], v[32:33], v[10:11]
	;; [unrolled: 1-line block ×3, first 2 shown]
	s_waitcnt vmcnt(14)
	v_fma_f64 v[6:7], v[30:31], v[34:35], v[6:7]
	s_waitcnt vmcnt(13)
	v_fma_f64 v[10:11], v[36:37], v[34:35], v[10:11]
	s_waitcnt vmcnt(12)
	v_fma_f64 v[8:9], v[38:39], v[34:35], v[8:9]
	s_waitcnt vmcnt(10)
	v_fma_f64 v[6:7], v[40:41], v[42:43], v[6:7]
	s_waitcnt vmcnt(9)
	v_fma_f64 v[10:11], v[44:45], v[42:43], v[10:11]
	s_waitcnt vmcnt(8)
	v_fma_f64 v[8:9], v[46:47], v[42:43], v[8:9]
	s_waitcnt vmcnt(6)
	v_fma_f64 v[6:7], v[48:49], v[50:51], v[6:7]
	s_waitcnt vmcnt(5)
	v_fma_f64 v[10:11], v[52:53], v[50:51], v[10:11]
	s_waitcnt vmcnt(4)
	v_fma_f64 v[8:9], v[54:55], v[50:51], v[8:9]
	s_waitcnt vmcnt(2)
	v_fma_f64 v[6:7], v[56:57], v[20:21], v[6:7]
	s_waitcnt vmcnt(1)
	v_fma_f64 v[10:11], v[14:15], v[20:21], v[10:11]
	s_waitcnt vmcnt(0)
	v_fma_f64 v[8:9], v[24:25], v[20:21], v[8:9]
	s_andn2_b32 exec_lo, exec_lo, s3
	s_cbranch_execnz .LBB55_9
; %bb.10:
	s_or_b32 exec_lo, exec_lo, s3
.LBB55_11:
	s_or_b32 exec_lo, exec_lo, s1
	s_cbranch_execz .LBB55_13
	s_branch .LBB55_18
.LBB55_12:
                                        ; implicit-def: $vgpr6_vgpr7
                                        ; implicit-def: $vgpr8_vgpr9
                                        ; implicit-def: $vgpr10_vgpr11
.LBB55_13:
	v_mov_b32_e32 v6, 0
	v_mov_b32_e32 v8, 0
	;; [unrolled: 1-line block ×6, first 2 shown]
	s_and_saveexec_b32 s1, s0
	s_cbranch_execz .LBB55_17
; %bb.14:
	v_mad_u64_u32 v[14:15], null, v12, 15, 14
	v_mov_b32_e32 v6, 0
	v_mov_b32_e32 v8, 0
	;; [unrolled: 1-line block ×7, first 2 shown]
	s_mov_b32 s0, 0
.LBB55_15:                              ; =>This Inner Loop Header: Depth=1
	v_ashrrev_i32_e32 v13, 31, v12
	v_add_nc_u32_e32 v20, -9, v14
	v_mov_b32_e32 v21, v17
	v_add_nc_u32_e32 v22, -4, v14
	v_mov_b32_e32 v23, v17
	v_lshlrev_b64 v[15:16], 2, v[12:13]
	v_mov_b32_e32 v24, v17
	v_lshlrev_b64 v[20:21], 3, v[20:21]
	v_add_nc_u32_e32 v12, 32, v12
	v_lshlrev_b64 v[22:23], 3, v[22:23]
	v_add_co_u32 v15, vcc_lo, s10, v15
	v_add_co_ci_u32_e64 v16, null, s11, v16, vcc_lo
	global_load_dword v13, v[15:16], off
	v_add_nc_u32_e32 v16, -14, v14
	v_mov_b32_e32 v15, v17
	v_lshlrev_b64 v[25:26], 3, v[16:17]
	v_add_nc_u32_e32 v16, -13, v14
	v_lshlrev_b64 v[27:28], 3, v[14:15]
	v_lshlrev_b64 v[15:16], 3, v[16:17]
	v_add_co_u32 v25, vcc_lo, s12, v25
	v_add_co_ci_u32_e64 v26, null, s13, v26, vcc_lo
	v_add_co_u32 v20, vcc_lo, s12, v20
	v_add_co_ci_u32_e64 v21, null, s13, v21, vcc_lo
	;; [unrolled: 2-line block ×5, first 2 shown]
	s_clause 0x3
	global_load_dwordx2 v[25:26], v[25:26], off
	global_load_dwordx2 v[20:21], v[20:21], off
	global_load_dwordx2 v[29:30], v[22:23], off
	global_load_dwordx2 v[31:32], v[15:16], off
	s_waitcnt vmcnt(4)
	v_subrev_nc_u32_e32 v13, s2, v13
	v_lshl_add_u32 v23, v13, 2, v13
	v_lshlrev_b64 v[33:34], 3, v[23:24]
	v_add_nc_u32_e32 v16, 1, v23
	v_lshlrev_b64 v[35:36], 3, v[16:17]
	v_add_co_u32 v33, vcc_lo, s14, v33
	v_add_co_ci_u32_e64 v34, null, s15, v34, vcc_lo
	v_add_nc_u32_e32 v16, -8, v14
	v_add_co_u32 v35, vcc_lo, s14, v35
	global_load_dwordx2 v[33:34], v[33:34], off
	v_add_co_ci_u32_e64 v36, null, s15, v36, vcc_lo
	v_lshlrev_b64 v[37:38], 3, v[16:17]
	v_add_nc_u32_e32 v16, -3, v14
	global_load_dwordx2 v[35:36], v[35:36], off
	v_lshlrev_b64 v[39:40], 3, v[16:17]
	v_add_nc_u32_e32 v16, -12, v14
	v_add_co_u32 v37, vcc_lo, s12, v37
	v_add_co_ci_u32_e64 v38, null, s13, v38, vcc_lo
	v_add_co_u32 v39, vcc_lo, s12, v39
	v_lshlrev_b64 v[41:42], 3, v[16:17]
	v_add_nc_u32_e32 v16, 2, v23
	v_add_co_ci_u32_e64 v40, null, s13, v40, vcc_lo
	global_load_dwordx2 v[37:38], v[37:38], off
	v_lshlrev_b64 v[43:44], 3, v[16:17]
	v_add_nc_u32_e32 v16, -7, v14
	global_load_dwordx2 v[39:40], v[39:40], off
	v_add_co_u32 v41, vcc_lo, s12, v41
	v_add_co_ci_u32_e64 v42, null, s13, v42, vcc_lo
	v_lshlrev_b64 v[45:46], 3, v[16:17]
	v_add_nc_u32_e32 v16, -2, v14
	v_add_co_u32 v43, vcc_lo, s14, v43
	v_add_co_ci_u32_e64 v44, null, s15, v44, vcc_lo
	v_lshlrev_b64 v[47:48], 3, v[16:17]
	v_add_nc_u32_e32 v16, -11, v14
	v_add_co_u32 v45, vcc_lo, s12, v45
	v_add_co_ci_u32_e64 v46, null, s13, v46, vcc_lo
	v_add_co_u32 v47, vcc_lo, s12, v47
	v_lshlrev_b64 v[49:50], 3, v[16:17]
	v_add_nc_u32_e32 v16, 3, v23
	v_add_co_ci_u32_e64 v48, null, s13, v48, vcc_lo
	global_load_dwordx2 v[41:42], v[41:42], off
	global_load_dwordx2 v[43:44], v[43:44], off
	s_clause 0x1
	global_load_dwordx2 v[45:46], v[45:46], off
	global_load_dwordx2 v[47:48], v[47:48], off
	v_lshlrev_b64 v[51:52], 3, v[16:17]
	v_add_nc_u32_e32 v16, -6, v14
	v_add_co_u32 v49, vcc_lo, s12, v49
	v_add_co_ci_u32_e64 v50, null, s13, v50, vcc_lo
	v_lshlrev_b64 v[53:54], 3, v[16:17]
	v_add_nc_u32_e32 v16, -1, v14
	v_add_co_u32 v51, vcc_lo, s14, v51
	v_add_co_ci_u32_e64 v52, null, s15, v52, vcc_lo
	;; [unrolled: 4-line block ×3, first 2 shown]
	v_add_co_u32 v15, vcc_lo, s12, v55
	v_lshlrev_b64 v[57:58], 3, v[16:17]
	v_add_co_ci_u32_e64 v16, null, s13, v56, vcc_lo
	global_load_dwordx2 v[49:50], v[49:50], off
	global_load_dwordx2 v[51:52], v[51:52], off
	s_clause 0x1
	global_load_dwordx2 v[53:54], v[53:54], off
	global_load_dwordx2 v[55:56], v[15:16], off
	v_add_nc_u32_e32 v16, 4, v23
	v_add_co_u32 v57, vcc_lo, s12, v57
	v_add_co_ci_u32_e64 v58, null, s13, v58, vcc_lo
	v_lshlrev_b64 v[22:23], 3, v[16:17]
	v_add_nc_u32_e32 v16, -5, v14
	v_add_nc_u32_e32 v14, 0x1e0, v14
	v_lshlrev_b64 v[15:16], 3, v[16:17]
	v_add_co_u32 v22, vcc_lo, s14, v22
	v_add_co_ci_u32_e64 v23, null, s15, v23, vcc_lo
	v_add_co_u32 v15, vcc_lo, s12, v15
	v_add_co_ci_u32_e64 v16, null, s13, v16, vcc_lo
	global_load_dwordx2 v[57:58], v[57:58], off
	global_load_dwordx2 v[22:23], v[22:23], off
	s_clause 0x1
	global_load_dwordx2 v[15:16], v[15:16], off
	global_load_dwordx2 v[27:28], v[27:28], off
	v_cmp_ge_i32_e32 vcc_lo, v12, v19
	s_or_b32 s0, vcc_lo, s0
	s_waitcnt vmcnt(15)
	v_fma_f64 v[6:7], v[25:26], v[33:34], v[6:7]
	v_fma_f64 v[10:11], v[20:21], v[33:34], v[10:11]
	;; [unrolled: 1-line block ×3, first 2 shown]
	s_waitcnt vmcnt(14)
	v_fma_f64 v[6:7], v[31:32], v[35:36], v[6:7]
	s_waitcnt vmcnt(13)
	v_fma_f64 v[10:11], v[37:38], v[35:36], v[10:11]
	;; [unrolled: 2-line block ×12, first 2 shown]
	s_andn2_b32 exec_lo, exec_lo, s0
	s_cbranch_execnz .LBB55_15
; %bb.16:
	s_or_b32 exec_lo, exec_lo, s0
.LBB55_17:
	s_or_b32 exec_lo, exec_lo, s1
.LBB55_18:
	v_mbcnt_lo_u32_b32 v18, -1, 0
	v_xor_b32_e32 v12, 16, v18
	v_cmp_gt_i32_e32 vcc_lo, 32, v12
	v_cndmask_b32_e32 v12, v18, v12, vcc_lo
	v_lshlrev_b32_e32 v17, 2, v12
	ds_bpermute_b32 v12, v17, v6
	ds_bpermute_b32 v13, v17, v7
	;; [unrolled: 1-line block ×6, first 2 shown]
	s_waitcnt lgkmcnt(4)
	v_add_f64 v[6:7], v[6:7], v[12:13]
	v_xor_b32_e32 v12, 8, v18
	s_waitcnt lgkmcnt(2)
	v_add_f64 v[10:11], v[10:11], v[14:15]
	s_waitcnt lgkmcnt(0)
	v_add_f64 v[8:9], v[8:9], v[16:17]
	v_cmp_gt_i32_e32 vcc_lo, 32, v12
	v_cndmask_b32_e32 v12, v18, v12, vcc_lo
	v_lshlrev_b32_e32 v17, 2, v12
	ds_bpermute_b32 v12, v17, v6
	ds_bpermute_b32 v13, v17, v7
	;; [unrolled: 1-line block ×6, first 2 shown]
	s_waitcnt lgkmcnt(4)
	v_add_f64 v[6:7], v[6:7], v[12:13]
	v_xor_b32_e32 v12, 4, v18
	s_waitcnt lgkmcnt(2)
	v_add_f64 v[10:11], v[10:11], v[14:15]
	s_waitcnt lgkmcnt(0)
	v_add_f64 v[8:9], v[8:9], v[16:17]
	v_cmp_gt_i32_e32 vcc_lo, 32, v12
	v_cndmask_b32_e32 v12, v18, v12, vcc_lo
	v_lshlrev_b32_e32 v17, 2, v12
	ds_bpermute_b32 v12, v17, v6
	ds_bpermute_b32 v13, v17, v7
	;; [unrolled: 1-line block ×6, first 2 shown]
	s_waitcnt lgkmcnt(4)
	v_add_f64 v[6:7], v[6:7], v[12:13]
	s_waitcnt lgkmcnt(2)
	v_add_f64 v[10:11], v[10:11], v[14:15]
	;; [unrolled: 2-line block ×3, first 2 shown]
	v_xor_b32_e32 v8, 2, v18
	v_cmp_gt_i32_e32 vcc_lo, 32, v8
	v_cndmask_b32_e32 v8, v18, v8, vcc_lo
	v_lshlrev_b32_e32 v17, 2, v8
	ds_bpermute_b32 v8, v17, v6
	ds_bpermute_b32 v9, v17, v7
	;; [unrolled: 1-line block ×6, first 2 shown]
	s_waitcnt lgkmcnt(4)
	v_add_f64 v[8:9], v[6:7], v[8:9]
	s_waitcnt lgkmcnt(2)
	v_add_f64 v[6:7], v[10:11], v[14:15]
	v_xor_b32_e32 v10, 1, v18
	s_waitcnt lgkmcnt(0)
	v_add_f64 v[12:13], v[12:13], v[16:17]
	v_cmp_gt_i32_e32 vcc_lo, 32, v10
	v_cndmask_b32_e32 v10, v18, v10, vcc_lo
	v_cmp_eq_u32_e32 vcc_lo, 31, v0
	v_lshlrev_b32_e32 v15, 2, v10
	ds_bpermute_b32 v10, v15, v8
	ds_bpermute_b32 v11, v15, v9
	;; [unrolled: 1-line block ×6, first 2 shown]
	s_and_b32 exec_lo, exec_lo, vcc_lo
	s_cbranch_execz .LBB55_23
; %bb.19:
	s_waitcnt lgkmcnt(4)
	v_add_f64 v[10:11], v[8:9], v[10:11]
	s_waitcnt lgkmcnt(2)
	v_add_f64 v[8:9], v[6:7], v[16:17]
	s_waitcnt lgkmcnt(0)
	v_add_f64 v[6:7], v[12:13], v[14:15]
	s_load_dwordx2 s[0:1], s[4:5], 0x38
	s_mov_b32 s2, exec_lo
	v_cmpx_eq_f64_e32 0, v[3:4]
	s_xor_b32 s2, exec_lo, s2
	s_cbranch_execz .LBB55_21
; %bb.20:
	v_lshl_add_u32 v0, v5, 1, v5
	v_mul_f64 v[10:11], v[1:2], v[10:11]
	v_mul_f64 v[12:13], v[1:2], v[8:9]
	;; [unrolled: 1-line block ×3, first 2 shown]
                                        ; implicit-def: $vgpr5
                                        ; implicit-def: $vgpr8_vgpr9
                                        ; implicit-def: $vgpr6_vgpr7
	v_ashrrev_i32_e32 v1, 31, v0
	v_lshlrev_b64 v[0:1], 3, v[0:1]
	s_waitcnt lgkmcnt(0)
	v_add_co_u32 v0, vcc_lo, s0, v0
	v_add_co_ci_u32_e64 v1, null, s1, v1, vcc_lo
	global_store_dwordx4 v[0:1], v[10:13], off
	global_store_dwordx2 v[0:1], v[2:3], off offset:16
                                        ; implicit-def: $vgpr1_vgpr2
                                        ; implicit-def: $vgpr10_vgpr11
                                        ; implicit-def: $vgpr3_vgpr4
.LBB55_21:
	s_andn2_saveexec_b32 s2, s2
	s_cbranch_execz .LBB55_23
; %bb.22:
	v_lshl_add_u32 v12, v5, 1, v5
	v_mul_f64 v[10:11], v[1:2], v[10:11]
	v_mul_f64 v[8:9], v[1:2], v[8:9]
	;; [unrolled: 1-line block ×3, first 2 shown]
	v_ashrrev_i32_e32 v13, 31, v12
	v_lshlrev_b64 v[12:13], 3, v[12:13]
	s_waitcnt lgkmcnt(0)
	v_add_co_u32 v16, vcc_lo, s0, v12
	v_add_co_ci_u32_e64 v17, null, s1, v13, vcc_lo
	s_clause 0x1
	global_load_dwordx4 v[12:15], v[16:17], off
	global_load_dwordx2 v[18:19], v[16:17], off offset:16
	s_waitcnt vmcnt(1)
	v_fma_f64 v[5:6], v[3:4], v[12:13], v[10:11]
	v_fma_f64 v[7:8], v[3:4], v[14:15], v[8:9]
	s_waitcnt vmcnt(0)
	v_fma_f64 v[0:1], v[3:4], v[18:19], v[0:1]
	global_store_dwordx4 v[16:17], v[5:8], off
	global_store_dwordx2 v[16:17], v[0:1], off offset:16
.LBB55_23:
	s_endpgm
	.section	.rodata,"a",@progbits
	.p2align	6, 0x0
	.amdhsa_kernel _ZN9rocsparseL19gebsrmvn_3xn_kernelILj128ELj5ELj32EdEEvi20rocsparse_direction_NS_24const_host_device_scalarIT2_EEPKiS6_PKS3_S8_S4_PS3_21rocsparse_index_base_b
		.amdhsa_group_segment_fixed_size 0
		.amdhsa_private_segment_fixed_size 0
		.amdhsa_kernarg_size 72
		.amdhsa_user_sgpr_count 6
		.amdhsa_user_sgpr_private_segment_buffer 1
		.amdhsa_user_sgpr_dispatch_ptr 0
		.amdhsa_user_sgpr_queue_ptr 0
		.amdhsa_user_sgpr_kernarg_segment_ptr 1
		.amdhsa_user_sgpr_dispatch_id 0
		.amdhsa_user_sgpr_flat_scratch_init 0
		.amdhsa_user_sgpr_private_segment_size 0
		.amdhsa_wavefront_size32 1
		.amdhsa_uses_dynamic_stack 0
		.amdhsa_system_sgpr_private_segment_wavefront_offset 0
		.amdhsa_system_sgpr_workgroup_id_x 1
		.amdhsa_system_sgpr_workgroup_id_y 0
		.amdhsa_system_sgpr_workgroup_id_z 0
		.amdhsa_system_sgpr_workgroup_info 0
		.amdhsa_system_vgpr_workitem_id 0
		.amdhsa_next_free_vgpr 59
		.amdhsa_next_free_sgpr 16
		.amdhsa_reserve_vcc 1
		.amdhsa_reserve_flat_scratch 0
		.amdhsa_float_round_mode_32 0
		.amdhsa_float_round_mode_16_64 0
		.amdhsa_float_denorm_mode_32 3
		.amdhsa_float_denorm_mode_16_64 3
		.amdhsa_dx10_clamp 1
		.amdhsa_ieee_mode 1
		.amdhsa_fp16_overflow 0
		.amdhsa_workgroup_processor_mode 1
		.amdhsa_memory_ordered 1
		.amdhsa_forward_progress 1
		.amdhsa_shared_vgpr_count 0
		.amdhsa_exception_fp_ieee_invalid_op 0
		.amdhsa_exception_fp_denorm_src 0
		.amdhsa_exception_fp_ieee_div_zero 0
		.amdhsa_exception_fp_ieee_overflow 0
		.amdhsa_exception_fp_ieee_underflow 0
		.amdhsa_exception_fp_ieee_inexact 0
		.amdhsa_exception_int_div_zero 0
	.end_amdhsa_kernel
	.section	.text._ZN9rocsparseL19gebsrmvn_3xn_kernelILj128ELj5ELj32EdEEvi20rocsparse_direction_NS_24const_host_device_scalarIT2_EEPKiS6_PKS3_S8_S4_PS3_21rocsparse_index_base_b,"axG",@progbits,_ZN9rocsparseL19gebsrmvn_3xn_kernelILj128ELj5ELj32EdEEvi20rocsparse_direction_NS_24const_host_device_scalarIT2_EEPKiS6_PKS3_S8_S4_PS3_21rocsparse_index_base_b,comdat
.Lfunc_end55:
	.size	_ZN9rocsparseL19gebsrmvn_3xn_kernelILj128ELj5ELj32EdEEvi20rocsparse_direction_NS_24const_host_device_scalarIT2_EEPKiS6_PKS3_S8_S4_PS3_21rocsparse_index_base_b, .Lfunc_end55-_ZN9rocsparseL19gebsrmvn_3xn_kernelILj128ELj5ELj32EdEEvi20rocsparse_direction_NS_24const_host_device_scalarIT2_EEPKiS6_PKS3_S8_S4_PS3_21rocsparse_index_base_b
                                        ; -- End function
	.set _ZN9rocsparseL19gebsrmvn_3xn_kernelILj128ELj5ELj32EdEEvi20rocsparse_direction_NS_24const_host_device_scalarIT2_EEPKiS6_PKS3_S8_S4_PS3_21rocsparse_index_base_b.num_vgpr, 59
	.set _ZN9rocsparseL19gebsrmvn_3xn_kernelILj128ELj5ELj32EdEEvi20rocsparse_direction_NS_24const_host_device_scalarIT2_EEPKiS6_PKS3_S8_S4_PS3_21rocsparse_index_base_b.num_agpr, 0
	.set _ZN9rocsparseL19gebsrmvn_3xn_kernelILj128ELj5ELj32EdEEvi20rocsparse_direction_NS_24const_host_device_scalarIT2_EEPKiS6_PKS3_S8_S4_PS3_21rocsparse_index_base_b.numbered_sgpr, 16
	.set _ZN9rocsparseL19gebsrmvn_3xn_kernelILj128ELj5ELj32EdEEvi20rocsparse_direction_NS_24const_host_device_scalarIT2_EEPKiS6_PKS3_S8_S4_PS3_21rocsparse_index_base_b.num_named_barrier, 0
	.set _ZN9rocsparseL19gebsrmvn_3xn_kernelILj128ELj5ELj32EdEEvi20rocsparse_direction_NS_24const_host_device_scalarIT2_EEPKiS6_PKS3_S8_S4_PS3_21rocsparse_index_base_b.private_seg_size, 0
	.set _ZN9rocsparseL19gebsrmvn_3xn_kernelILj128ELj5ELj32EdEEvi20rocsparse_direction_NS_24const_host_device_scalarIT2_EEPKiS6_PKS3_S8_S4_PS3_21rocsparse_index_base_b.uses_vcc, 1
	.set _ZN9rocsparseL19gebsrmvn_3xn_kernelILj128ELj5ELj32EdEEvi20rocsparse_direction_NS_24const_host_device_scalarIT2_EEPKiS6_PKS3_S8_S4_PS3_21rocsparse_index_base_b.uses_flat_scratch, 0
	.set _ZN9rocsparseL19gebsrmvn_3xn_kernelILj128ELj5ELj32EdEEvi20rocsparse_direction_NS_24const_host_device_scalarIT2_EEPKiS6_PKS3_S8_S4_PS3_21rocsparse_index_base_b.has_dyn_sized_stack, 0
	.set _ZN9rocsparseL19gebsrmvn_3xn_kernelILj128ELj5ELj32EdEEvi20rocsparse_direction_NS_24const_host_device_scalarIT2_EEPKiS6_PKS3_S8_S4_PS3_21rocsparse_index_base_b.has_recursion, 0
	.set _ZN9rocsparseL19gebsrmvn_3xn_kernelILj128ELj5ELj32EdEEvi20rocsparse_direction_NS_24const_host_device_scalarIT2_EEPKiS6_PKS3_S8_S4_PS3_21rocsparse_index_base_b.has_indirect_call, 0
	.section	.AMDGPU.csdata,"",@progbits
; Kernel info:
; codeLenInByte = 3180
; TotalNumSgprs: 18
; NumVgprs: 59
; ScratchSize: 0
; MemoryBound: 0
; FloatMode: 240
; IeeeMode: 1
; LDSByteSize: 0 bytes/workgroup (compile time only)
; SGPRBlocks: 0
; VGPRBlocks: 7
; NumSGPRsForWavesPerEU: 18
; NumVGPRsForWavesPerEU: 59
; Occupancy: 16
; WaveLimiterHint : 1
; COMPUTE_PGM_RSRC2:SCRATCH_EN: 0
; COMPUTE_PGM_RSRC2:USER_SGPR: 6
; COMPUTE_PGM_RSRC2:TRAP_HANDLER: 0
; COMPUTE_PGM_RSRC2:TGID_X_EN: 1
; COMPUTE_PGM_RSRC2:TGID_Y_EN: 0
; COMPUTE_PGM_RSRC2:TGID_Z_EN: 0
; COMPUTE_PGM_RSRC2:TIDIG_COMP_CNT: 0
	.section	.text._ZN9rocsparseL19gebsrmvn_3xn_kernelILj128ELj5ELj64EdEEvi20rocsparse_direction_NS_24const_host_device_scalarIT2_EEPKiS6_PKS3_S8_S4_PS3_21rocsparse_index_base_b,"axG",@progbits,_ZN9rocsparseL19gebsrmvn_3xn_kernelILj128ELj5ELj64EdEEvi20rocsparse_direction_NS_24const_host_device_scalarIT2_EEPKiS6_PKS3_S8_S4_PS3_21rocsparse_index_base_b,comdat
	.globl	_ZN9rocsparseL19gebsrmvn_3xn_kernelILj128ELj5ELj64EdEEvi20rocsparse_direction_NS_24const_host_device_scalarIT2_EEPKiS6_PKS3_S8_S4_PS3_21rocsparse_index_base_b ; -- Begin function _ZN9rocsparseL19gebsrmvn_3xn_kernelILj128ELj5ELj64EdEEvi20rocsparse_direction_NS_24const_host_device_scalarIT2_EEPKiS6_PKS3_S8_S4_PS3_21rocsparse_index_base_b
	.p2align	8
	.type	_ZN9rocsparseL19gebsrmvn_3xn_kernelILj128ELj5ELj64EdEEvi20rocsparse_direction_NS_24const_host_device_scalarIT2_EEPKiS6_PKS3_S8_S4_PS3_21rocsparse_index_base_b,@function
_ZN9rocsparseL19gebsrmvn_3xn_kernelILj128ELj5ELj64EdEEvi20rocsparse_direction_NS_24const_host_device_scalarIT2_EEPKiS6_PKS3_S8_S4_PS3_21rocsparse_index_base_b: ; @_ZN9rocsparseL19gebsrmvn_3xn_kernelILj128ELj5ELj64EdEEvi20rocsparse_direction_NS_24const_host_device_scalarIT2_EEPKiS6_PKS3_S8_S4_PS3_21rocsparse_index_base_b
; %bb.0:
	s_clause 0x2
	s_load_dwordx2 s[2:3], s[4:5], 0x40
	s_load_dwordx2 s[8:9], s[4:5], 0x8
	;; [unrolled: 1-line block ×3, first 2 shown]
	s_waitcnt lgkmcnt(0)
	s_bitcmp1_b32 s3, 0
	v_mov_b32_e32 v1, s8
	v_mov_b32_e32 v2, s9
	s_cselect_b32 s3, -1, 0
	s_and_b32 vcc_lo, exec_lo, s3
	s_xor_b32 s3, s3, -1
	s_cbranch_vccnz .LBB56_2
; %bb.1:
	v_mov_b32_e32 v1, s8
	v_mov_b32_e32 v2, s9
	flat_load_dwordx2 v[1:2], v[1:2]
.LBB56_2:
	v_mov_b32_e32 v4, s1
	v_mov_b32_e32 v3, s0
	s_andn2_b32 vcc_lo, exec_lo, s3
	s_cbranch_vccnz .LBB56_4
; %bb.3:
	v_mov_b32_e32 v4, s1
	v_mov_b32_e32 v3, s0
	flat_load_dwordx2 v[3:4], v[3:4]
.LBB56_4:
	s_waitcnt vmcnt(0) lgkmcnt(0)
	v_cmp_neq_f64_e32 vcc_lo, 0, v[1:2]
	v_cmp_neq_f64_e64 s0, 1.0, v[3:4]
	s_or_b32 s0, vcc_lo, s0
	s_and_saveexec_b32 s1, s0
	s_cbranch_execz .LBB56_23
; %bb.5:
	s_load_dwordx2 s[0:1], s[4:5], 0x0
	v_lshrrev_b32_e32 v5, 6, v0
	v_lshl_or_b32 v5, s6, 1, v5
	s_waitcnt lgkmcnt(0)
	v_cmp_gt_i32_e32 vcc_lo, s0, v5
	s_and_b32 exec_lo, exec_lo, vcc_lo
	s_cbranch_execz .LBB56_23
; %bb.6:
	s_load_dwordx8 s[8:15], s[4:5], 0x10
	v_ashrrev_i32_e32 v6, 31, v5
	v_and_b32_e32 v0, 63, v0
	s_cmp_lg_u32 s1, 0
	v_lshlrev_b64 v[6:7], 2, v[5:6]
	s_waitcnt lgkmcnt(0)
	v_add_co_u32 v6, vcc_lo, s8, v6
	v_add_co_ci_u32_e64 v7, null, s9, v7, vcc_lo
	global_load_dwordx2 v[6:7], v[6:7], off
	s_waitcnt vmcnt(0)
	v_subrev_nc_u32_e32 v6, s2, v6
	v_subrev_nc_u32_e32 v19, s2, v7
	v_add_nc_u32_e32 v12, v6, v0
	v_cmp_lt_i32_e64 s0, v12, v19
	s_cbranch_scc0 .LBB56_12
; %bb.7:
	v_mov_b32_e32 v6, 0
	v_mov_b32_e32 v8, 0
	;; [unrolled: 1-line block ×6, first 2 shown]
	s_and_saveexec_b32 s1, s0
	s_cbranch_execz .LBB56_11
; %bb.8:
	v_mad_u64_u32 v[13:14], null, v12, 15, 14
	v_mov_b32_e32 v6, 0
	v_mov_b32_e32 v8, 0
	;; [unrolled: 1-line block ×8, first 2 shown]
	s_mov_b32 s3, 0
.LBB56_9:                               ; =>This Inner Loop Header: Depth=1
	v_ashrrev_i32_e32 v18, 31, v17
	v_mov_b32_e32 v21, v16
	v_lshlrev_b64 v[14:15], 2, v[17:18]
	v_add_nc_u32_e32 v17, 64, v17
	v_add_co_u32 v14, vcc_lo, s10, v14
	v_add_co_ci_u32_e64 v15, null, s11, v15, vcc_lo
	global_load_dword v18, v[14:15], off
	v_add_nc_u32_e32 v15, -14, v13
	v_mov_b32_e32 v14, v16
	v_lshlrev_b64 v[22:23], 3, v[15:16]
	v_add_nc_u32_e32 v15, -13, v13
	v_lshlrev_b64 v[24:25], 3, v[13:14]
	v_lshlrev_b64 v[26:27], 3, v[15:16]
	v_add_nc_u32_e32 v15, -12, v13
	v_add_co_u32 v22, vcc_lo, s12, v22
	v_add_co_ci_u32_e64 v23, null, s13, v23, vcc_lo
	v_lshlrev_b64 v[28:29], 3, v[15:16]
	v_add_nc_u32_e32 v15, -11, v13
	v_add_co_u32 v24, vcc_lo, s12, v24
	v_add_co_ci_u32_e64 v25, null, s13, v25, vcc_lo
	v_lshlrev_b64 v[14:15], 3, v[15:16]
	v_add_co_u32 v26, vcc_lo, s12, v26
	v_add_co_ci_u32_e64 v27, null, s13, v27, vcc_lo
	v_add_co_u32 v28, vcc_lo, s12, v28
	v_add_co_ci_u32_e64 v29, null, s13, v29, vcc_lo
	;; [unrolled: 2-line block ×3, first 2 shown]
	s_clause 0x3
	global_load_dwordx2 v[22:23], v[22:23], off
	global_load_dwordx2 v[26:27], v[26:27], off
	;; [unrolled: 1-line block ×4, first 2 shown]
	s_waitcnt vmcnt(4)
	v_subrev_nc_u32_e32 v14, s2, v18
	v_lshl_add_u32 v20, v14, 2, v14
	v_lshlrev_b64 v[32:33], 3, v[20:21]
	v_add_nc_u32_e32 v15, 1, v20
	v_lshlrev_b64 v[34:35], 3, v[15:16]
	v_add_co_u32 v32, vcc_lo, s14, v32
	v_add_co_ci_u32_e64 v33, null, s15, v33, vcc_lo
	v_add_nc_u32_e32 v15, -10, v13
	v_add_co_u32 v34, vcc_lo, s14, v34
	global_load_dwordx2 v[32:33], v[32:33], off
	v_add_co_ci_u32_e64 v35, null, s15, v35, vcc_lo
	v_lshlrev_b64 v[36:37], 3, v[15:16]
	v_add_nc_u32_e32 v15, -9, v13
	global_load_dwordx2 v[34:35], v[34:35], off
	v_lshlrev_b64 v[38:39], 3, v[15:16]
	v_add_nc_u32_e32 v15, -8, v13
	v_add_co_u32 v36, vcc_lo, s12, v36
	v_add_co_ci_u32_e64 v37, null, s13, v37, vcc_lo
	v_add_co_u32 v38, vcc_lo, s12, v38
	v_lshlrev_b64 v[40:41], 3, v[15:16]
	v_add_nc_u32_e32 v15, 2, v20
	v_add_co_ci_u32_e64 v39, null, s13, v39, vcc_lo
	global_load_dwordx2 v[36:37], v[36:37], off
	v_lshlrev_b64 v[42:43], 3, v[15:16]
	v_add_nc_u32_e32 v15, -7, v13
	global_load_dwordx2 v[38:39], v[38:39], off
	v_add_co_u32 v40, vcc_lo, s12, v40
	v_add_co_ci_u32_e64 v41, null, s13, v41, vcc_lo
	v_lshlrev_b64 v[44:45], 3, v[15:16]
	v_add_nc_u32_e32 v15, -6, v13
	v_add_co_u32 v42, vcc_lo, s14, v42
	v_add_co_ci_u32_e64 v43, null, s15, v43, vcc_lo
	v_lshlrev_b64 v[46:47], 3, v[15:16]
	v_add_nc_u32_e32 v15, -5, v13
	v_add_co_u32 v44, vcc_lo, s12, v44
	v_add_co_ci_u32_e64 v45, null, s13, v45, vcc_lo
	v_add_co_u32 v46, vcc_lo, s12, v46
	v_lshlrev_b64 v[48:49], 3, v[15:16]
	v_add_nc_u32_e32 v15, 3, v20
	v_add_co_ci_u32_e64 v47, null, s13, v47, vcc_lo
	global_load_dwordx2 v[40:41], v[40:41], off
	global_load_dwordx2 v[42:43], v[42:43], off
	s_clause 0x1
	global_load_dwordx2 v[44:45], v[44:45], off
	global_load_dwordx2 v[46:47], v[46:47], off
	v_lshlrev_b64 v[50:51], 3, v[15:16]
	v_add_nc_u32_e32 v15, -4, v13
	v_add_co_u32 v48, vcc_lo, s12, v48
	v_add_co_ci_u32_e64 v49, null, s13, v49, vcc_lo
	v_lshlrev_b64 v[52:53], 3, v[15:16]
	v_add_nc_u32_e32 v15, -3, v13
	v_add_co_u32 v50, vcc_lo, s14, v50
	v_add_co_ci_u32_e64 v51, null, s15, v51, vcc_lo
	;; [unrolled: 4-line block ×3, first 2 shown]
	v_add_co_u32 v14, vcc_lo, s12, v54
	v_lshlrev_b64 v[56:57], 3, v[15:16]
	v_add_co_ci_u32_e64 v15, null, s13, v55, vcc_lo
	global_load_dwordx2 v[48:49], v[48:49], off
	global_load_dwordx2 v[50:51], v[50:51], off
	s_clause 0x1
	global_load_dwordx2 v[52:53], v[52:53], off
	global_load_dwordx2 v[54:55], v[14:15], off
	v_add_nc_u32_e32 v15, 4, v20
	v_add_co_u32 v56, vcc_lo, s12, v56
	v_add_co_ci_u32_e64 v57, null, s13, v57, vcc_lo
	v_lshlrev_b64 v[20:21], 3, v[15:16]
	v_add_nc_u32_e32 v15, -1, v13
	v_add_nc_u32_e32 v13, 0x3c0, v13
	v_lshlrev_b64 v[14:15], 3, v[15:16]
	v_add_co_u32 v20, vcc_lo, s14, v20
	v_add_co_ci_u32_e64 v21, null, s15, v21, vcc_lo
	v_add_co_u32 v14, vcc_lo, s12, v14
	v_add_co_ci_u32_e64 v15, null, s13, v15, vcc_lo
	global_load_dwordx2 v[56:57], v[56:57], off
	global_load_dwordx2 v[20:21], v[20:21], off
	s_clause 0x1
	global_load_dwordx2 v[14:15], v[14:15], off
	global_load_dwordx2 v[24:25], v[24:25], off
	v_cmp_ge_i32_e32 vcc_lo, v17, v19
	s_or_b32 s3, vcc_lo, s3
	s_waitcnt vmcnt(15)
	v_fma_f64 v[6:7], v[22:23], v[32:33], v[6:7]
	v_fma_f64 v[10:11], v[26:27], v[32:33], v[10:11]
	;; [unrolled: 1-line block ×3, first 2 shown]
	s_waitcnt vmcnt(14)
	v_fma_f64 v[6:7], v[30:31], v[34:35], v[6:7]
	s_waitcnt vmcnt(13)
	v_fma_f64 v[10:11], v[36:37], v[34:35], v[10:11]
	;; [unrolled: 2-line block ×12, first 2 shown]
	s_andn2_b32 exec_lo, exec_lo, s3
	s_cbranch_execnz .LBB56_9
; %bb.10:
	s_or_b32 exec_lo, exec_lo, s3
.LBB56_11:
	s_or_b32 exec_lo, exec_lo, s1
	s_cbranch_execz .LBB56_13
	s_branch .LBB56_18
.LBB56_12:
                                        ; implicit-def: $vgpr6_vgpr7
                                        ; implicit-def: $vgpr8_vgpr9
                                        ; implicit-def: $vgpr10_vgpr11
.LBB56_13:
	v_mov_b32_e32 v6, 0
	v_mov_b32_e32 v8, 0
	;; [unrolled: 1-line block ×6, first 2 shown]
	s_and_saveexec_b32 s1, s0
	s_cbranch_execz .LBB56_17
; %bb.14:
	v_mad_u64_u32 v[14:15], null, v12, 15, 14
	v_mov_b32_e32 v6, 0
	v_mov_b32_e32 v8, 0
	;; [unrolled: 1-line block ×7, first 2 shown]
	s_mov_b32 s0, 0
.LBB56_15:                              ; =>This Inner Loop Header: Depth=1
	v_ashrrev_i32_e32 v13, 31, v12
	v_add_nc_u32_e32 v20, -9, v14
	v_mov_b32_e32 v21, v17
	v_add_nc_u32_e32 v22, -4, v14
	v_mov_b32_e32 v23, v17
	v_lshlrev_b64 v[15:16], 2, v[12:13]
	v_mov_b32_e32 v24, v17
	v_lshlrev_b64 v[20:21], 3, v[20:21]
	v_add_nc_u32_e32 v12, 64, v12
	v_lshlrev_b64 v[22:23], 3, v[22:23]
	v_add_co_u32 v15, vcc_lo, s10, v15
	v_add_co_ci_u32_e64 v16, null, s11, v16, vcc_lo
	global_load_dword v13, v[15:16], off
	v_add_nc_u32_e32 v16, -14, v14
	v_mov_b32_e32 v15, v17
	v_lshlrev_b64 v[25:26], 3, v[16:17]
	v_add_nc_u32_e32 v16, -13, v14
	v_lshlrev_b64 v[27:28], 3, v[14:15]
	v_lshlrev_b64 v[15:16], 3, v[16:17]
	v_add_co_u32 v25, vcc_lo, s12, v25
	v_add_co_ci_u32_e64 v26, null, s13, v26, vcc_lo
	v_add_co_u32 v20, vcc_lo, s12, v20
	v_add_co_ci_u32_e64 v21, null, s13, v21, vcc_lo
	;; [unrolled: 2-line block ×5, first 2 shown]
	s_clause 0x3
	global_load_dwordx2 v[25:26], v[25:26], off
	global_load_dwordx2 v[20:21], v[20:21], off
	global_load_dwordx2 v[29:30], v[22:23], off
	global_load_dwordx2 v[31:32], v[15:16], off
	s_waitcnt vmcnt(4)
	v_subrev_nc_u32_e32 v13, s2, v13
	v_lshl_add_u32 v23, v13, 2, v13
	v_lshlrev_b64 v[33:34], 3, v[23:24]
	v_add_nc_u32_e32 v16, 1, v23
	v_lshlrev_b64 v[35:36], 3, v[16:17]
	v_add_co_u32 v33, vcc_lo, s14, v33
	v_add_co_ci_u32_e64 v34, null, s15, v34, vcc_lo
	v_add_nc_u32_e32 v16, -8, v14
	v_add_co_u32 v35, vcc_lo, s14, v35
	global_load_dwordx2 v[33:34], v[33:34], off
	v_add_co_ci_u32_e64 v36, null, s15, v36, vcc_lo
	v_lshlrev_b64 v[37:38], 3, v[16:17]
	v_add_nc_u32_e32 v16, -3, v14
	global_load_dwordx2 v[35:36], v[35:36], off
	v_lshlrev_b64 v[39:40], 3, v[16:17]
	v_add_nc_u32_e32 v16, -12, v14
	v_add_co_u32 v37, vcc_lo, s12, v37
	v_add_co_ci_u32_e64 v38, null, s13, v38, vcc_lo
	v_add_co_u32 v39, vcc_lo, s12, v39
	v_lshlrev_b64 v[41:42], 3, v[16:17]
	v_add_nc_u32_e32 v16, 2, v23
	v_add_co_ci_u32_e64 v40, null, s13, v40, vcc_lo
	global_load_dwordx2 v[37:38], v[37:38], off
	v_lshlrev_b64 v[43:44], 3, v[16:17]
	v_add_nc_u32_e32 v16, -7, v14
	global_load_dwordx2 v[39:40], v[39:40], off
	v_add_co_u32 v41, vcc_lo, s12, v41
	v_add_co_ci_u32_e64 v42, null, s13, v42, vcc_lo
	v_lshlrev_b64 v[45:46], 3, v[16:17]
	v_add_nc_u32_e32 v16, -2, v14
	v_add_co_u32 v43, vcc_lo, s14, v43
	v_add_co_ci_u32_e64 v44, null, s15, v44, vcc_lo
	v_lshlrev_b64 v[47:48], 3, v[16:17]
	v_add_nc_u32_e32 v16, -11, v14
	v_add_co_u32 v45, vcc_lo, s12, v45
	v_add_co_ci_u32_e64 v46, null, s13, v46, vcc_lo
	v_add_co_u32 v47, vcc_lo, s12, v47
	v_lshlrev_b64 v[49:50], 3, v[16:17]
	v_add_nc_u32_e32 v16, 3, v23
	v_add_co_ci_u32_e64 v48, null, s13, v48, vcc_lo
	global_load_dwordx2 v[41:42], v[41:42], off
	global_load_dwordx2 v[43:44], v[43:44], off
	s_clause 0x1
	global_load_dwordx2 v[45:46], v[45:46], off
	global_load_dwordx2 v[47:48], v[47:48], off
	v_lshlrev_b64 v[51:52], 3, v[16:17]
	v_add_nc_u32_e32 v16, -6, v14
	v_add_co_u32 v49, vcc_lo, s12, v49
	v_add_co_ci_u32_e64 v50, null, s13, v50, vcc_lo
	v_lshlrev_b64 v[53:54], 3, v[16:17]
	v_add_nc_u32_e32 v16, -1, v14
	v_add_co_u32 v51, vcc_lo, s14, v51
	v_add_co_ci_u32_e64 v52, null, s15, v52, vcc_lo
	;; [unrolled: 4-line block ×3, first 2 shown]
	v_add_co_u32 v15, vcc_lo, s12, v55
	v_lshlrev_b64 v[57:58], 3, v[16:17]
	v_add_co_ci_u32_e64 v16, null, s13, v56, vcc_lo
	global_load_dwordx2 v[49:50], v[49:50], off
	global_load_dwordx2 v[51:52], v[51:52], off
	s_clause 0x1
	global_load_dwordx2 v[53:54], v[53:54], off
	global_load_dwordx2 v[55:56], v[15:16], off
	v_add_nc_u32_e32 v16, 4, v23
	v_add_co_u32 v57, vcc_lo, s12, v57
	v_add_co_ci_u32_e64 v58, null, s13, v58, vcc_lo
	v_lshlrev_b64 v[22:23], 3, v[16:17]
	v_add_nc_u32_e32 v16, -5, v14
	v_add_nc_u32_e32 v14, 0x3c0, v14
	v_lshlrev_b64 v[15:16], 3, v[16:17]
	v_add_co_u32 v22, vcc_lo, s14, v22
	v_add_co_ci_u32_e64 v23, null, s15, v23, vcc_lo
	v_add_co_u32 v15, vcc_lo, s12, v15
	v_add_co_ci_u32_e64 v16, null, s13, v16, vcc_lo
	global_load_dwordx2 v[57:58], v[57:58], off
	global_load_dwordx2 v[22:23], v[22:23], off
	s_clause 0x1
	global_load_dwordx2 v[15:16], v[15:16], off
	global_load_dwordx2 v[27:28], v[27:28], off
	v_cmp_ge_i32_e32 vcc_lo, v12, v19
	s_or_b32 s0, vcc_lo, s0
	s_waitcnt vmcnt(15)
	v_fma_f64 v[6:7], v[25:26], v[33:34], v[6:7]
	v_fma_f64 v[10:11], v[20:21], v[33:34], v[10:11]
	;; [unrolled: 1-line block ×3, first 2 shown]
	s_waitcnt vmcnt(14)
	v_fma_f64 v[6:7], v[31:32], v[35:36], v[6:7]
	s_waitcnt vmcnt(13)
	v_fma_f64 v[10:11], v[37:38], v[35:36], v[10:11]
	;; [unrolled: 2-line block ×12, first 2 shown]
	s_andn2_b32 exec_lo, exec_lo, s0
	s_cbranch_execnz .LBB56_15
; %bb.16:
	s_or_b32 exec_lo, exec_lo, s0
.LBB56_17:
	s_or_b32 exec_lo, exec_lo, s1
.LBB56_18:
	v_mbcnt_lo_u32_b32 v18, -1, 0
	v_or_b32_e32 v12, 32, v18
	v_cmp_gt_i32_e32 vcc_lo, 32, v12
	v_cndmask_b32_e32 v12, v18, v12, vcc_lo
	v_lshlrev_b32_e32 v17, 2, v12
	ds_bpermute_b32 v12, v17, v6
	ds_bpermute_b32 v13, v17, v7
	ds_bpermute_b32 v14, v17, v10
	ds_bpermute_b32 v15, v17, v11
	ds_bpermute_b32 v16, v17, v8
	ds_bpermute_b32 v17, v17, v9
	s_waitcnt lgkmcnt(4)
	v_add_f64 v[6:7], v[6:7], v[12:13]
	v_xor_b32_e32 v12, 16, v18
	s_waitcnt lgkmcnt(2)
	v_add_f64 v[10:11], v[10:11], v[14:15]
	s_waitcnt lgkmcnt(0)
	v_add_f64 v[8:9], v[8:9], v[16:17]
	v_cmp_gt_i32_e32 vcc_lo, 32, v12
	v_cndmask_b32_e32 v12, v18, v12, vcc_lo
	v_lshlrev_b32_e32 v17, 2, v12
	ds_bpermute_b32 v12, v17, v6
	ds_bpermute_b32 v13, v17, v7
	ds_bpermute_b32 v14, v17, v10
	ds_bpermute_b32 v15, v17, v11
	ds_bpermute_b32 v16, v17, v8
	ds_bpermute_b32 v17, v17, v9
	s_waitcnt lgkmcnt(4)
	v_add_f64 v[6:7], v[6:7], v[12:13]
	v_xor_b32_e32 v12, 8, v18
	s_waitcnt lgkmcnt(2)
	v_add_f64 v[10:11], v[10:11], v[14:15]
	s_waitcnt lgkmcnt(0)
	v_add_f64 v[8:9], v[8:9], v[16:17]
	;; [unrolled: 16-line block ×3, first 2 shown]
	v_cmp_gt_i32_e32 vcc_lo, 32, v12
	v_cndmask_b32_e32 v12, v18, v12, vcc_lo
	v_lshlrev_b32_e32 v17, 2, v12
	ds_bpermute_b32 v12, v17, v6
	ds_bpermute_b32 v13, v17, v7
	;; [unrolled: 1-line block ×6, first 2 shown]
	s_waitcnt lgkmcnt(4)
	v_add_f64 v[6:7], v[6:7], v[12:13]
	s_waitcnt lgkmcnt(2)
	v_add_f64 v[10:11], v[10:11], v[14:15]
	;; [unrolled: 2-line block ×3, first 2 shown]
	v_xor_b32_e32 v8, 2, v18
	v_cmp_gt_i32_e32 vcc_lo, 32, v8
	v_cndmask_b32_e32 v8, v18, v8, vcc_lo
	v_lshlrev_b32_e32 v17, 2, v8
	ds_bpermute_b32 v8, v17, v6
	ds_bpermute_b32 v9, v17, v7
	ds_bpermute_b32 v14, v17, v10
	ds_bpermute_b32 v15, v17, v11
	ds_bpermute_b32 v16, v17, v12
	ds_bpermute_b32 v17, v17, v13
	s_waitcnt lgkmcnt(4)
	v_add_f64 v[8:9], v[6:7], v[8:9]
	s_waitcnt lgkmcnt(2)
	v_add_f64 v[6:7], v[10:11], v[14:15]
	v_xor_b32_e32 v10, 1, v18
	s_waitcnt lgkmcnt(0)
	v_add_f64 v[12:13], v[12:13], v[16:17]
	v_cmp_gt_i32_e32 vcc_lo, 32, v10
	v_cndmask_b32_e32 v10, v18, v10, vcc_lo
	v_cmp_eq_u32_e32 vcc_lo, 63, v0
	v_lshlrev_b32_e32 v15, 2, v10
	ds_bpermute_b32 v10, v15, v8
	ds_bpermute_b32 v11, v15, v9
	;; [unrolled: 1-line block ×6, first 2 shown]
	s_and_b32 exec_lo, exec_lo, vcc_lo
	s_cbranch_execz .LBB56_23
; %bb.19:
	s_waitcnt lgkmcnt(4)
	v_add_f64 v[10:11], v[8:9], v[10:11]
	s_waitcnt lgkmcnt(2)
	v_add_f64 v[8:9], v[6:7], v[16:17]
	;; [unrolled: 2-line block ×3, first 2 shown]
	s_load_dwordx2 s[0:1], s[4:5], 0x38
	s_mov_b32 s2, exec_lo
	v_cmpx_eq_f64_e32 0, v[3:4]
	s_xor_b32 s2, exec_lo, s2
	s_cbranch_execz .LBB56_21
; %bb.20:
	v_lshl_add_u32 v0, v5, 1, v5
	v_mul_f64 v[10:11], v[1:2], v[10:11]
	v_mul_f64 v[12:13], v[1:2], v[8:9]
	;; [unrolled: 1-line block ×3, first 2 shown]
                                        ; implicit-def: $vgpr5
                                        ; implicit-def: $vgpr8_vgpr9
                                        ; implicit-def: $vgpr6_vgpr7
	v_ashrrev_i32_e32 v1, 31, v0
	v_lshlrev_b64 v[0:1], 3, v[0:1]
	s_waitcnt lgkmcnt(0)
	v_add_co_u32 v0, vcc_lo, s0, v0
	v_add_co_ci_u32_e64 v1, null, s1, v1, vcc_lo
	global_store_dwordx4 v[0:1], v[10:13], off
	global_store_dwordx2 v[0:1], v[2:3], off offset:16
                                        ; implicit-def: $vgpr1_vgpr2
                                        ; implicit-def: $vgpr10_vgpr11
                                        ; implicit-def: $vgpr3_vgpr4
.LBB56_21:
	s_andn2_saveexec_b32 s2, s2
	s_cbranch_execz .LBB56_23
; %bb.22:
	v_lshl_add_u32 v12, v5, 1, v5
	v_mul_f64 v[10:11], v[1:2], v[10:11]
	v_mul_f64 v[8:9], v[1:2], v[8:9]
	;; [unrolled: 1-line block ×3, first 2 shown]
	v_ashrrev_i32_e32 v13, 31, v12
	v_lshlrev_b64 v[12:13], 3, v[12:13]
	s_waitcnt lgkmcnt(0)
	v_add_co_u32 v16, vcc_lo, s0, v12
	v_add_co_ci_u32_e64 v17, null, s1, v13, vcc_lo
	s_clause 0x1
	global_load_dwordx4 v[12:15], v[16:17], off
	global_load_dwordx2 v[18:19], v[16:17], off offset:16
	s_waitcnt vmcnt(1)
	v_fma_f64 v[5:6], v[3:4], v[12:13], v[10:11]
	v_fma_f64 v[7:8], v[3:4], v[14:15], v[8:9]
	s_waitcnt vmcnt(0)
	v_fma_f64 v[0:1], v[3:4], v[18:19], v[0:1]
	global_store_dwordx4 v[16:17], v[5:8], off
	global_store_dwordx2 v[16:17], v[0:1], off offset:16
.LBB56_23:
	s_endpgm
	.section	.rodata,"a",@progbits
	.p2align	6, 0x0
	.amdhsa_kernel _ZN9rocsparseL19gebsrmvn_3xn_kernelILj128ELj5ELj64EdEEvi20rocsparse_direction_NS_24const_host_device_scalarIT2_EEPKiS6_PKS3_S8_S4_PS3_21rocsparse_index_base_b
		.amdhsa_group_segment_fixed_size 0
		.amdhsa_private_segment_fixed_size 0
		.amdhsa_kernarg_size 72
		.amdhsa_user_sgpr_count 6
		.amdhsa_user_sgpr_private_segment_buffer 1
		.amdhsa_user_sgpr_dispatch_ptr 0
		.amdhsa_user_sgpr_queue_ptr 0
		.amdhsa_user_sgpr_kernarg_segment_ptr 1
		.amdhsa_user_sgpr_dispatch_id 0
		.amdhsa_user_sgpr_flat_scratch_init 0
		.amdhsa_user_sgpr_private_segment_size 0
		.amdhsa_wavefront_size32 1
		.amdhsa_uses_dynamic_stack 0
		.amdhsa_system_sgpr_private_segment_wavefront_offset 0
		.amdhsa_system_sgpr_workgroup_id_x 1
		.amdhsa_system_sgpr_workgroup_id_y 0
		.amdhsa_system_sgpr_workgroup_id_z 0
		.amdhsa_system_sgpr_workgroup_info 0
		.amdhsa_system_vgpr_workitem_id 0
		.amdhsa_next_free_vgpr 59
		.amdhsa_next_free_sgpr 16
		.amdhsa_reserve_vcc 1
		.amdhsa_reserve_flat_scratch 0
		.amdhsa_float_round_mode_32 0
		.amdhsa_float_round_mode_16_64 0
		.amdhsa_float_denorm_mode_32 3
		.amdhsa_float_denorm_mode_16_64 3
		.amdhsa_dx10_clamp 1
		.amdhsa_ieee_mode 1
		.amdhsa_fp16_overflow 0
		.amdhsa_workgroup_processor_mode 1
		.amdhsa_memory_ordered 1
		.amdhsa_forward_progress 1
		.amdhsa_shared_vgpr_count 0
		.amdhsa_exception_fp_ieee_invalid_op 0
		.amdhsa_exception_fp_denorm_src 0
		.amdhsa_exception_fp_ieee_div_zero 0
		.amdhsa_exception_fp_ieee_overflow 0
		.amdhsa_exception_fp_ieee_underflow 0
		.amdhsa_exception_fp_ieee_inexact 0
		.amdhsa_exception_int_div_zero 0
	.end_amdhsa_kernel
	.section	.text._ZN9rocsparseL19gebsrmvn_3xn_kernelILj128ELj5ELj64EdEEvi20rocsparse_direction_NS_24const_host_device_scalarIT2_EEPKiS6_PKS3_S8_S4_PS3_21rocsparse_index_base_b,"axG",@progbits,_ZN9rocsparseL19gebsrmvn_3xn_kernelILj128ELj5ELj64EdEEvi20rocsparse_direction_NS_24const_host_device_scalarIT2_EEPKiS6_PKS3_S8_S4_PS3_21rocsparse_index_base_b,comdat
.Lfunc_end56:
	.size	_ZN9rocsparseL19gebsrmvn_3xn_kernelILj128ELj5ELj64EdEEvi20rocsparse_direction_NS_24const_host_device_scalarIT2_EEPKiS6_PKS3_S8_S4_PS3_21rocsparse_index_base_b, .Lfunc_end56-_ZN9rocsparseL19gebsrmvn_3xn_kernelILj128ELj5ELj64EdEEvi20rocsparse_direction_NS_24const_host_device_scalarIT2_EEPKiS6_PKS3_S8_S4_PS3_21rocsparse_index_base_b
                                        ; -- End function
	.set _ZN9rocsparseL19gebsrmvn_3xn_kernelILj128ELj5ELj64EdEEvi20rocsparse_direction_NS_24const_host_device_scalarIT2_EEPKiS6_PKS3_S8_S4_PS3_21rocsparse_index_base_b.num_vgpr, 59
	.set _ZN9rocsparseL19gebsrmvn_3xn_kernelILj128ELj5ELj64EdEEvi20rocsparse_direction_NS_24const_host_device_scalarIT2_EEPKiS6_PKS3_S8_S4_PS3_21rocsparse_index_base_b.num_agpr, 0
	.set _ZN9rocsparseL19gebsrmvn_3xn_kernelILj128ELj5ELj64EdEEvi20rocsparse_direction_NS_24const_host_device_scalarIT2_EEPKiS6_PKS3_S8_S4_PS3_21rocsparse_index_base_b.numbered_sgpr, 16
	.set _ZN9rocsparseL19gebsrmvn_3xn_kernelILj128ELj5ELj64EdEEvi20rocsparse_direction_NS_24const_host_device_scalarIT2_EEPKiS6_PKS3_S8_S4_PS3_21rocsparse_index_base_b.num_named_barrier, 0
	.set _ZN9rocsparseL19gebsrmvn_3xn_kernelILj128ELj5ELj64EdEEvi20rocsparse_direction_NS_24const_host_device_scalarIT2_EEPKiS6_PKS3_S8_S4_PS3_21rocsparse_index_base_b.private_seg_size, 0
	.set _ZN9rocsparseL19gebsrmvn_3xn_kernelILj128ELj5ELj64EdEEvi20rocsparse_direction_NS_24const_host_device_scalarIT2_EEPKiS6_PKS3_S8_S4_PS3_21rocsparse_index_base_b.uses_vcc, 1
	.set _ZN9rocsparseL19gebsrmvn_3xn_kernelILj128ELj5ELj64EdEEvi20rocsparse_direction_NS_24const_host_device_scalarIT2_EEPKiS6_PKS3_S8_S4_PS3_21rocsparse_index_base_b.uses_flat_scratch, 0
	.set _ZN9rocsparseL19gebsrmvn_3xn_kernelILj128ELj5ELj64EdEEvi20rocsparse_direction_NS_24const_host_device_scalarIT2_EEPKiS6_PKS3_S8_S4_PS3_21rocsparse_index_base_b.has_dyn_sized_stack, 0
	.set _ZN9rocsparseL19gebsrmvn_3xn_kernelILj128ELj5ELj64EdEEvi20rocsparse_direction_NS_24const_host_device_scalarIT2_EEPKiS6_PKS3_S8_S4_PS3_21rocsparse_index_base_b.has_recursion, 0
	.set _ZN9rocsparseL19gebsrmvn_3xn_kernelILj128ELj5ELj64EdEEvi20rocsparse_direction_NS_24const_host_device_scalarIT2_EEPKiS6_PKS3_S8_S4_PS3_21rocsparse_index_base_b.has_indirect_call, 0
	.section	.AMDGPU.csdata,"",@progbits
; Kernel info:
; codeLenInByte = 3280
; TotalNumSgprs: 18
; NumVgprs: 59
; ScratchSize: 0
; MemoryBound: 0
; FloatMode: 240
; IeeeMode: 1
; LDSByteSize: 0 bytes/workgroup (compile time only)
; SGPRBlocks: 0
; VGPRBlocks: 7
; NumSGPRsForWavesPerEU: 18
; NumVGPRsForWavesPerEU: 59
; Occupancy: 16
; WaveLimiterHint : 1
; COMPUTE_PGM_RSRC2:SCRATCH_EN: 0
; COMPUTE_PGM_RSRC2:USER_SGPR: 6
; COMPUTE_PGM_RSRC2:TRAP_HANDLER: 0
; COMPUTE_PGM_RSRC2:TGID_X_EN: 1
; COMPUTE_PGM_RSRC2:TGID_Y_EN: 0
; COMPUTE_PGM_RSRC2:TGID_Z_EN: 0
; COMPUTE_PGM_RSRC2:TIDIG_COMP_CNT: 0
	.section	.text._ZN9rocsparseL19gebsrmvn_3xn_kernelILj128ELj6ELj4EdEEvi20rocsparse_direction_NS_24const_host_device_scalarIT2_EEPKiS6_PKS3_S8_S4_PS3_21rocsparse_index_base_b,"axG",@progbits,_ZN9rocsparseL19gebsrmvn_3xn_kernelILj128ELj6ELj4EdEEvi20rocsparse_direction_NS_24const_host_device_scalarIT2_EEPKiS6_PKS3_S8_S4_PS3_21rocsparse_index_base_b,comdat
	.globl	_ZN9rocsparseL19gebsrmvn_3xn_kernelILj128ELj6ELj4EdEEvi20rocsparse_direction_NS_24const_host_device_scalarIT2_EEPKiS6_PKS3_S8_S4_PS3_21rocsparse_index_base_b ; -- Begin function _ZN9rocsparseL19gebsrmvn_3xn_kernelILj128ELj6ELj4EdEEvi20rocsparse_direction_NS_24const_host_device_scalarIT2_EEPKiS6_PKS3_S8_S4_PS3_21rocsparse_index_base_b
	.p2align	8
	.type	_ZN9rocsparseL19gebsrmvn_3xn_kernelILj128ELj6ELj4EdEEvi20rocsparse_direction_NS_24const_host_device_scalarIT2_EEPKiS6_PKS3_S8_S4_PS3_21rocsparse_index_base_b,@function
_ZN9rocsparseL19gebsrmvn_3xn_kernelILj128ELj6ELj4EdEEvi20rocsparse_direction_NS_24const_host_device_scalarIT2_EEPKiS6_PKS3_S8_S4_PS3_21rocsparse_index_base_b: ; @_ZN9rocsparseL19gebsrmvn_3xn_kernelILj128ELj6ELj4EdEEvi20rocsparse_direction_NS_24const_host_device_scalarIT2_EEPKiS6_PKS3_S8_S4_PS3_21rocsparse_index_base_b
; %bb.0:
	s_clause 0x2
	s_load_dwordx2 s[2:3], s[4:5], 0x40
	s_load_dwordx2 s[8:9], s[4:5], 0x8
	;; [unrolled: 1-line block ×3, first 2 shown]
	s_waitcnt lgkmcnt(0)
	s_bitcmp1_b32 s3, 0
	v_mov_b32_e32 v1, s8
	v_mov_b32_e32 v2, s9
	s_cselect_b32 s3, -1, 0
	s_and_b32 vcc_lo, exec_lo, s3
	s_xor_b32 s3, s3, -1
	s_cbranch_vccnz .LBB57_2
; %bb.1:
	v_mov_b32_e32 v1, s8
	v_mov_b32_e32 v2, s9
	flat_load_dwordx2 v[1:2], v[1:2]
.LBB57_2:
	v_mov_b32_e32 v4, s1
	v_mov_b32_e32 v3, s0
	s_andn2_b32 vcc_lo, exec_lo, s3
	s_cbranch_vccnz .LBB57_4
; %bb.3:
	v_mov_b32_e32 v4, s1
	v_mov_b32_e32 v3, s0
	flat_load_dwordx2 v[3:4], v[3:4]
.LBB57_4:
	s_waitcnt vmcnt(0) lgkmcnt(0)
	v_cmp_neq_f64_e32 vcc_lo, 0, v[1:2]
	v_cmp_neq_f64_e64 s0, 1.0, v[3:4]
	s_or_b32 s0, vcc_lo, s0
	s_and_saveexec_b32 s1, s0
	s_cbranch_execz .LBB57_23
; %bb.5:
	s_load_dwordx2 s[0:1], s[4:5], 0x0
	v_lshrrev_b32_e32 v5, 2, v0
	v_lshl_or_b32 v5, s6, 5, v5
	s_waitcnt lgkmcnt(0)
	v_cmp_gt_i32_e32 vcc_lo, s0, v5
	s_and_b32 exec_lo, exec_lo, vcc_lo
	s_cbranch_execz .LBB57_23
; %bb.6:
	s_load_dwordx8 s[8:15], s[4:5], 0x10
	v_ashrrev_i32_e32 v6, 31, v5
	v_and_b32_e32 v0, 3, v0
	s_cmp_lg_u32 s1, 0
	v_lshlrev_b64 v[6:7], 2, v[5:6]
	s_waitcnt lgkmcnt(0)
	v_add_co_u32 v6, vcc_lo, s8, v6
	v_add_co_ci_u32_e64 v7, null, s9, v7, vcc_lo
	global_load_dwordx2 v[6:7], v[6:7], off
	s_waitcnt vmcnt(0)
	v_subrev_nc_u32_e32 v6, s2, v6
	v_subrev_nc_u32_e32 v20, s2, v7
	v_add_nc_u32_e32 v6, v6, v0
	v_cmp_lt_i32_e64 s0, v6, v20
	s_cbranch_scc0 .LBB57_12
; %bb.7:
	v_mov_b32_e32 v8, 0
	v_mov_b32_e32 v10, 0
	v_mov_b32_e32 v12, 0
	v_mov_b32_e32 v9, 0
	v_mov_b32_e32 v11, 0
	v_mov_b32_e32 v13, 0
	s_and_saveexec_b32 s3, s0
	s_cbranch_execz .LBB57_11
; %bb.8:
	v_mad_u64_u32 v[14:15], null, v6, 18, 17
	v_mov_b32_e32 v8, 0
	v_mov_b32_e32 v10, 0
	;; [unrolled: 1-line block ×8, first 2 shown]
	s_mov_b32 s6, 0
.LBB57_9:                               ; =>This Inner Loop Header: Depth=1
	v_ashrrev_i32_e32 v19, 31, v18
	v_mov_b32_e32 v34, v17
	v_lshlrev_b64 v[15:16], 2, v[18:19]
	v_add_nc_u32_e32 v18, 4, v18
	v_add_co_u32 v15, vcc_lo, s10, v15
	v_add_co_ci_u32_e64 v16, null, s11, v16, vcc_lo
	global_load_dword v7, v[15:16], off
	v_subrev_nc_u32_e32 v16, 17, v14
	v_mov_b32_e32 v15, v17
	v_lshlrev_b64 v[21:22], 3, v[16:17]
	v_add_nc_u32_e32 v16, -15, v14
	v_lshlrev_b64 v[23:24], 3, v[14:15]
	v_lshlrev_b64 v[25:26], 3, v[16:17]
	v_add_nc_u32_e32 v16, -14, v14
	v_add_co_u32 v21, vcc_lo, s12, v21
	v_add_co_ci_u32_e64 v22, null, s13, v22, vcc_lo
	v_lshlrev_b64 v[27:28], 3, v[16:17]
	v_add_nc_u32_e32 v16, -13, v14
	v_add_co_u32 v37, vcc_lo, s12, v23
	v_add_co_ci_u32_e64 v38, null, s13, v24, vcc_lo
	v_add_co_u32 v25, vcc_lo, s12, v25
	v_add_co_ci_u32_e64 v26, null, s13, v26, vcc_lo
	v_lshlrev_b64 v[29:30], 3, v[16:17]
	v_add_nc_u32_e32 v16, -12, v14
	s_clause 0x1
	global_load_dwordx4 v[21:24], v[21:22], off
	global_load_dwordx2 v[39:40], v[25:26], off
	v_add_co_u32 v27, vcc_lo, s12, v27
	v_lshlrev_b64 v[25:26], 3, v[16:17]
	v_add_co_ci_u32_e64 v28, null, s13, v28, vcc_lo
	v_add_co_u32 v29, vcc_lo, s12, v29
	v_add_co_ci_u32_e64 v30, null, s13, v30, vcc_lo
	v_add_co_u32 v31, vcc_lo, s12, v25
	v_add_co_ci_u32_e64 v32, null, s13, v26, vcc_lo
	s_clause 0x1
	global_load_dwordx2 v[41:42], v[27:28], off
	global_load_dwordx2 v[43:44], v[29:30], off
	v_add_nc_u32_e32 v16, -11, v14
	v_lshlrev_b64 v[15:16], 3, v[16:17]
	v_add_co_u32 v15, vcc_lo, s12, v15
	v_add_co_ci_u32_e64 v16, null, s13, v16, vcc_lo
	s_waitcnt vmcnt(4)
	v_subrev_nc_u32_e32 v7, s2, v7
	v_mul_lo_u32 v33, v7, 6
	v_lshlrev_b64 v[25:26], 3, v[33:34]
	v_add_co_u32 v25, s1, s14, v25
	v_add_co_ci_u32_e64 v26, null, s15, v26, s1
	global_load_dwordx4 v[25:28], v[25:26], off
	s_clause 0x1
	global_load_dwordx2 v[45:46], v[31:32], off
	global_load_dwordx2 v[47:48], v[15:16], off
	v_add_nc_u32_e32 v16, 2, v33
	v_lshlrev_b64 v[29:30], 3, v[16:17]
	v_add_nc_u32_e32 v16, -10, v14
	v_lshlrev_b64 v[31:32], 3, v[16:17]
	v_add_nc_u32_e32 v16, -9, v14
	v_add_co_u32 v29, vcc_lo, s14, v29
	v_add_co_ci_u32_e64 v30, null, s15, v30, vcc_lo
	v_lshlrev_b64 v[34:35], 3, v[16:17]
	v_add_nc_u32_e32 v16, -8, v14
	v_add_co_u32 v49, vcc_lo, s12, v31
	v_add_co_ci_u32_e64 v50, null, s13, v32, vcc_lo
	v_lshlrev_b64 v[51:52], 3, v[16:17]
	v_add_co_u32 v34, vcc_lo, s12, v34
	v_add_nc_u32_e32 v16, -7, v14
	v_add_co_ci_u32_e64 v35, null, s13, v35, vcc_lo
	v_add_co_u32 v51, vcc_lo, s12, v51
	v_lshlrev_b64 v[53:54], 3, v[16:17]
	v_add_nc_u32_e32 v16, -6, v14
	v_add_co_ci_u32_e64 v52, null, s13, v52, vcc_lo
	global_load_dwordx4 v[29:32], v[29:30], off
	s_clause 0x2
	global_load_dwordx2 v[49:50], v[49:50], off
	global_load_dwordx2 v[55:56], v[34:35], off
	;; [unrolled: 1-line block ×3, first 2 shown]
	v_lshlrev_b64 v[34:35], 3, v[16:17]
	v_add_nc_u32_e32 v16, -5, v14
	v_add_co_u32 v53, vcc_lo, s12, v53
	v_add_co_ci_u32_e64 v54, null, s13, v54, vcc_lo
	v_lshlrev_b64 v[57:58], 3, v[16:17]
	v_add_nc_u32_e32 v16, 4, v33
	v_add_co_u32 v33, vcc_lo, s12, v34
	v_add_co_ci_u32_e64 v34, null, s13, v35, vcc_lo
	v_add_co_u32 v57, vcc_lo, s12, v57
	v_add_co_ci_u32_e64 v58, null, s13, v58, vcc_lo
	global_load_dwordx2 v[53:54], v[53:54], off
	v_lshlrev_b64 v[35:36], 3, v[16:17]
	v_add_nc_u32_e32 v16, -4, v14
	s_clause 0x1
	global_load_dwordx2 v[57:58], v[57:58], off
	global_load_dwordx2 v[59:60], v[33:34], off
	v_lshlrev_b64 v[33:34], 3, v[16:17]
	v_add_nc_u32_e32 v16, -3, v14
	v_add_co_u32 v35, vcc_lo, s14, v35
	v_add_co_ci_u32_e64 v36, null, s15, v36, vcc_lo
	v_lshlrev_b64 v[15:16], 3, v[16:17]
	v_add_co_u32 v61, vcc_lo, s12, v33
	v_add_co_ci_u32_e64 v62, null, s13, v34, vcc_lo
	global_load_dwordx4 v[33:36], v[35:36], off
	v_add_co_u32 v15, vcc_lo, s12, v15
	v_add_co_ci_u32_e64 v16, null, s13, v16, vcc_lo
	s_clause 0x1
	global_load_dwordx2 v[61:62], v[61:62], off
	global_load_dwordx2 v[63:64], v[15:16], off
	v_add_nc_u32_e32 v16, -2, v14
	v_lshlrev_b64 v[65:66], 3, v[16:17]
	v_add_nc_u32_e32 v16, -1, v14
	v_add_nc_u32_e32 v14, 0x48, v14
	v_lshlrev_b64 v[15:16], 3, v[16:17]
	s_waitcnt vmcnt(12)
	v_fma_f64 v[7:8], v[21:22], v[25:26], v[8:9]
	v_add_co_u32 v21, vcc_lo, s12, v65
	v_add_co_ci_u32_e64 v22, null, s13, v66, vcc_lo
	v_add_co_u32 v15, vcc_lo, s12, v15
	v_add_co_ci_u32_e64 v16, null, s13, v16, vcc_lo
	v_fma_f64 v[12:13], v[23:24], v[25:26], v[12:13]
	s_clause 0x2
	global_load_dwordx2 v[23:24], v[37:38], off
	global_load_dwordx2 v[21:22], v[21:22], off
	;; [unrolled: 1-line block ×3, first 2 shown]
	v_fma_f64 v[9:10], v[39:40], v[25:26], v[10:11]
	v_cmp_ge_i32_e32 vcc_lo, v18, v20
	s_or_b32 s6, vcc_lo, s6
	v_fma_f64 v[7:8], v[41:42], v[27:28], v[7:8]
	v_fma_f64 v[11:12], v[43:44], v[27:28], v[12:13]
	s_waitcnt vmcnt(14)
	v_fma_f64 v[9:10], v[45:46], v[27:28], v[9:10]
	s_waitcnt vmcnt(12)
	;; [unrolled: 2-line block ×12, first 2 shown]
	v_fma_f64 v[12:13], v[15:16], v[35:36], v[11:12]
	v_fma_f64 v[10:11], v[23:24], v[35:36], v[25:26]
	s_andn2_b32 exec_lo, exec_lo, s6
	s_cbranch_execnz .LBB57_9
; %bb.10:
	s_or_b32 exec_lo, exec_lo, s6
.LBB57_11:
	s_or_b32 exec_lo, exec_lo, s3
	s_cbranch_execz .LBB57_13
	s_branch .LBB57_18
.LBB57_12:
                                        ; implicit-def: $vgpr8_vgpr9
                                        ; implicit-def: $vgpr10_vgpr11
                                        ; implicit-def: $vgpr12_vgpr13
.LBB57_13:
	v_mov_b32_e32 v8, 0
	v_mov_b32_e32 v10, 0
	;; [unrolled: 1-line block ×6, first 2 shown]
	s_and_saveexec_b32 s1, s0
	s_cbranch_execz .LBB57_17
; %bb.14:
	v_mad_u64_u32 v[14:15], null, v6, 18, 17
	v_mov_b32_e32 v8, 0
	v_mov_b32_e32 v10, 0
	;; [unrolled: 1-line block ×7, first 2 shown]
	s_mov_b32 s0, 0
.LBB57_15:                              ; =>This Inner Loop Header: Depth=1
	v_ashrrev_i32_e32 v7, 31, v6
	v_add_nc_u32_e32 v18, -11, v14
	v_mov_b32_e32 v19, v17
	v_add_nc_u32_e32 v21, -5, v14
	v_mov_b32_e32 v22, v17
	v_lshlrev_b64 v[15:16], 2, v[6:7]
	v_mov_b32_e32 v30, v17
	v_lshlrev_b64 v[18:19], 3, v[18:19]
	v_add_nc_u32_e32 v6, 4, v6
	v_lshlrev_b64 v[21:22], 3, v[21:22]
	v_add_co_u32 v15, vcc_lo, s10, v15
	v_add_co_ci_u32_e64 v16, null, s11, v16, vcc_lo
	global_load_dword v7, v[15:16], off
	v_subrev_nc_u32_e32 v16, 17, v14
	v_mov_b32_e32 v15, v17
	v_lshlrev_b64 v[23:24], 3, v[16:17]
	v_add_nc_u32_e32 v16, -10, v14
	v_lshlrev_b64 v[25:26], 3, v[14:15]
	v_lshlrev_b64 v[27:28], 3, v[16:17]
	v_add_co_u32 v23, vcc_lo, s12, v23
	v_add_co_ci_u32_e64 v24, null, s13, v24, vcc_lo
	v_add_co_u32 v18, vcc_lo, s12, v18
	v_add_nc_u32_e32 v16, -4, v14
	v_add_co_ci_u32_e64 v19, null, s13, v19, vcc_lo
	v_add_co_u32 v31, vcc_lo, s12, v21
	v_add_co_ci_u32_e64 v32, null, s13, v22, vcc_lo
	v_add_co_u32 v37, vcc_lo, s12, v25
	v_add_co_ci_u32_e64 v38, null, s13, v26, vcc_lo
	v_lshlrev_b64 v[25:26], 3, v[16:17]
	v_add_nc_u32_e32 v16, -15, v14
	v_add_co_u32 v27, vcc_lo, s12, v27
	v_add_co_ci_u32_e64 v28, null, s13, v28, vcc_lo
	v_lshlrev_b64 v[15:16], 3, v[16:17]
	v_add_co_u32 v25, vcc_lo, s12, v25
	v_add_co_ci_u32_e64 v26, null, s13, v26, vcc_lo
	s_clause 0x2
	global_load_dwordx4 v[21:24], v[23:24], off
	global_load_dwordx2 v[18:19], v[18:19], off
	global_load_dwordx2 v[39:40], v[31:32], off
	v_add_co_u32 v15, vcc_lo, s12, v15
	v_add_co_ci_u32_e64 v16, null, s13, v16, vcc_lo
	s_clause 0x2
	global_load_dwordx2 v[41:42], v[27:28], off
	global_load_dwordx2 v[43:44], v[25:26], off
	;; [unrolled: 1-line block ×3, first 2 shown]
	s_waitcnt vmcnt(6)
	v_subrev_nc_u32_e32 v7, s2, v7
	v_mul_lo_u32 v29, v7, 6
	v_lshlrev_b64 v[25:26], 3, v[29:30]
	v_add_nc_u32_e32 v16, 2, v29
	v_lshlrev_b64 v[30:31], 3, v[16:17]
	v_add_co_u32 v25, vcc_lo, s14, v25
	v_add_co_ci_u32_e64 v26, null, s15, v26, vcc_lo
	v_add_nc_u32_e32 v16, -9, v14
	v_add_co_u32 v30, vcc_lo, s14, v30
	global_load_dwordx4 v[25:28], v[25:26], off
	v_add_co_ci_u32_e64 v31, null, s15, v31, vcc_lo
	v_lshlrev_b64 v[32:33], 3, v[16:17]
	v_add_nc_u32_e32 v16, -3, v14
	v_lshlrev_b64 v[34:35], 3, v[16:17]
	v_add_nc_u32_e32 v16, -14, v14
	v_add_co_u32 v47, vcc_lo, s12, v32
	v_add_co_ci_u32_e64 v48, null, s13, v33, vcc_lo
	v_lshlrev_b64 v[32:33], 3, v[16:17]
	v_add_nc_u32_e32 v16, -8, v14
	v_add_co_u32 v34, vcc_lo, s12, v34
	v_add_co_ci_u32_e64 v35, null, s13, v35, vcc_lo
	;; [unrolled: 4-line block ×4, first 2 shown]
	v_lshlrev_b64 v[53:54], 3, v[16:17]
	v_add_nc_u32_e32 v16, 4, v29
	v_add_co_u32 v55, vcc_lo, s12, v32
	v_add_co_ci_u32_e64 v56, null, s13, v33, vcc_lo
	v_lshlrev_b64 v[32:33], 3, v[16:17]
	v_add_nc_u32_e32 v16, -7, v14
	v_add_co_u32 v53, vcc_lo, s12, v53
	v_add_co_ci_u32_e64 v54, null, s13, v54, vcc_lo
	v_lshlrev_b64 v[57:58], 3, v[16:17]
	v_add_nc_u32_e32 v16, -1, v14
	v_add_co_u32 v59, vcc_lo, s14, v32
	v_add_co_ci_u32_e64 v60, null, s15, v33, vcc_lo
	v_lshlrev_b64 v[32:33], 3, v[16:17]
	v_add_co_u32 v57, vcc_lo, s12, v57
	v_add_co_ci_u32_e64 v58, null, s13, v58, vcc_lo
	v_add_nc_u32_e32 v16, -12, v14
	v_add_co_u32 v63, vcc_lo, s12, v32
	global_load_dwordx4 v[29:32], v[30:31], off
	s_clause 0x5
	global_load_dwordx2 v[47:48], v[47:48], off
	global_load_dwordx2 v[65:66], v[34:35], off
	;; [unrolled: 1-line block ×6, first 2 shown]
	v_add_co_ci_u32_e64 v64, null, s13, v33, vcc_lo
	v_lshlrev_b64 v[61:62], 3, v[16:17]
	v_add_nc_u32_e32 v16, -6, v14
	v_add_nc_u32_e32 v14, 0x48, v14
	v_lshlrev_b64 v[15:16], 3, v[16:17]
	v_add_co_u32 v61, vcc_lo, s12, v61
	v_add_co_ci_u32_e64 v62, null, s13, v62, vcc_lo
	v_add_co_u32 v15, vcc_lo, s12, v15
	v_add_co_ci_u32_e64 v16, null, s13, v16, vcc_lo
	v_cmp_ge_i32_e32 vcc_lo, v6, v20
	s_or_b32 s0, vcc_lo, s0
	s_waitcnt vmcnt(7)
	v_fma_f64 v[12:13], v[18:19], v[25:26], v[12:13]
	global_load_dwordx4 v[33:36], v[59:60], off
	s_clause 0x4
	global_load_dwordx2 v[18:19], v[57:58], off
	global_load_dwordx2 v[57:58], v[63:64], off
	;; [unrolled: 1-line block ×5, first 2 shown]
	v_fma_f64 v[7:8], v[21:22], v[25:26], v[8:9]
	v_fma_f64 v[9:10], v[39:40], v[25:26], v[10:11]
	;; [unrolled: 1-line block ×5, first 2 shown]
	s_waitcnt vmcnt(12)
	v_fma_f64 v[7:8], v[45:46], v[29:30], v[7:8]
	s_waitcnt vmcnt(11)
	v_fma_f64 v[11:12], v[47:48], v[29:30], v[11:12]
	;; [unrolled: 2-line block ×11, first 2 shown]
	v_fma_f64 v[10:11], v[37:38], v[35:36], v[18:19]
	s_andn2_b32 exec_lo, exec_lo, s0
	s_cbranch_execnz .LBB57_15
; %bb.16:
	s_or_b32 exec_lo, exec_lo, s0
.LBB57_17:
	s_or_b32 exec_lo, exec_lo, s1
.LBB57_18:
	v_mbcnt_lo_u32_b32 v18, -1, 0
	v_xor_b32_e32 v6, 2, v18
	v_cmp_gt_i32_e32 vcc_lo, 32, v6
	v_cndmask_b32_e32 v6, v18, v6, vcc_lo
	v_lshlrev_b32_e32 v17, 2, v6
	ds_bpermute_b32 v6, v17, v8
	ds_bpermute_b32 v7, v17, v9
	;; [unrolled: 1-line block ×6, first 2 shown]
	s_waitcnt lgkmcnt(4)
	v_add_f64 v[8:9], v[8:9], v[6:7]
	s_waitcnt lgkmcnt(2)
	v_add_f64 v[6:7], v[12:13], v[14:15]
	;; [unrolled: 2-line block ×3, first 2 shown]
	v_xor_b32_e32 v10, 1, v18
	v_cmp_gt_i32_e32 vcc_lo, 32, v10
	v_cndmask_b32_e32 v10, v18, v10, vcc_lo
	v_cmp_eq_u32_e32 vcc_lo, 3, v0
	v_lshlrev_b32_e32 v15, 2, v10
	ds_bpermute_b32 v10, v15, v8
	ds_bpermute_b32 v11, v15, v9
	;; [unrolled: 1-line block ×6, first 2 shown]
	s_and_b32 exec_lo, exec_lo, vcc_lo
	s_cbranch_execz .LBB57_23
; %bb.19:
	s_waitcnt lgkmcnt(4)
	v_add_f64 v[10:11], v[8:9], v[10:11]
	s_waitcnt lgkmcnt(2)
	v_add_f64 v[8:9], v[6:7], v[16:17]
	;; [unrolled: 2-line block ×3, first 2 shown]
	s_load_dwordx2 s[0:1], s[4:5], 0x38
	s_mov_b32 s2, exec_lo
	v_cmpx_eq_f64_e32 0, v[3:4]
	s_xor_b32 s2, exec_lo, s2
	s_cbranch_execz .LBB57_21
; %bb.20:
	v_lshl_add_u32 v0, v5, 1, v5
	v_mul_f64 v[10:11], v[1:2], v[10:11]
	v_mul_f64 v[12:13], v[1:2], v[8:9]
	;; [unrolled: 1-line block ×3, first 2 shown]
                                        ; implicit-def: $vgpr5
                                        ; implicit-def: $vgpr8_vgpr9
                                        ; implicit-def: $vgpr6_vgpr7
	v_ashrrev_i32_e32 v1, 31, v0
	v_lshlrev_b64 v[0:1], 3, v[0:1]
	s_waitcnt lgkmcnt(0)
	v_add_co_u32 v0, vcc_lo, s0, v0
	v_add_co_ci_u32_e64 v1, null, s1, v1, vcc_lo
	global_store_dwordx4 v[0:1], v[10:13], off
	global_store_dwordx2 v[0:1], v[2:3], off offset:16
                                        ; implicit-def: $vgpr1_vgpr2
                                        ; implicit-def: $vgpr10_vgpr11
                                        ; implicit-def: $vgpr3_vgpr4
.LBB57_21:
	s_andn2_saveexec_b32 s2, s2
	s_cbranch_execz .LBB57_23
; %bb.22:
	v_lshl_add_u32 v12, v5, 1, v5
	v_mul_f64 v[10:11], v[1:2], v[10:11]
	v_mul_f64 v[8:9], v[1:2], v[8:9]
	;; [unrolled: 1-line block ×3, first 2 shown]
	v_ashrrev_i32_e32 v13, 31, v12
	v_lshlrev_b64 v[12:13], 3, v[12:13]
	s_waitcnt lgkmcnt(0)
	v_add_co_u32 v16, vcc_lo, s0, v12
	v_add_co_ci_u32_e64 v17, null, s1, v13, vcc_lo
	s_clause 0x1
	global_load_dwordx4 v[12:15], v[16:17], off
	global_load_dwordx2 v[18:19], v[16:17], off offset:16
	s_waitcnt vmcnt(1)
	v_fma_f64 v[5:6], v[3:4], v[12:13], v[10:11]
	v_fma_f64 v[7:8], v[3:4], v[14:15], v[8:9]
	s_waitcnt vmcnt(0)
	v_fma_f64 v[0:1], v[3:4], v[18:19], v[0:1]
	global_store_dwordx4 v[16:17], v[5:8], off
	global_store_dwordx2 v[16:17], v[0:1], off offset:16
.LBB57_23:
	s_endpgm
	.section	.rodata,"a",@progbits
	.p2align	6, 0x0
	.amdhsa_kernel _ZN9rocsparseL19gebsrmvn_3xn_kernelILj128ELj6ELj4EdEEvi20rocsparse_direction_NS_24const_host_device_scalarIT2_EEPKiS6_PKS3_S8_S4_PS3_21rocsparse_index_base_b
		.amdhsa_group_segment_fixed_size 0
		.amdhsa_private_segment_fixed_size 0
		.amdhsa_kernarg_size 72
		.amdhsa_user_sgpr_count 6
		.amdhsa_user_sgpr_private_segment_buffer 1
		.amdhsa_user_sgpr_dispatch_ptr 0
		.amdhsa_user_sgpr_queue_ptr 0
		.amdhsa_user_sgpr_kernarg_segment_ptr 1
		.amdhsa_user_sgpr_dispatch_id 0
		.amdhsa_user_sgpr_flat_scratch_init 0
		.amdhsa_user_sgpr_private_segment_size 0
		.amdhsa_wavefront_size32 1
		.amdhsa_uses_dynamic_stack 0
		.amdhsa_system_sgpr_private_segment_wavefront_offset 0
		.amdhsa_system_sgpr_workgroup_id_x 1
		.amdhsa_system_sgpr_workgroup_id_y 0
		.amdhsa_system_sgpr_workgroup_id_z 0
		.amdhsa_system_sgpr_workgroup_info 0
		.amdhsa_system_vgpr_workitem_id 0
		.amdhsa_next_free_vgpr 67
		.amdhsa_next_free_sgpr 16
		.amdhsa_reserve_vcc 1
		.amdhsa_reserve_flat_scratch 0
		.amdhsa_float_round_mode_32 0
		.amdhsa_float_round_mode_16_64 0
		.amdhsa_float_denorm_mode_32 3
		.amdhsa_float_denorm_mode_16_64 3
		.amdhsa_dx10_clamp 1
		.amdhsa_ieee_mode 1
		.amdhsa_fp16_overflow 0
		.amdhsa_workgroup_processor_mode 1
		.amdhsa_memory_ordered 1
		.amdhsa_forward_progress 1
		.amdhsa_shared_vgpr_count 0
		.amdhsa_exception_fp_ieee_invalid_op 0
		.amdhsa_exception_fp_denorm_src 0
		.amdhsa_exception_fp_ieee_div_zero 0
		.amdhsa_exception_fp_ieee_overflow 0
		.amdhsa_exception_fp_ieee_underflow 0
		.amdhsa_exception_fp_ieee_inexact 0
		.amdhsa_exception_int_div_zero 0
	.end_amdhsa_kernel
	.section	.text._ZN9rocsparseL19gebsrmvn_3xn_kernelILj128ELj6ELj4EdEEvi20rocsparse_direction_NS_24const_host_device_scalarIT2_EEPKiS6_PKS3_S8_S4_PS3_21rocsparse_index_base_b,"axG",@progbits,_ZN9rocsparseL19gebsrmvn_3xn_kernelILj128ELj6ELj4EdEEvi20rocsparse_direction_NS_24const_host_device_scalarIT2_EEPKiS6_PKS3_S8_S4_PS3_21rocsparse_index_base_b,comdat
.Lfunc_end57:
	.size	_ZN9rocsparseL19gebsrmvn_3xn_kernelILj128ELj6ELj4EdEEvi20rocsparse_direction_NS_24const_host_device_scalarIT2_EEPKiS6_PKS3_S8_S4_PS3_21rocsparse_index_base_b, .Lfunc_end57-_ZN9rocsparseL19gebsrmvn_3xn_kernelILj128ELj6ELj4EdEEvi20rocsparse_direction_NS_24const_host_device_scalarIT2_EEPKiS6_PKS3_S8_S4_PS3_21rocsparse_index_base_b
                                        ; -- End function
	.set _ZN9rocsparseL19gebsrmvn_3xn_kernelILj128ELj6ELj4EdEEvi20rocsparse_direction_NS_24const_host_device_scalarIT2_EEPKiS6_PKS3_S8_S4_PS3_21rocsparse_index_base_b.num_vgpr, 67
	.set _ZN9rocsparseL19gebsrmvn_3xn_kernelILj128ELj6ELj4EdEEvi20rocsparse_direction_NS_24const_host_device_scalarIT2_EEPKiS6_PKS3_S8_S4_PS3_21rocsparse_index_base_b.num_agpr, 0
	.set _ZN9rocsparseL19gebsrmvn_3xn_kernelILj128ELj6ELj4EdEEvi20rocsparse_direction_NS_24const_host_device_scalarIT2_EEPKiS6_PKS3_S8_S4_PS3_21rocsparse_index_base_b.numbered_sgpr, 16
	.set _ZN9rocsparseL19gebsrmvn_3xn_kernelILj128ELj6ELj4EdEEvi20rocsparse_direction_NS_24const_host_device_scalarIT2_EEPKiS6_PKS3_S8_S4_PS3_21rocsparse_index_base_b.num_named_barrier, 0
	.set _ZN9rocsparseL19gebsrmvn_3xn_kernelILj128ELj6ELj4EdEEvi20rocsparse_direction_NS_24const_host_device_scalarIT2_EEPKiS6_PKS3_S8_S4_PS3_21rocsparse_index_base_b.private_seg_size, 0
	.set _ZN9rocsparseL19gebsrmvn_3xn_kernelILj128ELj6ELj4EdEEvi20rocsparse_direction_NS_24const_host_device_scalarIT2_EEPKiS6_PKS3_S8_S4_PS3_21rocsparse_index_base_b.uses_vcc, 1
	.set _ZN9rocsparseL19gebsrmvn_3xn_kernelILj128ELj6ELj4EdEEvi20rocsparse_direction_NS_24const_host_device_scalarIT2_EEPKiS6_PKS3_S8_S4_PS3_21rocsparse_index_base_b.uses_flat_scratch, 0
	.set _ZN9rocsparseL19gebsrmvn_3xn_kernelILj128ELj6ELj4EdEEvi20rocsparse_direction_NS_24const_host_device_scalarIT2_EEPKiS6_PKS3_S8_S4_PS3_21rocsparse_index_base_b.has_dyn_sized_stack, 0
	.set _ZN9rocsparseL19gebsrmvn_3xn_kernelILj128ELj6ELj4EdEEvi20rocsparse_direction_NS_24const_host_device_scalarIT2_EEPKiS6_PKS3_S8_S4_PS3_21rocsparse_index_base_b.has_recursion, 0
	.set _ZN9rocsparseL19gebsrmvn_3xn_kernelILj128ELj6ELj4EdEEvi20rocsparse_direction_NS_24const_host_device_scalarIT2_EEPKiS6_PKS3_S8_S4_PS3_21rocsparse_index_base_b.has_indirect_call, 0
	.section	.AMDGPU.csdata,"",@progbits
; Kernel info:
; codeLenInByte = 2936
; TotalNumSgprs: 18
; NumVgprs: 67
; ScratchSize: 0
; MemoryBound: 0
; FloatMode: 240
; IeeeMode: 1
; LDSByteSize: 0 bytes/workgroup (compile time only)
; SGPRBlocks: 0
; VGPRBlocks: 8
; NumSGPRsForWavesPerEU: 18
; NumVGPRsForWavesPerEU: 67
; Occupancy: 12
; WaveLimiterHint : 1
; COMPUTE_PGM_RSRC2:SCRATCH_EN: 0
; COMPUTE_PGM_RSRC2:USER_SGPR: 6
; COMPUTE_PGM_RSRC2:TRAP_HANDLER: 0
; COMPUTE_PGM_RSRC2:TGID_X_EN: 1
; COMPUTE_PGM_RSRC2:TGID_Y_EN: 0
; COMPUTE_PGM_RSRC2:TGID_Z_EN: 0
; COMPUTE_PGM_RSRC2:TIDIG_COMP_CNT: 0
	.section	.text._ZN9rocsparseL19gebsrmvn_3xn_kernelILj128ELj6ELj8EdEEvi20rocsparse_direction_NS_24const_host_device_scalarIT2_EEPKiS6_PKS3_S8_S4_PS3_21rocsparse_index_base_b,"axG",@progbits,_ZN9rocsparseL19gebsrmvn_3xn_kernelILj128ELj6ELj8EdEEvi20rocsparse_direction_NS_24const_host_device_scalarIT2_EEPKiS6_PKS3_S8_S4_PS3_21rocsparse_index_base_b,comdat
	.globl	_ZN9rocsparseL19gebsrmvn_3xn_kernelILj128ELj6ELj8EdEEvi20rocsparse_direction_NS_24const_host_device_scalarIT2_EEPKiS6_PKS3_S8_S4_PS3_21rocsparse_index_base_b ; -- Begin function _ZN9rocsparseL19gebsrmvn_3xn_kernelILj128ELj6ELj8EdEEvi20rocsparse_direction_NS_24const_host_device_scalarIT2_EEPKiS6_PKS3_S8_S4_PS3_21rocsparse_index_base_b
	.p2align	8
	.type	_ZN9rocsparseL19gebsrmvn_3xn_kernelILj128ELj6ELj8EdEEvi20rocsparse_direction_NS_24const_host_device_scalarIT2_EEPKiS6_PKS3_S8_S4_PS3_21rocsparse_index_base_b,@function
_ZN9rocsparseL19gebsrmvn_3xn_kernelILj128ELj6ELj8EdEEvi20rocsparse_direction_NS_24const_host_device_scalarIT2_EEPKiS6_PKS3_S8_S4_PS3_21rocsparse_index_base_b: ; @_ZN9rocsparseL19gebsrmvn_3xn_kernelILj128ELj6ELj8EdEEvi20rocsparse_direction_NS_24const_host_device_scalarIT2_EEPKiS6_PKS3_S8_S4_PS3_21rocsparse_index_base_b
; %bb.0:
	s_clause 0x2
	s_load_dwordx2 s[2:3], s[4:5], 0x40
	s_load_dwordx2 s[8:9], s[4:5], 0x8
	s_load_dwordx2 s[0:1], s[4:5], 0x30
	s_waitcnt lgkmcnt(0)
	s_bitcmp1_b32 s3, 0
	v_mov_b32_e32 v1, s8
	v_mov_b32_e32 v2, s9
	s_cselect_b32 s3, -1, 0
	s_and_b32 vcc_lo, exec_lo, s3
	s_xor_b32 s3, s3, -1
	s_cbranch_vccnz .LBB58_2
; %bb.1:
	v_mov_b32_e32 v1, s8
	v_mov_b32_e32 v2, s9
	flat_load_dwordx2 v[1:2], v[1:2]
.LBB58_2:
	v_mov_b32_e32 v4, s1
	v_mov_b32_e32 v3, s0
	s_andn2_b32 vcc_lo, exec_lo, s3
	s_cbranch_vccnz .LBB58_4
; %bb.3:
	v_mov_b32_e32 v4, s1
	v_mov_b32_e32 v3, s0
	flat_load_dwordx2 v[3:4], v[3:4]
.LBB58_4:
	s_waitcnt vmcnt(0) lgkmcnt(0)
	v_cmp_neq_f64_e32 vcc_lo, 0, v[1:2]
	v_cmp_neq_f64_e64 s0, 1.0, v[3:4]
	s_or_b32 s0, vcc_lo, s0
	s_and_saveexec_b32 s1, s0
	s_cbranch_execz .LBB58_23
; %bb.5:
	s_load_dwordx2 s[0:1], s[4:5], 0x0
	v_lshrrev_b32_e32 v5, 3, v0
	v_lshl_or_b32 v5, s6, 4, v5
	s_waitcnt lgkmcnt(0)
	v_cmp_gt_i32_e32 vcc_lo, s0, v5
	s_and_b32 exec_lo, exec_lo, vcc_lo
	s_cbranch_execz .LBB58_23
; %bb.6:
	s_load_dwordx8 s[8:15], s[4:5], 0x10
	v_ashrrev_i32_e32 v6, 31, v5
	v_and_b32_e32 v0, 7, v0
	s_cmp_lg_u32 s1, 0
	v_lshlrev_b64 v[6:7], 2, v[5:6]
	s_waitcnt lgkmcnt(0)
	v_add_co_u32 v6, vcc_lo, s8, v6
	v_add_co_ci_u32_e64 v7, null, s9, v7, vcc_lo
	global_load_dwordx2 v[6:7], v[6:7], off
	s_waitcnt vmcnt(0)
	v_subrev_nc_u32_e32 v6, s2, v6
	v_subrev_nc_u32_e32 v20, s2, v7
	v_add_nc_u32_e32 v8, v6, v0
	v_cmp_lt_i32_e64 s0, v8, v20
	s_cbranch_scc0 .LBB58_12
; %bb.7:
	v_mov_b32_e32 v6, 0
	v_mov_b32_e32 v10, 0
	;; [unrolled: 1-line block ×6, first 2 shown]
	s_and_saveexec_b32 s3, s0
	s_cbranch_execz .LBB58_11
; %bb.8:
	v_mad_u64_u32 v[14:15], null, v8, 18, 17
	v_mov_b32_e32 v6, 0
	v_mov_b32_e32 v10, 0
	;; [unrolled: 1-line block ×8, first 2 shown]
	s_mov_b32 s6, 0
.LBB58_9:                               ; =>This Inner Loop Header: Depth=1
	v_ashrrev_i32_e32 v19, 31, v18
	v_mov_b32_e32 v34, v17
	v_lshlrev_b64 v[15:16], 2, v[18:19]
	v_add_nc_u32_e32 v18, 8, v18
	v_add_co_u32 v15, vcc_lo, s10, v15
	v_add_co_ci_u32_e64 v16, null, s11, v16, vcc_lo
	global_load_dword v9, v[15:16], off
	v_subrev_nc_u32_e32 v16, 17, v14
	v_mov_b32_e32 v15, v17
	v_lshlrev_b64 v[21:22], 3, v[16:17]
	v_add_nc_u32_e32 v16, -15, v14
	v_lshlrev_b64 v[23:24], 3, v[14:15]
	v_lshlrev_b64 v[25:26], 3, v[16:17]
	v_add_nc_u32_e32 v16, -14, v14
	v_add_co_u32 v21, vcc_lo, s12, v21
	v_add_co_ci_u32_e64 v22, null, s13, v22, vcc_lo
	v_lshlrev_b64 v[27:28], 3, v[16:17]
	v_add_nc_u32_e32 v16, -13, v14
	v_add_co_u32 v37, vcc_lo, s12, v23
	v_add_co_ci_u32_e64 v38, null, s13, v24, vcc_lo
	v_add_co_u32 v25, vcc_lo, s12, v25
	v_add_co_ci_u32_e64 v26, null, s13, v26, vcc_lo
	v_lshlrev_b64 v[29:30], 3, v[16:17]
	v_add_nc_u32_e32 v16, -12, v14
	s_clause 0x1
	global_load_dwordx4 v[21:24], v[21:22], off
	global_load_dwordx2 v[39:40], v[25:26], off
	v_add_co_u32 v27, vcc_lo, s12, v27
	v_lshlrev_b64 v[25:26], 3, v[16:17]
	v_add_co_ci_u32_e64 v28, null, s13, v28, vcc_lo
	v_add_co_u32 v29, vcc_lo, s12, v29
	v_add_co_ci_u32_e64 v30, null, s13, v30, vcc_lo
	v_add_co_u32 v31, vcc_lo, s12, v25
	v_add_co_ci_u32_e64 v32, null, s13, v26, vcc_lo
	s_clause 0x1
	global_load_dwordx2 v[41:42], v[27:28], off
	global_load_dwordx2 v[43:44], v[29:30], off
	v_add_nc_u32_e32 v16, -11, v14
	v_lshlrev_b64 v[15:16], 3, v[16:17]
	v_add_co_u32 v15, vcc_lo, s12, v15
	v_add_co_ci_u32_e64 v16, null, s13, v16, vcc_lo
	s_waitcnt vmcnt(4)
	v_subrev_nc_u32_e32 v9, s2, v9
	v_mul_lo_u32 v33, v9, 6
	v_lshlrev_b64 v[25:26], 3, v[33:34]
	v_add_co_u32 v25, s1, s14, v25
	v_add_co_ci_u32_e64 v26, null, s15, v26, s1
	global_load_dwordx4 v[25:28], v[25:26], off
	s_clause 0x1
	global_load_dwordx2 v[45:46], v[31:32], off
	global_load_dwordx2 v[47:48], v[15:16], off
	v_add_nc_u32_e32 v16, 2, v33
	v_lshlrev_b64 v[29:30], 3, v[16:17]
	v_add_nc_u32_e32 v16, -10, v14
	v_lshlrev_b64 v[31:32], 3, v[16:17]
	v_add_nc_u32_e32 v16, -9, v14
	v_add_co_u32 v29, vcc_lo, s14, v29
	v_add_co_ci_u32_e64 v30, null, s15, v30, vcc_lo
	v_lshlrev_b64 v[34:35], 3, v[16:17]
	v_add_nc_u32_e32 v16, -8, v14
	v_add_co_u32 v49, vcc_lo, s12, v31
	v_add_co_ci_u32_e64 v50, null, s13, v32, vcc_lo
	v_lshlrev_b64 v[51:52], 3, v[16:17]
	v_add_co_u32 v34, vcc_lo, s12, v34
	v_add_nc_u32_e32 v16, -7, v14
	v_add_co_ci_u32_e64 v35, null, s13, v35, vcc_lo
	v_add_co_u32 v51, vcc_lo, s12, v51
	v_lshlrev_b64 v[53:54], 3, v[16:17]
	v_add_nc_u32_e32 v16, -6, v14
	v_add_co_ci_u32_e64 v52, null, s13, v52, vcc_lo
	global_load_dwordx4 v[29:32], v[29:30], off
	s_clause 0x2
	global_load_dwordx2 v[49:50], v[49:50], off
	global_load_dwordx2 v[55:56], v[34:35], off
	;; [unrolled: 1-line block ×3, first 2 shown]
	v_lshlrev_b64 v[34:35], 3, v[16:17]
	v_add_nc_u32_e32 v16, -5, v14
	v_add_co_u32 v53, vcc_lo, s12, v53
	v_add_co_ci_u32_e64 v54, null, s13, v54, vcc_lo
	v_lshlrev_b64 v[57:58], 3, v[16:17]
	v_add_nc_u32_e32 v16, 4, v33
	v_add_co_u32 v33, vcc_lo, s12, v34
	v_add_co_ci_u32_e64 v34, null, s13, v35, vcc_lo
	v_add_co_u32 v57, vcc_lo, s12, v57
	v_add_co_ci_u32_e64 v58, null, s13, v58, vcc_lo
	global_load_dwordx2 v[53:54], v[53:54], off
	v_lshlrev_b64 v[35:36], 3, v[16:17]
	v_add_nc_u32_e32 v16, -4, v14
	s_clause 0x1
	global_load_dwordx2 v[57:58], v[57:58], off
	global_load_dwordx2 v[59:60], v[33:34], off
	v_lshlrev_b64 v[33:34], 3, v[16:17]
	v_add_nc_u32_e32 v16, -3, v14
	v_add_co_u32 v35, vcc_lo, s14, v35
	v_add_co_ci_u32_e64 v36, null, s15, v36, vcc_lo
	v_lshlrev_b64 v[15:16], 3, v[16:17]
	v_add_co_u32 v61, vcc_lo, s12, v33
	v_add_co_ci_u32_e64 v62, null, s13, v34, vcc_lo
	global_load_dwordx4 v[33:36], v[35:36], off
	v_add_co_u32 v15, vcc_lo, s12, v15
	v_add_co_ci_u32_e64 v16, null, s13, v16, vcc_lo
	s_clause 0x1
	global_load_dwordx2 v[61:62], v[61:62], off
	global_load_dwordx2 v[63:64], v[15:16], off
	v_add_nc_u32_e32 v16, -2, v14
	v_lshlrev_b64 v[65:66], 3, v[16:17]
	v_add_nc_u32_e32 v16, -1, v14
	v_add_nc_u32_e32 v14, 0x90, v14
	v_lshlrev_b64 v[15:16], 3, v[16:17]
	s_waitcnt vmcnt(12)
	v_fma_f64 v[6:7], v[21:22], v[25:26], v[6:7]
	v_add_co_u32 v21, vcc_lo, s12, v65
	v_add_co_ci_u32_e64 v22, null, s13, v66, vcc_lo
	v_add_co_u32 v15, vcc_lo, s12, v15
	v_add_co_ci_u32_e64 v16, null, s13, v16, vcc_lo
	v_fma_f64 v[12:13], v[23:24], v[25:26], v[12:13]
	s_clause 0x2
	global_load_dwordx2 v[23:24], v[37:38], off
	global_load_dwordx2 v[21:22], v[21:22], off
	;; [unrolled: 1-line block ×3, first 2 shown]
	v_fma_f64 v[9:10], v[39:40], v[25:26], v[10:11]
	v_cmp_ge_i32_e32 vcc_lo, v18, v20
	s_or_b32 s6, vcc_lo, s6
	v_fma_f64 v[6:7], v[41:42], v[27:28], v[6:7]
	v_fma_f64 v[11:12], v[43:44], v[27:28], v[12:13]
	s_waitcnt vmcnt(14)
	v_fma_f64 v[9:10], v[45:46], v[27:28], v[9:10]
	s_waitcnt vmcnt(12)
	;; [unrolled: 2-line block ×12, first 2 shown]
	v_fma_f64 v[12:13], v[15:16], v[35:36], v[11:12]
	v_fma_f64 v[10:11], v[23:24], v[35:36], v[9:10]
	s_andn2_b32 exec_lo, exec_lo, s6
	s_cbranch_execnz .LBB58_9
; %bb.10:
	s_or_b32 exec_lo, exec_lo, s6
.LBB58_11:
	s_or_b32 exec_lo, exec_lo, s3
	s_cbranch_execz .LBB58_13
	s_branch .LBB58_18
.LBB58_12:
                                        ; implicit-def: $vgpr6_vgpr7
                                        ; implicit-def: $vgpr10_vgpr11
                                        ; implicit-def: $vgpr12_vgpr13
.LBB58_13:
	v_mov_b32_e32 v6, 0
	v_mov_b32_e32 v10, 0
	;; [unrolled: 1-line block ×6, first 2 shown]
	s_and_saveexec_b32 s1, s0
	s_cbranch_execz .LBB58_17
; %bb.14:
	v_mad_u64_u32 v[14:15], null, v8, 18, 17
	v_mov_b32_e32 v6, 0
	v_mov_b32_e32 v10, 0
	;; [unrolled: 1-line block ×7, first 2 shown]
	s_mov_b32 s0, 0
.LBB58_15:                              ; =>This Inner Loop Header: Depth=1
	v_ashrrev_i32_e32 v9, 31, v8
	v_add_nc_u32_e32 v18, -11, v14
	v_mov_b32_e32 v19, v17
	v_add_nc_u32_e32 v21, -5, v14
	v_mov_b32_e32 v22, v17
	v_lshlrev_b64 v[15:16], 2, v[8:9]
	v_mov_b32_e32 v30, v17
	v_lshlrev_b64 v[18:19], 3, v[18:19]
	v_add_nc_u32_e32 v8, 8, v8
	v_lshlrev_b64 v[21:22], 3, v[21:22]
	v_add_co_u32 v15, vcc_lo, s10, v15
	v_add_co_ci_u32_e64 v16, null, s11, v16, vcc_lo
	global_load_dword v9, v[15:16], off
	v_subrev_nc_u32_e32 v16, 17, v14
	v_mov_b32_e32 v15, v17
	v_lshlrev_b64 v[23:24], 3, v[16:17]
	v_add_nc_u32_e32 v16, -10, v14
	v_lshlrev_b64 v[25:26], 3, v[14:15]
	v_lshlrev_b64 v[27:28], 3, v[16:17]
	v_add_co_u32 v23, vcc_lo, s12, v23
	v_add_co_ci_u32_e64 v24, null, s13, v24, vcc_lo
	v_add_co_u32 v18, vcc_lo, s12, v18
	v_add_nc_u32_e32 v16, -4, v14
	v_add_co_ci_u32_e64 v19, null, s13, v19, vcc_lo
	v_add_co_u32 v31, vcc_lo, s12, v21
	v_add_co_ci_u32_e64 v32, null, s13, v22, vcc_lo
	v_add_co_u32 v37, vcc_lo, s12, v25
	v_add_co_ci_u32_e64 v38, null, s13, v26, vcc_lo
	v_lshlrev_b64 v[25:26], 3, v[16:17]
	v_add_nc_u32_e32 v16, -15, v14
	v_add_co_u32 v27, vcc_lo, s12, v27
	v_add_co_ci_u32_e64 v28, null, s13, v28, vcc_lo
	v_lshlrev_b64 v[15:16], 3, v[16:17]
	v_add_co_u32 v25, vcc_lo, s12, v25
	v_add_co_ci_u32_e64 v26, null, s13, v26, vcc_lo
	s_clause 0x2
	global_load_dwordx4 v[21:24], v[23:24], off
	global_load_dwordx2 v[18:19], v[18:19], off
	global_load_dwordx2 v[39:40], v[31:32], off
	v_add_co_u32 v15, vcc_lo, s12, v15
	v_add_co_ci_u32_e64 v16, null, s13, v16, vcc_lo
	s_clause 0x2
	global_load_dwordx2 v[41:42], v[27:28], off
	global_load_dwordx2 v[43:44], v[25:26], off
	;; [unrolled: 1-line block ×3, first 2 shown]
	s_waitcnt vmcnt(6)
	v_subrev_nc_u32_e32 v9, s2, v9
	v_mul_lo_u32 v29, v9, 6
	v_lshlrev_b64 v[25:26], 3, v[29:30]
	v_add_nc_u32_e32 v16, 2, v29
	v_lshlrev_b64 v[30:31], 3, v[16:17]
	v_add_co_u32 v25, vcc_lo, s14, v25
	v_add_co_ci_u32_e64 v26, null, s15, v26, vcc_lo
	v_add_nc_u32_e32 v16, -9, v14
	v_add_co_u32 v30, vcc_lo, s14, v30
	global_load_dwordx4 v[25:28], v[25:26], off
	v_add_co_ci_u32_e64 v31, null, s15, v31, vcc_lo
	v_lshlrev_b64 v[32:33], 3, v[16:17]
	v_add_nc_u32_e32 v16, -3, v14
	v_lshlrev_b64 v[34:35], 3, v[16:17]
	v_add_nc_u32_e32 v16, -14, v14
	v_add_co_u32 v47, vcc_lo, s12, v32
	v_add_co_ci_u32_e64 v48, null, s13, v33, vcc_lo
	v_lshlrev_b64 v[32:33], 3, v[16:17]
	v_add_nc_u32_e32 v16, -8, v14
	v_add_co_u32 v34, vcc_lo, s12, v34
	v_add_co_ci_u32_e64 v35, null, s13, v35, vcc_lo
	;; [unrolled: 4-line block ×4, first 2 shown]
	v_lshlrev_b64 v[53:54], 3, v[16:17]
	v_add_nc_u32_e32 v16, 4, v29
	v_add_co_u32 v55, vcc_lo, s12, v32
	v_add_co_ci_u32_e64 v56, null, s13, v33, vcc_lo
	v_lshlrev_b64 v[32:33], 3, v[16:17]
	v_add_nc_u32_e32 v16, -7, v14
	v_add_co_u32 v53, vcc_lo, s12, v53
	v_add_co_ci_u32_e64 v54, null, s13, v54, vcc_lo
	v_lshlrev_b64 v[57:58], 3, v[16:17]
	v_add_nc_u32_e32 v16, -1, v14
	v_add_co_u32 v59, vcc_lo, s14, v32
	v_add_co_ci_u32_e64 v60, null, s15, v33, vcc_lo
	v_lshlrev_b64 v[32:33], 3, v[16:17]
	v_add_co_u32 v57, vcc_lo, s12, v57
	v_add_co_ci_u32_e64 v58, null, s13, v58, vcc_lo
	v_add_nc_u32_e32 v16, -12, v14
	v_add_co_u32 v63, vcc_lo, s12, v32
	global_load_dwordx4 v[29:32], v[30:31], off
	s_clause 0x5
	global_load_dwordx2 v[47:48], v[47:48], off
	global_load_dwordx2 v[65:66], v[34:35], off
	;; [unrolled: 1-line block ×6, first 2 shown]
	v_add_co_ci_u32_e64 v64, null, s13, v33, vcc_lo
	v_lshlrev_b64 v[61:62], 3, v[16:17]
	v_add_nc_u32_e32 v16, -6, v14
	v_add_nc_u32_e32 v14, 0x90, v14
	v_lshlrev_b64 v[15:16], 3, v[16:17]
	v_add_co_u32 v61, vcc_lo, s12, v61
	v_add_co_ci_u32_e64 v62, null, s13, v62, vcc_lo
	v_add_co_u32 v15, vcc_lo, s12, v15
	v_add_co_ci_u32_e64 v16, null, s13, v16, vcc_lo
	v_cmp_ge_i32_e32 vcc_lo, v8, v20
	s_or_b32 s0, vcc_lo, s0
	s_waitcnt vmcnt(7)
	v_fma_f64 v[12:13], v[18:19], v[25:26], v[12:13]
	global_load_dwordx4 v[33:36], v[59:60], off
	s_clause 0x4
	global_load_dwordx2 v[18:19], v[57:58], off
	global_load_dwordx2 v[57:58], v[63:64], off
	;; [unrolled: 1-line block ×5, first 2 shown]
	v_fma_f64 v[6:7], v[21:22], v[25:26], v[6:7]
	v_fma_f64 v[9:10], v[39:40], v[25:26], v[10:11]
	;; [unrolled: 1-line block ×5, first 2 shown]
	s_waitcnt vmcnt(12)
	v_fma_f64 v[6:7], v[45:46], v[29:30], v[6:7]
	s_waitcnt vmcnt(11)
	v_fma_f64 v[11:12], v[47:48], v[29:30], v[11:12]
	;; [unrolled: 2-line block ×11, first 2 shown]
	v_fma_f64 v[10:11], v[37:38], v[35:36], v[9:10]
	s_andn2_b32 exec_lo, exec_lo, s0
	s_cbranch_execnz .LBB58_15
; %bb.16:
	s_or_b32 exec_lo, exec_lo, s0
.LBB58_17:
	s_or_b32 exec_lo, exec_lo, s1
.LBB58_18:
	v_mbcnt_lo_u32_b32 v18, -1, 0
	v_xor_b32_e32 v8, 4, v18
	v_cmp_gt_i32_e32 vcc_lo, 32, v8
	v_cndmask_b32_e32 v8, v18, v8, vcc_lo
	v_lshlrev_b32_e32 v17, 2, v8
	ds_bpermute_b32 v8, v17, v6
	ds_bpermute_b32 v9, v17, v7
	;; [unrolled: 1-line block ×6, first 2 shown]
	s_waitcnt lgkmcnt(4)
	v_add_f64 v[6:7], v[6:7], v[8:9]
	v_xor_b32_e32 v8, 2, v18
	s_waitcnt lgkmcnt(2)
	v_add_f64 v[12:13], v[12:13], v[14:15]
	s_waitcnt lgkmcnt(0)
	v_add_f64 v[10:11], v[10:11], v[16:17]
	v_cmp_gt_i32_e32 vcc_lo, 32, v8
	v_cndmask_b32_e32 v8, v18, v8, vcc_lo
	v_lshlrev_b32_e32 v17, 2, v8
	ds_bpermute_b32 v8, v17, v6
	ds_bpermute_b32 v9, v17, v7
	;; [unrolled: 1-line block ×6, first 2 shown]
	s_waitcnt lgkmcnt(4)
	v_add_f64 v[8:9], v[6:7], v[8:9]
	s_waitcnt lgkmcnt(2)
	v_add_f64 v[6:7], v[12:13], v[14:15]
	;; [unrolled: 2-line block ×3, first 2 shown]
	v_xor_b32_e32 v10, 1, v18
	v_cmp_gt_i32_e32 vcc_lo, 32, v10
	v_cndmask_b32_e32 v10, v18, v10, vcc_lo
	v_cmp_eq_u32_e32 vcc_lo, 7, v0
	v_lshlrev_b32_e32 v15, 2, v10
	ds_bpermute_b32 v10, v15, v8
	ds_bpermute_b32 v11, v15, v9
	;; [unrolled: 1-line block ×6, first 2 shown]
	s_and_b32 exec_lo, exec_lo, vcc_lo
	s_cbranch_execz .LBB58_23
; %bb.19:
	s_waitcnt lgkmcnt(4)
	v_add_f64 v[10:11], v[8:9], v[10:11]
	s_waitcnt lgkmcnt(2)
	v_add_f64 v[8:9], v[6:7], v[16:17]
	;; [unrolled: 2-line block ×3, first 2 shown]
	s_load_dwordx2 s[0:1], s[4:5], 0x38
	s_mov_b32 s2, exec_lo
	v_cmpx_eq_f64_e32 0, v[3:4]
	s_xor_b32 s2, exec_lo, s2
	s_cbranch_execz .LBB58_21
; %bb.20:
	v_lshl_add_u32 v0, v5, 1, v5
	v_mul_f64 v[10:11], v[1:2], v[10:11]
	v_mul_f64 v[12:13], v[1:2], v[8:9]
	;; [unrolled: 1-line block ×3, first 2 shown]
                                        ; implicit-def: $vgpr5
                                        ; implicit-def: $vgpr8_vgpr9
                                        ; implicit-def: $vgpr6_vgpr7
	v_ashrrev_i32_e32 v1, 31, v0
	v_lshlrev_b64 v[0:1], 3, v[0:1]
	s_waitcnt lgkmcnt(0)
	v_add_co_u32 v0, vcc_lo, s0, v0
	v_add_co_ci_u32_e64 v1, null, s1, v1, vcc_lo
	global_store_dwordx4 v[0:1], v[10:13], off
	global_store_dwordx2 v[0:1], v[2:3], off offset:16
                                        ; implicit-def: $vgpr1_vgpr2
                                        ; implicit-def: $vgpr10_vgpr11
                                        ; implicit-def: $vgpr3_vgpr4
.LBB58_21:
	s_andn2_saveexec_b32 s2, s2
	s_cbranch_execz .LBB58_23
; %bb.22:
	v_lshl_add_u32 v12, v5, 1, v5
	v_mul_f64 v[10:11], v[1:2], v[10:11]
	v_mul_f64 v[8:9], v[1:2], v[8:9]
	;; [unrolled: 1-line block ×3, first 2 shown]
	v_ashrrev_i32_e32 v13, 31, v12
	v_lshlrev_b64 v[12:13], 3, v[12:13]
	s_waitcnt lgkmcnt(0)
	v_add_co_u32 v16, vcc_lo, s0, v12
	v_add_co_ci_u32_e64 v17, null, s1, v13, vcc_lo
	s_clause 0x1
	global_load_dwordx4 v[12:15], v[16:17], off
	global_load_dwordx2 v[18:19], v[16:17], off offset:16
	s_waitcnt vmcnt(1)
	v_fma_f64 v[5:6], v[3:4], v[12:13], v[10:11]
	v_fma_f64 v[7:8], v[3:4], v[14:15], v[8:9]
	s_waitcnt vmcnt(0)
	v_fma_f64 v[0:1], v[3:4], v[18:19], v[0:1]
	global_store_dwordx4 v[16:17], v[5:8], off
	global_store_dwordx2 v[16:17], v[0:1], off offset:16
.LBB58_23:
	s_endpgm
	.section	.rodata,"a",@progbits
	.p2align	6, 0x0
	.amdhsa_kernel _ZN9rocsparseL19gebsrmvn_3xn_kernelILj128ELj6ELj8EdEEvi20rocsparse_direction_NS_24const_host_device_scalarIT2_EEPKiS6_PKS3_S8_S4_PS3_21rocsparse_index_base_b
		.amdhsa_group_segment_fixed_size 0
		.amdhsa_private_segment_fixed_size 0
		.amdhsa_kernarg_size 72
		.amdhsa_user_sgpr_count 6
		.amdhsa_user_sgpr_private_segment_buffer 1
		.amdhsa_user_sgpr_dispatch_ptr 0
		.amdhsa_user_sgpr_queue_ptr 0
		.amdhsa_user_sgpr_kernarg_segment_ptr 1
		.amdhsa_user_sgpr_dispatch_id 0
		.amdhsa_user_sgpr_flat_scratch_init 0
		.amdhsa_user_sgpr_private_segment_size 0
		.amdhsa_wavefront_size32 1
		.amdhsa_uses_dynamic_stack 0
		.amdhsa_system_sgpr_private_segment_wavefront_offset 0
		.amdhsa_system_sgpr_workgroup_id_x 1
		.amdhsa_system_sgpr_workgroup_id_y 0
		.amdhsa_system_sgpr_workgroup_id_z 0
		.amdhsa_system_sgpr_workgroup_info 0
		.amdhsa_system_vgpr_workitem_id 0
		.amdhsa_next_free_vgpr 67
		.amdhsa_next_free_sgpr 16
		.amdhsa_reserve_vcc 1
		.amdhsa_reserve_flat_scratch 0
		.amdhsa_float_round_mode_32 0
		.amdhsa_float_round_mode_16_64 0
		.amdhsa_float_denorm_mode_32 3
		.amdhsa_float_denorm_mode_16_64 3
		.amdhsa_dx10_clamp 1
		.amdhsa_ieee_mode 1
		.amdhsa_fp16_overflow 0
		.amdhsa_workgroup_processor_mode 1
		.amdhsa_memory_ordered 1
		.amdhsa_forward_progress 1
		.amdhsa_shared_vgpr_count 0
		.amdhsa_exception_fp_ieee_invalid_op 0
		.amdhsa_exception_fp_denorm_src 0
		.amdhsa_exception_fp_ieee_div_zero 0
		.amdhsa_exception_fp_ieee_overflow 0
		.amdhsa_exception_fp_ieee_underflow 0
		.amdhsa_exception_fp_ieee_inexact 0
		.amdhsa_exception_int_div_zero 0
	.end_amdhsa_kernel
	.section	.text._ZN9rocsparseL19gebsrmvn_3xn_kernelILj128ELj6ELj8EdEEvi20rocsparse_direction_NS_24const_host_device_scalarIT2_EEPKiS6_PKS3_S8_S4_PS3_21rocsparse_index_base_b,"axG",@progbits,_ZN9rocsparseL19gebsrmvn_3xn_kernelILj128ELj6ELj8EdEEvi20rocsparse_direction_NS_24const_host_device_scalarIT2_EEPKiS6_PKS3_S8_S4_PS3_21rocsparse_index_base_b,comdat
.Lfunc_end58:
	.size	_ZN9rocsparseL19gebsrmvn_3xn_kernelILj128ELj6ELj8EdEEvi20rocsparse_direction_NS_24const_host_device_scalarIT2_EEPKiS6_PKS3_S8_S4_PS3_21rocsparse_index_base_b, .Lfunc_end58-_ZN9rocsparseL19gebsrmvn_3xn_kernelILj128ELj6ELj8EdEEvi20rocsparse_direction_NS_24const_host_device_scalarIT2_EEPKiS6_PKS3_S8_S4_PS3_21rocsparse_index_base_b
                                        ; -- End function
	.set _ZN9rocsparseL19gebsrmvn_3xn_kernelILj128ELj6ELj8EdEEvi20rocsparse_direction_NS_24const_host_device_scalarIT2_EEPKiS6_PKS3_S8_S4_PS3_21rocsparse_index_base_b.num_vgpr, 67
	.set _ZN9rocsparseL19gebsrmvn_3xn_kernelILj128ELj6ELj8EdEEvi20rocsparse_direction_NS_24const_host_device_scalarIT2_EEPKiS6_PKS3_S8_S4_PS3_21rocsparse_index_base_b.num_agpr, 0
	.set _ZN9rocsparseL19gebsrmvn_3xn_kernelILj128ELj6ELj8EdEEvi20rocsparse_direction_NS_24const_host_device_scalarIT2_EEPKiS6_PKS3_S8_S4_PS3_21rocsparse_index_base_b.numbered_sgpr, 16
	.set _ZN9rocsparseL19gebsrmvn_3xn_kernelILj128ELj6ELj8EdEEvi20rocsparse_direction_NS_24const_host_device_scalarIT2_EEPKiS6_PKS3_S8_S4_PS3_21rocsparse_index_base_b.num_named_barrier, 0
	.set _ZN9rocsparseL19gebsrmvn_3xn_kernelILj128ELj6ELj8EdEEvi20rocsparse_direction_NS_24const_host_device_scalarIT2_EEPKiS6_PKS3_S8_S4_PS3_21rocsparse_index_base_b.private_seg_size, 0
	.set _ZN9rocsparseL19gebsrmvn_3xn_kernelILj128ELj6ELj8EdEEvi20rocsparse_direction_NS_24const_host_device_scalarIT2_EEPKiS6_PKS3_S8_S4_PS3_21rocsparse_index_base_b.uses_vcc, 1
	.set _ZN9rocsparseL19gebsrmvn_3xn_kernelILj128ELj6ELj8EdEEvi20rocsparse_direction_NS_24const_host_device_scalarIT2_EEPKiS6_PKS3_S8_S4_PS3_21rocsparse_index_base_b.uses_flat_scratch, 0
	.set _ZN9rocsparseL19gebsrmvn_3xn_kernelILj128ELj6ELj8EdEEvi20rocsparse_direction_NS_24const_host_device_scalarIT2_EEPKiS6_PKS3_S8_S4_PS3_21rocsparse_index_base_b.has_dyn_sized_stack, 0
	.set _ZN9rocsparseL19gebsrmvn_3xn_kernelILj128ELj6ELj8EdEEvi20rocsparse_direction_NS_24const_host_device_scalarIT2_EEPKiS6_PKS3_S8_S4_PS3_21rocsparse_index_base_b.has_recursion, 0
	.set _ZN9rocsparseL19gebsrmvn_3xn_kernelILj128ELj6ELj8EdEEvi20rocsparse_direction_NS_24const_host_device_scalarIT2_EEPKiS6_PKS3_S8_S4_PS3_21rocsparse_index_base_b.has_indirect_call, 0
	.section	.AMDGPU.csdata,"",@progbits
; Kernel info:
; codeLenInByte = 3036
; TotalNumSgprs: 18
; NumVgprs: 67
; ScratchSize: 0
; MemoryBound: 0
; FloatMode: 240
; IeeeMode: 1
; LDSByteSize: 0 bytes/workgroup (compile time only)
; SGPRBlocks: 0
; VGPRBlocks: 8
; NumSGPRsForWavesPerEU: 18
; NumVGPRsForWavesPerEU: 67
; Occupancy: 12
; WaveLimiterHint : 1
; COMPUTE_PGM_RSRC2:SCRATCH_EN: 0
; COMPUTE_PGM_RSRC2:USER_SGPR: 6
; COMPUTE_PGM_RSRC2:TRAP_HANDLER: 0
; COMPUTE_PGM_RSRC2:TGID_X_EN: 1
; COMPUTE_PGM_RSRC2:TGID_Y_EN: 0
; COMPUTE_PGM_RSRC2:TGID_Z_EN: 0
; COMPUTE_PGM_RSRC2:TIDIG_COMP_CNT: 0
	.section	.text._ZN9rocsparseL19gebsrmvn_3xn_kernelILj128ELj6ELj16EdEEvi20rocsparse_direction_NS_24const_host_device_scalarIT2_EEPKiS6_PKS3_S8_S4_PS3_21rocsparse_index_base_b,"axG",@progbits,_ZN9rocsparseL19gebsrmvn_3xn_kernelILj128ELj6ELj16EdEEvi20rocsparse_direction_NS_24const_host_device_scalarIT2_EEPKiS6_PKS3_S8_S4_PS3_21rocsparse_index_base_b,comdat
	.globl	_ZN9rocsparseL19gebsrmvn_3xn_kernelILj128ELj6ELj16EdEEvi20rocsparse_direction_NS_24const_host_device_scalarIT2_EEPKiS6_PKS3_S8_S4_PS3_21rocsparse_index_base_b ; -- Begin function _ZN9rocsparseL19gebsrmvn_3xn_kernelILj128ELj6ELj16EdEEvi20rocsparse_direction_NS_24const_host_device_scalarIT2_EEPKiS6_PKS3_S8_S4_PS3_21rocsparse_index_base_b
	.p2align	8
	.type	_ZN9rocsparseL19gebsrmvn_3xn_kernelILj128ELj6ELj16EdEEvi20rocsparse_direction_NS_24const_host_device_scalarIT2_EEPKiS6_PKS3_S8_S4_PS3_21rocsparse_index_base_b,@function
_ZN9rocsparseL19gebsrmvn_3xn_kernelILj128ELj6ELj16EdEEvi20rocsparse_direction_NS_24const_host_device_scalarIT2_EEPKiS6_PKS3_S8_S4_PS3_21rocsparse_index_base_b: ; @_ZN9rocsparseL19gebsrmvn_3xn_kernelILj128ELj6ELj16EdEEvi20rocsparse_direction_NS_24const_host_device_scalarIT2_EEPKiS6_PKS3_S8_S4_PS3_21rocsparse_index_base_b
; %bb.0:
	s_clause 0x2
	s_load_dwordx2 s[2:3], s[4:5], 0x40
	s_load_dwordx2 s[8:9], s[4:5], 0x8
	;; [unrolled: 1-line block ×3, first 2 shown]
	s_waitcnt lgkmcnt(0)
	s_bitcmp1_b32 s3, 0
	v_mov_b32_e32 v1, s8
	v_mov_b32_e32 v2, s9
	s_cselect_b32 s3, -1, 0
	s_and_b32 vcc_lo, exec_lo, s3
	s_xor_b32 s3, s3, -1
	s_cbranch_vccnz .LBB59_2
; %bb.1:
	v_mov_b32_e32 v1, s8
	v_mov_b32_e32 v2, s9
	flat_load_dwordx2 v[1:2], v[1:2]
.LBB59_2:
	v_mov_b32_e32 v4, s1
	v_mov_b32_e32 v3, s0
	s_andn2_b32 vcc_lo, exec_lo, s3
	s_cbranch_vccnz .LBB59_4
; %bb.3:
	v_mov_b32_e32 v4, s1
	v_mov_b32_e32 v3, s0
	flat_load_dwordx2 v[3:4], v[3:4]
.LBB59_4:
	s_waitcnt vmcnt(0) lgkmcnt(0)
	v_cmp_neq_f64_e32 vcc_lo, 0, v[1:2]
	v_cmp_neq_f64_e64 s0, 1.0, v[3:4]
	s_or_b32 s0, vcc_lo, s0
	s_and_saveexec_b32 s1, s0
	s_cbranch_execz .LBB59_23
; %bb.5:
	s_load_dwordx2 s[0:1], s[4:5], 0x0
	v_lshrrev_b32_e32 v5, 4, v0
	v_lshl_or_b32 v5, s6, 3, v5
	s_waitcnt lgkmcnt(0)
	v_cmp_gt_i32_e32 vcc_lo, s0, v5
	s_and_b32 exec_lo, exec_lo, vcc_lo
	s_cbranch_execz .LBB59_23
; %bb.6:
	s_load_dwordx8 s[8:15], s[4:5], 0x10
	v_ashrrev_i32_e32 v6, 31, v5
	v_and_b32_e32 v0, 15, v0
	s_cmp_lg_u32 s1, 0
	v_lshlrev_b64 v[6:7], 2, v[5:6]
	s_waitcnt lgkmcnt(0)
	v_add_co_u32 v6, vcc_lo, s8, v6
	v_add_co_ci_u32_e64 v7, null, s9, v7, vcc_lo
	global_load_dwordx2 v[6:7], v[6:7], off
	s_waitcnt vmcnt(0)
	v_subrev_nc_u32_e32 v6, s2, v6
	v_subrev_nc_u32_e32 v20, s2, v7
	v_add_nc_u32_e32 v10, v6, v0
	v_cmp_lt_i32_e64 s0, v10, v20
	s_cbranch_scc0 .LBB59_12
; %bb.7:
	v_mov_b32_e32 v6, 0
	v_mov_b32_e32 v8, 0
	;; [unrolled: 1-line block ×6, first 2 shown]
	s_and_saveexec_b32 s3, s0
	s_cbranch_execz .LBB59_11
; %bb.8:
	v_mad_u64_u32 v[14:15], null, v10, 18, 17
	v_mov_b32_e32 v6, 0
	v_mov_b32_e32 v8, 0
	;; [unrolled: 1-line block ×8, first 2 shown]
	s_mov_b32 s6, 0
.LBB59_9:                               ; =>This Inner Loop Header: Depth=1
	v_ashrrev_i32_e32 v19, 31, v18
	v_mov_b32_e32 v34, v17
	v_lshlrev_b64 v[15:16], 2, v[18:19]
	v_add_nc_u32_e32 v18, 16, v18
	v_add_co_u32 v15, vcc_lo, s10, v15
	v_add_co_ci_u32_e64 v16, null, s11, v16, vcc_lo
	global_load_dword v11, v[15:16], off
	v_subrev_nc_u32_e32 v16, 17, v14
	v_mov_b32_e32 v15, v17
	v_lshlrev_b64 v[21:22], 3, v[16:17]
	v_add_nc_u32_e32 v16, -15, v14
	v_lshlrev_b64 v[23:24], 3, v[14:15]
	v_lshlrev_b64 v[25:26], 3, v[16:17]
	v_add_nc_u32_e32 v16, -14, v14
	v_add_co_u32 v21, vcc_lo, s12, v21
	v_add_co_ci_u32_e64 v22, null, s13, v22, vcc_lo
	v_lshlrev_b64 v[27:28], 3, v[16:17]
	v_add_nc_u32_e32 v16, -13, v14
	v_add_co_u32 v37, vcc_lo, s12, v23
	v_add_co_ci_u32_e64 v38, null, s13, v24, vcc_lo
	v_add_co_u32 v25, vcc_lo, s12, v25
	v_add_co_ci_u32_e64 v26, null, s13, v26, vcc_lo
	v_lshlrev_b64 v[29:30], 3, v[16:17]
	v_add_nc_u32_e32 v16, -12, v14
	s_clause 0x1
	global_load_dwordx4 v[21:24], v[21:22], off
	global_load_dwordx2 v[39:40], v[25:26], off
	v_add_co_u32 v27, vcc_lo, s12, v27
	v_lshlrev_b64 v[25:26], 3, v[16:17]
	v_add_co_ci_u32_e64 v28, null, s13, v28, vcc_lo
	v_add_co_u32 v29, vcc_lo, s12, v29
	v_add_co_ci_u32_e64 v30, null, s13, v30, vcc_lo
	v_add_co_u32 v31, vcc_lo, s12, v25
	v_add_co_ci_u32_e64 v32, null, s13, v26, vcc_lo
	s_clause 0x1
	global_load_dwordx2 v[41:42], v[27:28], off
	global_load_dwordx2 v[43:44], v[29:30], off
	v_add_nc_u32_e32 v16, -11, v14
	v_lshlrev_b64 v[15:16], 3, v[16:17]
	v_add_co_u32 v15, vcc_lo, s12, v15
	v_add_co_ci_u32_e64 v16, null, s13, v16, vcc_lo
	s_waitcnt vmcnt(4)
	v_subrev_nc_u32_e32 v11, s2, v11
	v_mul_lo_u32 v33, v11, 6
	v_lshlrev_b64 v[25:26], 3, v[33:34]
	v_add_co_u32 v25, s1, s14, v25
	v_add_co_ci_u32_e64 v26, null, s15, v26, s1
	global_load_dwordx4 v[25:28], v[25:26], off
	s_clause 0x1
	global_load_dwordx2 v[45:46], v[31:32], off
	global_load_dwordx2 v[47:48], v[15:16], off
	v_add_nc_u32_e32 v16, 2, v33
	v_lshlrev_b64 v[29:30], 3, v[16:17]
	v_add_nc_u32_e32 v16, -10, v14
	v_lshlrev_b64 v[31:32], 3, v[16:17]
	v_add_nc_u32_e32 v16, -9, v14
	v_add_co_u32 v29, vcc_lo, s14, v29
	v_add_co_ci_u32_e64 v30, null, s15, v30, vcc_lo
	v_lshlrev_b64 v[34:35], 3, v[16:17]
	v_add_nc_u32_e32 v16, -8, v14
	v_add_co_u32 v49, vcc_lo, s12, v31
	v_add_co_ci_u32_e64 v50, null, s13, v32, vcc_lo
	v_lshlrev_b64 v[51:52], 3, v[16:17]
	v_add_co_u32 v34, vcc_lo, s12, v34
	v_add_nc_u32_e32 v16, -7, v14
	v_add_co_ci_u32_e64 v35, null, s13, v35, vcc_lo
	v_add_co_u32 v51, vcc_lo, s12, v51
	v_lshlrev_b64 v[53:54], 3, v[16:17]
	v_add_nc_u32_e32 v16, -6, v14
	v_add_co_ci_u32_e64 v52, null, s13, v52, vcc_lo
	global_load_dwordx4 v[29:32], v[29:30], off
	s_clause 0x2
	global_load_dwordx2 v[49:50], v[49:50], off
	global_load_dwordx2 v[55:56], v[34:35], off
	;; [unrolled: 1-line block ×3, first 2 shown]
	v_lshlrev_b64 v[34:35], 3, v[16:17]
	v_add_nc_u32_e32 v16, -5, v14
	v_add_co_u32 v53, vcc_lo, s12, v53
	v_add_co_ci_u32_e64 v54, null, s13, v54, vcc_lo
	v_lshlrev_b64 v[57:58], 3, v[16:17]
	v_add_nc_u32_e32 v16, 4, v33
	v_add_co_u32 v33, vcc_lo, s12, v34
	v_add_co_ci_u32_e64 v34, null, s13, v35, vcc_lo
	v_add_co_u32 v57, vcc_lo, s12, v57
	v_add_co_ci_u32_e64 v58, null, s13, v58, vcc_lo
	global_load_dwordx2 v[53:54], v[53:54], off
	v_lshlrev_b64 v[35:36], 3, v[16:17]
	v_add_nc_u32_e32 v16, -4, v14
	s_clause 0x1
	global_load_dwordx2 v[57:58], v[57:58], off
	global_load_dwordx2 v[59:60], v[33:34], off
	v_lshlrev_b64 v[33:34], 3, v[16:17]
	v_add_nc_u32_e32 v16, -3, v14
	v_add_co_u32 v35, vcc_lo, s14, v35
	v_add_co_ci_u32_e64 v36, null, s15, v36, vcc_lo
	v_lshlrev_b64 v[15:16], 3, v[16:17]
	v_add_co_u32 v61, vcc_lo, s12, v33
	v_add_co_ci_u32_e64 v62, null, s13, v34, vcc_lo
	global_load_dwordx4 v[33:36], v[35:36], off
	v_add_co_u32 v15, vcc_lo, s12, v15
	v_add_co_ci_u32_e64 v16, null, s13, v16, vcc_lo
	s_clause 0x1
	global_load_dwordx2 v[61:62], v[61:62], off
	global_load_dwordx2 v[63:64], v[15:16], off
	v_add_nc_u32_e32 v16, -2, v14
	v_lshlrev_b64 v[65:66], 3, v[16:17]
	v_add_nc_u32_e32 v16, -1, v14
	v_add_nc_u32_e32 v14, 0x120, v14
	v_lshlrev_b64 v[15:16], 3, v[16:17]
	s_waitcnt vmcnt(12)
	v_fma_f64 v[6:7], v[21:22], v[25:26], v[6:7]
	v_add_co_u32 v21, vcc_lo, s12, v65
	v_add_co_ci_u32_e64 v22, null, s13, v66, vcc_lo
	v_add_co_u32 v15, vcc_lo, s12, v15
	v_add_co_ci_u32_e64 v16, null, s13, v16, vcc_lo
	v_fma_f64 v[11:12], v[23:24], v[25:26], v[12:13]
	s_clause 0x2
	global_load_dwordx2 v[23:24], v[37:38], off
	global_load_dwordx2 v[21:22], v[21:22], off
	;; [unrolled: 1-line block ×3, first 2 shown]
	v_fma_f64 v[8:9], v[39:40], v[25:26], v[8:9]
	v_cmp_ge_i32_e32 vcc_lo, v18, v20
	s_or_b32 s6, vcc_lo, s6
	v_fma_f64 v[6:7], v[41:42], v[27:28], v[6:7]
	v_fma_f64 v[11:12], v[43:44], v[27:28], v[11:12]
	s_waitcnt vmcnt(14)
	v_fma_f64 v[8:9], v[45:46], v[27:28], v[8:9]
	s_waitcnt vmcnt(12)
	;; [unrolled: 2-line block ×13, first 2 shown]
	v_fma_f64 v[12:13], v[15:16], v[35:36], v[11:12]
	s_andn2_b32 exec_lo, exec_lo, s6
	s_cbranch_execnz .LBB59_9
; %bb.10:
	s_or_b32 exec_lo, exec_lo, s6
.LBB59_11:
	s_or_b32 exec_lo, exec_lo, s3
	s_cbranch_execz .LBB59_13
	s_branch .LBB59_18
.LBB59_12:
                                        ; implicit-def: $vgpr6_vgpr7
                                        ; implicit-def: $vgpr8_vgpr9
                                        ; implicit-def: $vgpr12_vgpr13
.LBB59_13:
	v_mov_b32_e32 v6, 0
	v_mov_b32_e32 v8, 0
	;; [unrolled: 1-line block ×6, first 2 shown]
	s_and_saveexec_b32 s1, s0
	s_cbranch_execz .LBB59_17
; %bb.14:
	v_mad_u64_u32 v[14:15], null, v10, 18, 17
	v_mov_b32_e32 v6, 0
	v_mov_b32_e32 v8, 0
	;; [unrolled: 1-line block ×7, first 2 shown]
	s_mov_b32 s0, 0
.LBB59_15:                              ; =>This Inner Loop Header: Depth=1
	v_ashrrev_i32_e32 v11, 31, v10
	v_add_nc_u32_e32 v18, -11, v14
	v_mov_b32_e32 v19, v17
	v_add_nc_u32_e32 v21, -5, v14
	v_mov_b32_e32 v22, v17
	v_lshlrev_b64 v[15:16], 2, v[10:11]
	v_mov_b32_e32 v30, v17
	v_lshlrev_b64 v[18:19], 3, v[18:19]
	v_add_nc_u32_e32 v10, 16, v10
	v_lshlrev_b64 v[21:22], 3, v[21:22]
	v_add_co_u32 v15, vcc_lo, s10, v15
	v_add_co_ci_u32_e64 v16, null, s11, v16, vcc_lo
	global_load_dword v11, v[15:16], off
	v_subrev_nc_u32_e32 v16, 17, v14
	v_mov_b32_e32 v15, v17
	v_lshlrev_b64 v[23:24], 3, v[16:17]
	v_add_nc_u32_e32 v16, -10, v14
	v_lshlrev_b64 v[25:26], 3, v[14:15]
	v_lshlrev_b64 v[27:28], 3, v[16:17]
	v_add_co_u32 v23, vcc_lo, s12, v23
	v_add_co_ci_u32_e64 v24, null, s13, v24, vcc_lo
	v_add_co_u32 v18, vcc_lo, s12, v18
	v_add_nc_u32_e32 v16, -4, v14
	v_add_co_ci_u32_e64 v19, null, s13, v19, vcc_lo
	v_add_co_u32 v31, vcc_lo, s12, v21
	v_add_co_ci_u32_e64 v32, null, s13, v22, vcc_lo
	v_add_co_u32 v37, vcc_lo, s12, v25
	v_add_co_ci_u32_e64 v38, null, s13, v26, vcc_lo
	v_lshlrev_b64 v[25:26], 3, v[16:17]
	v_add_nc_u32_e32 v16, -15, v14
	v_add_co_u32 v27, vcc_lo, s12, v27
	v_add_co_ci_u32_e64 v28, null, s13, v28, vcc_lo
	v_lshlrev_b64 v[15:16], 3, v[16:17]
	v_add_co_u32 v25, vcc_lo, s12, v25
	v_add_co_ci_u32_e64 v26, null, s13, v26, vcc_lo
	s_clause 0x2
	global_load_dwordx4 v[21:24], v[23:24], off
	global_load_dwordx2 v[18:19], v[18:19], off
	global_load_dwordx2 v[39:40], v[31:32], off
	v_add_co_u32 v15, vcc_lo, s12, v15
	v_add_co_ci_u32_e64 v16, null, s13, v16, vcc_lo
	s_clause 0x2
	global_load_dwordx2 v[41:42], v[27:28], off
	global_load_dwordx2 v[43:44], v[25:26], off
	global_load_dwordx2 v[45:46], v[15:16], off
	s_waitcnt vmcnt(6)
	v_subrev_nc_u32_e32 v11, s2, v11
	v_mul_lo_u32 v29, v11, 6
	v_lshlrev_b64 v[25:26], 3, v[29:30]
	v_add_nc_u32_e32 v16, 2, v29
	v_lshlrev_b64 v[30:31], 3, v[16:17]
	v_add_co_u32 v25, vcc_lo, s14, v25
	v_add_co_ci_u32_e64 v26, null, s15, v26, vcc_lo
	v_add_nc_u32_e32 v16, -9, v14
	v_add_co_u32 v30, vcc_lo, s14, v30
	global_load_dwordx4 v[25:28], v[25:26], off
	v_add_co_ci_u32_e64 v31, null, s15, v31, vcc_lo
	v_lshlrev_b64 v[32:33], 3, v[16:17]
	v_add_nc_u32_e32 v16, -3, v14
	v_lshlrev_b64 v[34:35], 3, v[16:17]
	v_add_nc_u32_e32 v16, -14, v14
	v_add_co_u32 v47, vcc_lo, s12, v32
	v_add_co_ci_u32_e64 v48, null, s13, v33, vcc_lo
	v_lshlrev_b64 v[32:33], 3, v[16:17]
	v_add_nc_u32_e32 v16, -8, v14
	v_add_co_u32 v34, vcc_lo, s12, v34
	v_add_co_ci_u32_e64 v35, null, s13, v35, vcc_lo
	;; [unrolled: 4-line block ×4, first 2 shown]
	v_lshlrev_b64 v[53:54], 3, v[16:17]
	v_add_nc_u32_e32 v16, 4, v29
	v_add_co_u32 v55, vcc_lo, s12, v32
	v_add_co_ci_u32_e64 v56, null, s13, v33, vcc_lo
	v_lshlrev_b64 v[32:33], 3, v[16:17]
	v_add_nc_u32_e32 v16, -7, v14
	v_add_co_u32 v53, vcc_lo, s12, v53
	v_add_co_ci_u32_e64 v54, null, s13, v54, vcc_lo
	v_lshlrev_b64 v[57:58], 3, v[16:17]
	v_add_nc_u32_e32 v16, -1, v14
	v_add_co_u32 v59, vcc_lo, s14, v32
	v_add_co_ci_u32_e64 v60, null, s15, v33, vcc_lo
	v_lshlrev_b64 v[32:33], 3, v[16:17]
	v_add_co_u32 v57, vcc_lo, s12, v57
	v_add_co_ci_u32_e64 v58, null, s13, v58, vcc_lo
	v_add_nc_u32_e32 v16, -12, v14
	v_add_co_u32 v63, vcc_lo, s12, v32
	global_load_dwordx4 v[29:32], v[30:31], off
	s_clause 0x5
	global_load_dwordx2 v[47:48], v[47:48], off
	global_load_dwordx2 v[65:66], v[34:35], off
	;; [unrolled: 1-line block ×6, first 2 shown]
	v_add_co_ci_u32_e64 v64, null, s13, v33, vcc_lo
	v_lshlrev_b64 v[61:62], 3, v[16:17]
	v_add_nc_u32_e32 v16, -6, v14
	v_add_nc_u32_e32 v14, 0x120, v14
	v_lshlrev_b64 v[15:16], 3, v[16:17]
	v_add_co_u32 v61, vcc_lo, s12, v61
	v_add_co_ci_u32_e64 v62, null, s13, v62, vcc_lo
	v_add_co_u32 v15, vcc_lo, s12, v15
	v_add_co_ci_u32_e64 v16, null, s13, v16, vcc_lo
	v_cmp_ge_i32_e32 vcc_lo, v10, v20
	s_or_b32 s0, vcc_lo, s0
	s_waitcnt vmcnt(7)
	v_fma_f64 v[11:12], v[18:19], v[25:26], v[12:13]
	global_load_dwordx4 v[33:36], v[59:60], off
	s_clause 0x4
	global_load_dwordx2 v[18:19], v[57:58], off
	global_load_dwordx2 v[57:58], v[63:64], off
	;; [unrolled: 1-line block ×5, first 2 shown]
	v_fma_f64 v[6:7], v[21:22], v[25:26], v[6:7]
	v_fma_f64 v[8:9], v[39:40], v[25:26], v[8:9]
	;; [unrolled: 1-line block ×5, first 2 shown]
	s_waitcnt vmcnt(12)
	v_fma_f64 v[6:7], v[45:46], v[29:30], v[6:7]
	s_waitcnt vmcnt(11)
	v_fma_f64 v[11:12], v[47:48], v[29:30], v[11:12]
	;; [unrolled: 2-line block ×11, first 2 shown]
	v_fma_f64 v[8:9], v[37:38], v[35:36], v[8:9]
	s_andn2_b32 exec_lo, exec_lo, s0
	s_cbranch_execnz .LBB59_15
; %bb.16:
	s_or_b32 exec_lo, exec_lo, s0
.LBB59_17:
	s_or_b32 exec_lo, exec_lo, s1
.LBB59_18:
	v_mbcnt_lo_u32_b32 v18, -1, 0
	v_xor_b32_e32 v10, 8, v18
	v_cmp_gt_i32_e32 vcc_lo, 32, v10
	v_cndmask_b32_e32 v10, v18, v10, vcc_lo
	v_lshlrev_b32_e32 v17, 2, v10
	ds_bpermute_b32 v10, v17, v6
	ds_bpermute_b32 v11, v17, v7
	;; [unrolled: 1-line block ×6, first 2 shown]
	s_waitcnt lgkmcnt(4)
	v_add_f64 v[6:7], v[6:7], v[10:11]
	s_waitcnt lgkmcnt(2)
	v_add_f64 v[10:11], v[12:13], v[14:15]
	v_xor_b32_e32 v12, 4, v18
	s_waitcnt lgkmcnt(0)
	v_add_f64 v[8:9], v[8:9], v[16:17]
	v_cmp_gt_i32_e32 vcc_lo, 32, v12
	v_cndmask_b32_e32 v12, v18, v12, vcc_lo
	v_lshlrev_b32_e32 v17, 2, v12
	ds_bpermute_b32 v12, v17, v6
	ds_bpermute_b32 v13, v17, v7
	;; [unrolled: 1-line block ×6, first 2 shown]
	s_waitcnt lgkmcnt(4)
	v_add_f64 v[6:7], v[6:7], v[12:13]
	s_waitcnt lgkmcnt(2)
	v_add_f64 v[10:11], v[10:11], v[14:15]
	;; [unrolled: 2-line block ×3, first 2 shown]
	v_xor_b32_e32 v8, 2, v18
	v_cmp_gt_i32_e32 vcc_lo, 32, v8
	v_cndmask_b32_e32 v8, v18, v8, vcc_lo
	v_lshlrev_b32_e32 v17, 2, v8
	ds_bpermute_b32 v8, v17, v6
	ds_bpermute_b32 v9, v17, v7
	ds_bpermute_b32 v14, v17, v10
	ds_bpermute_b32 v15, v17, v11
	ds_bpermute_b32 v16, v17, v12
	ds_bpermute_b32 v17, v17, v13
	s_waitcnt lgkmcnt(4)
	v_add_f64 v[8:9], v[6:7], v[8:9]
	s_waitcnt lgkmcnt(2)
	v_add_f64 v[6:7], v[10:11], v[14:15]
	v_xor_b32_e32 v10, 1, v18
	s_waitcnt lgkmcnt(0)
	v_add_f64 v[12:13], v[12:13], v[16:17]
	v_cmp_gt_i32_e32 vcc_lo, 32, v10
	v_cndmask_b32_e32 v10, v18, v10, vcc_lo
	v_cmp_eq_u32_e32 vcc_lo, 15, v0
	v_lshlrev_b32_e32 v15, 2, v10
	ds_bpermute_b32 v10, v15, v8
	ds_bpermute_b32 v11, v15, v9
	;; [unrolled: 1-line block ×6, first 2 shown]
	s_and_b32 exec_lo, exec_lo, vcc_lo
	s_cbranch_execz .LBB59_23
; %bb.19:
	s_waitcnt lgkmcnt(4)
	v_add_f64 v[10:11], v[8:9], v[10:11]
	s_waitcnt lgkmcnt(2)
	v_add_f64 v[8:9], v[6:7], v[16:17]
	;; [unrolled: 2-line block ×3, first 2 shown]
	s_load_dwordx2 s[0:1], s[4:5], 0x38
	s_mov_b32 s2, exec_lo
	v_cmpx_eq_f64_e32 0, v[3:4]
	s_xor_b32 s2, exec_lo, s2
	s_cbranch_execz .LBB59_21
; %bb.20:
	v_lshl_add_u32 v0, v5, 1, v5
	v_mul_f64 v[10:11], v[1:2], v[10:11]
	v_mul_f64 v[12:13], v[1:2], v[8:9]
	;; [unrolled: 1-line block ×3, first 2 shown]
                                        ; implicit-def: $vgpr5
                                        ; implicit-def: $vgpr8_vgpr9
                                        ; implicit-def: $vgpr6_vgpr7
	v_ashrrev_i32_e32 v1, 31, v0
	v_lshlrev_b64 v[0:1], 3, v[0:1]
	s_waitcnt lgkmcnt(0)
	v_add_co_u32 v0, vcc_lo, s0, v0
	v_add_co_ci_u32_e64 v1, null, s1, v1, vcc_lo
	global_store_dwordx4 v[0:1], v[10:13], off
	global_store_dwordx2 v[0:1], v[2:3], off offset:16
                                        ; implicit-def: $vgpr1_vgpr2
                                        ; implicit-def: $vgpr10_vgpr11
                                        ; implicit-def: $vgpr3_vgpr4
.LBB59_21:
	s_andn2_saveexec_b32 s2, s2
	s_cbranch_execz .LBB59_23
; %bb.22:
	v_lshl_add_u32 v12, v5, 1, v5
	v_mul_f64 v[10:11], v[1:2], v[10:11]
	v_mul_f64 v[8:9], v[1:2], v[8:9]
	;; [unrolled: 1-line block ×3, first 2 shown]
	v_ashrrev_i32_e32 v13, 31, v12
	v_lshlrev_b64 v[12:13], 3, v[12:13]
	s_waitcnt lgkmcnt(0)
	v_add_co_u32 v16, vcc_lo, s0, v12
	v_add_co_ci_u32_e64 v17, null, s1, v13, vcc_lo
	s_clause 0x1
	global_load_dwordx4 v[12:15], v[16:17], off
	global_load_dwordx2 v[18:19], v[16:17], off offset:16
	s_waitcnt vmcnt(1)
	v_fma_f64 v[5:6], v[3:4], v[12:13], v[10:11]
	v_fma_f64 v[7:8], v[3:4], v[14:15], v[8:9]
	s_waitcnt vmcnt(0)
	v_fma_f64 v[0:1], v[3:4], v[18:19], v[0:1]
	global_store_dwordx4 v[16:17], v[5:8], off
	global_store_dwordx2 v[16:17], v[0:1], off offset:16
.LBB59_23:
	s_endpgm
	.section	.rodata,"a",@progbits
	.p2align	6, 0x0
	.amdhsa_kernel _ZN9rocsparseL19gebsrmvn_3xn_kernelILj128ELj6ELj16EdEEvi20rocsparse_direction_NS_24const_host_device_scalarIT2_EEPKiS6_PKS3_S8_S4_PS3_21rocsparse_index_base_b
		.amdhsa_group_segment_fixed_size 0
		.amdhsa_private_segment_fixed_size 0
		.amdhsa_kernarg_size 72
		.amdhsa_user_sgpr_count 6
		.amdhsa_user_sgpr_private_segment_buffer 1
		.amdhsa_user_sgpr_dispatch_ptr 0
		.amdhsa_user_sgpr_queue_ptr 0
		.amdhsa_user_sgpr_kernarg_segment_ptr 1
		.amdhsa_user_sgpr_dispatch_id 0
		.amdhsa_user_sgpr_flat_scratch_init 0
		.amdhsa_user_sgpr_private_segment_size 0
		.amdhsa_wavefront_size32 1
		.amdhsa_uses_dynamic_stack 0
		.amdhsa_system_sgpr_private_segment_wavefront_offset 0
		.amdhsa_system_sgpr_workgroup_id_x 1
		.amdhsa_system_sgpr_workgroup_id_y 0
		.amdhsa_system_sgpr_workgroup_id_z 0
		.amdhsa_system_sgpr_workgroup_info 0
		.amdhsa_system_vgpr_workitem_id 0
		.amdhsa_next_free_vgpr 67
		.amdhsa_next_free_sgpr 16
		.amdhsa_reserve_vcc 1
		.amdhsa_reserve_flat_scratch 0
		.amdhsa_float_round_mode_32 0
		.amdhsa_float_round_mode_16_64 0
		.amdhsa_float_denorm_mode_32 3
		.amdhsa_float_denorm_mode_16_64 3
		.amdhsa_dx10_clamp 1
		.amdhsa_ieee_mode 1
		.amdhsa_fp16_overflow 0
		.amdhsa_workgroup_processor_mode 1
		.amdhsa_memory_ordered 1
		.amdhsa_forward_progress 1
		.amdhsa_shared_vgpr_count 0
		.amdhsa_exception_fp_ieee_invalid_op 0
		.amdhsa_exception_fp_denorm_src 0
		.amdhsa_exception_fp_ieee_div_zero 0
		.amdhsa_exception_fp_ieee_overflow 0
		.amdhsa_exception_fp_ieee_underflow 0
		.amdhsa_exception_fp_ieee_inexact 0
		.amdhsa_exception_int_div_zero 0
	.end_amdhsa_kernel
	.section	.text._ZN9rocsparseL19gebsrmvn_3xn_kernelILj128ELj6ELj16EdEEvi20rocsparse_direction_NS_24const_host_device_scalarIT2_EEPKiS6_PKS3_S8_S4_PS3_21rocsparse_index_base_b,"axG",@progbits,_ZN9rocsparseL19gebsrmvn_3xn_kernelILj128ELj6ELj16EdEEvi20rocsparse_direction_NS_24const_host_device_scalarIT2_EEPKiS6_PKS3_S8_S4_PS3_21rocsparse_index_base_b,comdat
.Lfunc_end59:
	.size	_ZN9rocsparseL19gebsrmvn_3xn_kernelILj128ELj6ELj16EdEEvi20rocsparse_direction_NS_24const_host_device_scalarIT2_EEPKiS6_PKS3_S8_S4_PS3_21rocsparse_index_base_b, .Lfunc_end59-_ZN9rocsparseL19gebsrmvn_3xn_kernelILj128ELj6ELj16EdEEvi20rocsparse_direction_NS_24const_host_device_scalarIT2_EEPKiS6_PKS3_S8_S4_PS3_21rocsparse_index_base_b
                                        ; -- End function
	.set _ZN9rocsparseL19gebsrmvn_3xn_kernelILj128ELj6ELj16EdEEvi20rocsparse_direction_NS_24const_host_device_scalarIT2_EEPKiS6_PKS3_S8_S4_PS3_21rocsparse_index_base_b.num_vgpr, 67
	.set _ZN9rocsparseL19gebsrmvn_3xn_kernelILj128ELj6ELj16EdEEvi20rocsparse_direction_NS_24const_host_device_scalarIT2_EEPKiS6_PKS3_S8_S4_PS3_21rocsparse_index_base_b.num_agpr, 0
	.set _ZN9rocsparseL19gebsrmvn_3xn_kernelILj128ELj6ELj16EdEEvi20rocsparse_direction_NS_24const_host_device_scalarIT2_EEPKiS6_PKS3_S8_S4_PS3_21rocsparse_index_base_b.numbered_sgpr, 16
	.set _ZN9rocsparseL19gebsrmvn_3xn_kernelILj128ELj6ELj16EdEEvi20rocsparse_direction_NS_24const_host_device_scalarIT2_EEPKiS6_PKS3_S8_S4_PS3_21rocsparse_index_base_b.num_named_barrier, 0
	.set _ZN9rocsparseL19gebsrmvn_3xn_kernelILj128ELj6ELj16EdEEvi20rocsparse_direction_NS_24const_host_device_scalarIT2_EEPKiS6_PKS3_S8_S4_PS3_21rocsparse_index_base_b.private_seg_size, 0
	.set _ZN9rocsparseL19gebsrmvn_3xn_kernelILj128ELj6ELj16EdEEvi20rocsparse_direction_NS_24const_host_device_scalarIT2_EEPKiS6_PKS3_S8_S4_PS3_21rocsparse_index_base_b.uses_vcc, 1
	.set _ZN9rocsparseL19gebsrmvn_3xn_kernelILj128ELj6ELj16EdEEvi20rocsparse_direction_NS_24const_host_device_scalarIT2_EEPKiS6_PKS3_S8_S4_PS3_21rocsparse_index_base_b.uses_flat_scratch, 0
	.set _ZN9rocsparseL19gebsrmvn_3xn_kernelILj128ELj6ELj16EdEEvi20rocsparse_direction_NS_24const_host_device_scalarIT2_EEPKiS6_PKS3_S8_S4_PS3_21rocsparse_index_base_b.has_dyn_sized_stack, 0
	.set _ZN9rocsparseL19gebsrmvn_3xn_kernelILj128ELj6ELj16EdEEvi20rocsparse_direction_NS_24const_host_device_scalarIT2_EEPKiS6_PKS3_S8_S4_PS3_21rocsparse_index_base_b.has_recursion, 0
	.set _ZN9rocsparseL19gebsrmvn_3xn_kernelILj128ELj6ELj16EdEEvi20rocsparse_direction_NS_24const_host_device_scalarIT2_EEPKiS6_PKS3_S8_S4_PS3_21rocsparse_index_base_b.has_indirect_call, 0
	.section	.AMDGPU.csdata,"",@progbits
; Kernel info:
; codeLenInByte = 3140
; TotalNumSgprs: 18
; NumVgprs: 67
; ScratchSize: 0
; MemoryBound: 0
; FloatMode: 240
; IeeeMode: 1
; LDSByteSize: 0 bytes/workgroup (compile time only)
; SGPRBlocks: 0
; VGPRBlocks: 8
; NumSGPRsForWavesPerEU: 18
; NumVGPRsForWavesPerEU: 67
; Occupancy: 12
; WaveLimiterHint : 1
; COMPUTE_PGM_RSRC2:SCRATCH_EN: 0
; COMPUTE_PGM_RSRC2:USER_SGPR: 6
; COMPUTE_PGM_RSRC2:TRAP_HANDLER: 0
; COMPUTE_PGM_RSRC2:TGID_X_EN: 1
; COMPUTE_PGM_RSRC2:TGID_Y_EN: 0
; COMPUTE_PGM_RSRC2:TGID_Z_EN: 0
; COMPUTE_PGM_RSRC2:TIDIG_COMP_CNT: 0
	.section	.text._ZN9rocsparseL19gebsrmvn_3xn_kernelILj128ELj6ELj32EdEEvi20rocsparse_direction_NS_24const_host_device_scalarIT2_EEPKiS6_PKS3_S8_S4_PS3_21rocsparse_index_base_b,"axG",@progbits,_ZN9rocsparseL19gebsrmvn_3xn_kernelILj128ELj6ELj32EdEEvi20rocsparse_direction_NS_24const_host_device_scalarIT2_EEPKiS6_PKS3_S8_S4_PS3_21rocsparse_index_base_b,comdat
	.globl	_ZN9rocsparseL19gebsrmvn_3xn_kernelILj128ELj6ELj32EdEEvi20rocsparse_direction_NS_24const_host_device_scalarIT2_EEPKiS6_PKS3_S8_S4_PS3_21rocsparse_index_base_b ; -- Begin function _ZN9rocsparseL19gebsrmvn_3xn_kernelILj128ELj6ELj32EdEEvi20rocsparse_direction_NS_24const_host_device_scalarIT2_EEPKiS6_PKS3_S8_S4_PS3_21rocsparse_index_base_b
	.p2align	8
	.type	_ZN9rocsparseL19gebsrmvn_3xn_kernelILj128ELj6ELj32EdEEvi20rocsparse_direction_NS_24const_host_device_scalarIT2_EEPKiS6_PKS3_S8_S4_PS3_21rocsparse_index_base_b,@function
_ZN9rocsparseL19gebsrmvn_3xn_kernelILj128ELj6ELj32EdEEvi20rocsparse_direction_NS_24const_host_device_scalarIT2_EEPKiS6_PKS3_S8_S4_PS3_21rocsparse_index_base_b: ; @_ZN9rocsparseL19gebsrmvn_3xn_kernelILj128ELj6ELj32EdEEvi20rocsparse_direction_NS_24const_host_device_scalarIT2_EEPKiS6_PKS3_S8_S4_PS3_21rocsparse_index_base_b
; %bb.0:
	s_clause 0x2
	s_load_dwordx2 s[2:3], s[4:5], 0x40
	s_load_dwordx2 s[8:9], s[4:5], 0x8
	;; [unrolled: 1-line block ×3, first 2 shown]
	s_waitcnt lgkmcnt(0)
	s_bitcmp1_b32 s3, 0
	v_mov_b32_e32 v1, s8
	v_mov_b32_e32 v2, s9
	s_cselect_b32 s3, -1, 0
	s_and_b32 vcc_lo, exec_lo, s3
	s_xor_b32 s3, s3, -1
	s_cbranch_vccnz .LBB60_2
; %bb.1:
	v_mov_b32_e32 v1, s8
	v_mov_b32_e32 v2, s9
	flat_load_dwordx2 v[1:2], v[1:2]
.LBB60_2:
	v_mov_b32_e32 v4, s1
	v_mov_b32_e32 v3, s0
	s_andn2_b32 vcc_lo, exec_lo, s3
	s_cbranch_vccnz .LBB60_4
; %bb.3:
	v_mov_b32_e32 v4, s1
	v_mov_b32_e32 v3, s0
	flat_load_dwordx2 v[3:4], v[3:4]
.LBB60_4:
	s_waitcnt vmcnt(0) lgkmcnt(0)
	v_cmp_neq_f64_e32 vcc_lo, 0, v[1:2]
	v_cmp_neq_f64_e64 s0, 1.0, v[3:4]
	s_or_b32 s0, vcc_lo, s0
	s_and_saveexec_b32 s1, s0
	s_cbranch_execz .LBB60_23
; %bb.5:
	s_load_dwordx2 s[0:1], s[4:5], 0x0
	v_lshrrev_b32_e32 v5, 5, v0
	v_lshl_or_b32 v5, s6, 2, v5
	s_waitcnt lgkmcnt(0)
	v_cmp_gt_i32_e32 vcc_lo, s0, v5
	s_and_b32 exec_lo, exec_lo, vcc_lo
	s_cbranch_execz .LBB60_23
; %bb.6:
	s_load_dwordx8 s[8:15], s[4:5], 0x10
	v_ashrrev_i32_e32 v6, 31, v5
	v_and_b32_e32 v0, 31, v0
	s_cmp_lg_u32 s1, 0
	v_lshlrev_b64 v[6:7], 2, v[5:6]
	s_waitcnt lgkmcnt(0)
	v_add_co_u32 v6, vcc_lo, s8, v6
	v_add_co_ci_u32_e64 v7, null, s9, v7, vcc_lo
	global_load_dwordx2 v[6:7], v[6:7], off
	s_waitcnt vmcnt(0)
	v_subrev_nc_u32_e32 v6, s2, v6
	v_subrev_nc_u32_e32 v19, s2, v7
	v_add_nc_u32_e32 v12, v6, v0
	v_cmp_lt_i32_e64 s0, v12, v19
	s_cbranch_scc0 .LBB60_12
; %bb.7:
	v_mov_b32_e32 v6, 0
	v_mov_b32_e32 v8, 0
	;; [unrolled: 1-line block ×6, first 2 shown]
	s_and_saveexec_b32 s3, s0
	s_cbranch_execz .LBB60_11
; %bb.8:
	v_mad_u64_u32 v[13:14], null, v12, 18, 17
	v_mov_b32_e32 v6, 0
	v_mov_b32_e32 v8, 0
	;; [unrolled: 1-line block ×8, first 2 shown]
	s_mov_b32 s6, 0
.LBB60_9:                               ; =>This Inner Loop Header: Depth=1
	v_ashrrev_i32_e32 v18, 31, v17
	v_mov_b32_e32 v33, v16
	v_lshlrev_b64 v[14:15], 2, v[17:18]
	v_add_nc_u32_e32 v17, 32, v17
	v_add_co_u32 v14, vcc_lo, s10, v14
	v_add_co_ci_u32_e64 v15, null, s11, v15, vcc_lo
	global_load_dword v18, v[14:15], off
	v_subrev_nc_u32_e32 v15, 17, v13
	v_mov_b32_e32 v14, v16
	v_lshlrev_b64 v[20:21], 3, v[15:16]
	v_add_nc_u32_e32 v15, -15, v13
	v_lshlrev_b64 v[22:23], 3, v[13:14]
	v_lshlrev_b64 v[24:25], 3, v[15:16]
	v_add_nc_u32_e32 v15, -14, v13
	v_add_co_u32 v20, vcc_lo, s12, v20
	v_add_co_ci_u32_e64 v21, null, s13, v21, vcc_lo
	v_lshlrev_b64 v[26:27], 3, v[15:16]
	v_add_nc_u32_e32 v15, -13, v13
	v_add_co_u32 v36, vcc_lo, s12, v22
	v_add_co_ci_u32_e64 v37, null, s13, v23, vcc_lo
	v_add_co_u32 v24, vcc_lo, s12, v24
	v_add_co_ci_u32_e64 v25, null, s13, v25, vcc_lo
	v_lshlrev_b64 v[28:29], 3, v[15:16]
	v_add_nc_u32_e32 v15, -12, v13
	s_clause 0x1
	global_load_dwordx4 v[20:23], v[20:21], off
	global_load_dwordx2 v[38:39], v[24:25], off
	v_add_co_u32 v26, vcc_lo, s12, v26
	v_lshlrev_b64 v[24:25], 3, v[15:16]
	v_add_co_ci_u32_e64 v27, null, s13, v27, vcc_lo
	v_add_co_u32 v28, vcc_lo, s12, v28
	v_add_co_ci_u32_e64 v29, null, s13, v29, vcc_lo
	v_add_co_u32 v30, vcc_lo, s12, v24
	v_add_co_ci_u32_e64 v31, null, s13, v25, vcc_lo
	s_clause 0x1
	global_load_dwordx2 v[40:41], v[26:27], off
	global_load_dwordx2 v[42:43], v[28:29], off
	v_add_nc_u32_e32 v15, -11, v13
	v_lshlrev_b64 v[14:15], 3, v[15:16]
	v_add_co_u32 v14, vcc_lo, s12, v14
	v_add_co_ci_u32_e64 v15, null, s13, v15, vcc_lo
	s_waitcnt vmcnt(4)
	v_subrev_nc_u32_e32 v18, s2, v18
	v_mul_lo_u32 v32, v18, 6
	v_lshlrev_b64 v[24:25], 3, v[32:33]
	v_add_co_u32 v24, s1, s14, v24
	v_add_co_ci_u32_e64 v25, null, s15, v25, s1
	global_load_dwordx4 v[24:27], v[24:25], off
	s_clause 0x1
	global_load_dwordx2 v[44:45], v[30:31], off
	global_load_dwordx2 v[46:47], v[14:15], off
	v_add_nc_u32_e32 v15, 2, v32
	v_lshlrev_b64 v[28:29], 3, v[15:16]
	v_add_nc_u32_e32 v15, -10, v13
	v_lshlrev_b64 v[30:31], 3, v[15:16]
	v_add_nc_u32_e32 v15, -9, v13
	v_add_co_u32 v28, vcc_lo, s14, v28
	v_add_co_ci_u32_e64 v29, null, s15, v29, vcc_lo
	v_lshlrev_b64 v[33:34], 3, v[15:16]
	v_add_nc_u32_e32 v15, -8, v13
	v_add_co_u32 v48, vcc_lo, s12, v30
	v_add_co_ci_u32_e64 v49, null, s13, v31, vcc_lo
	v_lshlrev_b64 v[50:51], 3, v[15:16]
	v_add_co_u32 v33, vcc_lo, s12, v33
	v_add_nc_u32_e32 v15, -7, v13
	v_add_co_ci_u32_e64 v34, null, s13, v34, vcc_lo
	v_add_co_u32 v50, vcc_lo, s12, v50
	v_lshlrev_b64 v[52:53], 3, v[15:16]
	v_add_nc_u32_e32 v15, -6, v13
	v_add_co_ci_u32_e64 v51, null, s13, v51, vcc_lo
	global_load_dwordx4 v[28:31], v[28:29], off
	s_clause 0x2
	global_load_dwordx2 v[48:49], v[48:49], off
	global_load_dwordx2 v[54:55], v[33:34], off
	global_load_dwordx2 v[50:51], v[50:51], off
	v_lshlrev_b64 v[33:34], 3, v[15:16]
	v_add_nc_u32_e32 v15, -5, v13
	v_add_co_u32 v52, vcc_lo, s12, v52
	v_add_co_ci_u32_e64 v53, null, s13, v53, vcc_lo
	v_lshlrev_b64 v[56:57], 3, v[15:16]
	v_add_nc_u32_e32 v15, 4, v32
	v_add_co_u32 v32, vcc_lo, s12, v33
	v_add_co_ci_u32_e64 v33, null, s13, v34, vcc_lo
	v_add_co_u32 v56, vcc_lo, s12, v56
	v_add_co_ci_u32_e64 v57, null, s13, v57, vcc_lo
	global_load_dwordx2 v[52:53], v[52:53], off
	v_lshlrev_b64 v[34:35], 3, v[15:16]
	v_add_nc_u32_e32 v15, -4, v13
	s_clause 0x1
	global_load_dwordx2 v[56:57], v[56:57], off
	global_load_dwordx2 v[58:59], v[32:33], off
	v_lshlrev_b64 v[32:33], 3, v[15:16]
	v_add_nc_u32_e32 v15, -3, v13
	v_add_co_u32 v34, vcc_lo, s14, v34
	v_add_co_ci_u32_e64 v35, null, s15, v35, vcc_lo
	v_lshlrev_b64 v[14:15], 3, v[15:16]
	v_add_co_u32 v60, vcc_lo, s12, v32
	v_add_co_ci_u32_e64 v61, null, s13, v33, vcc_lo
	global_load_dwordx4 v[32:35], v[34:35], off
	v_add_co_u32 v14, vcc_lo, s12, v14
	v_add_co_ci_u32_e64 v15, null, s13, v15, vcc_lo
	s_clause 0x1
	global_load_dwordx2 v[60:61], v[60:61], off
	global_load_dwordx2 v[62:63], v[14:15], off
	v_add_nc_u32_e32 v15, -2, v13
	v_lshlrev_b64 v[64:65], 3, v[15:16]
	v_add_nc_u32_e32 v15, -1, v13
	v_add_nc_u32_e32 v13, 0x240, v13
	v_lshlrev_b64 v[14:15], 3, v[15:16]
	s_waitcnt vmcnt(12)
	v_fma_f64 v[6:7], v[20:21], v[24:25], v[6:7]
	v_add_co_u32 v20, vcc_lo, s12, v64
	v_add_co_ci_u32_e64 v21, null, s13, v65, vcc_lo
	v_add_co_u32 v14, vcc_lo, s12, v14
	v_add_co_ci_u32_e64 v15, null, s13, v15, vcc_lo
	v_fma_f64 v[10:11], v[22:23], v[24:25], v[10:11]
	s_clause 0x2
	global_load_dwordx2 v[22:23], v[36:37], off
	global_load_dwordx2 v[20:21], v[20:21], off
	;; [unrolled: 1-line block ×3, first 2 shown]
	v_fma_f64 v[8:9], v[38:39], v[24:25], v[8:9]
	v_cmp_ge_i32_e32 vcc_lo, v17, v19
	s_or_b32 s6, vcc_lo, s6
	v_fma_f64 v[6:7], v[40:41], v[26:27], v[6:7]
	v_fma_f64 v[10:11], v[42:43], v[26:27], v[10:11]
	s_waitcnt vmcnt(14)
	v_fma_f64 v[8:9], v[44:45], v[26:27], v[8:9]
	s_waitcnt vmcnt(12)
	v_fma_f64 v[6:7], v[46:47], v[28:29], v[6:7]
	s_waitcnt vmcnt(11)
	v_fma_f64 v[10:11], v[48:49], v[28:29], v[10:11]
	s_waitcnt vmcnt(10)
	v_fma_f64 v[8:9], v[54:55], v[28:29], v[8:9]
	s_waitcnt vmcnt(9)
	v_fma_f64 v[6:7], v[50:51], v[30:31], v[6:7]
	s_waitcnt vmcnt(8)
	v_fma_f64 v[10:11], v[52:53], v[30:31], v[10:11]
	s_waitcnt vmcnt(6)
	v_fma_f64 v[8:9], v[58:59], v[30:31], v[8:9]
	s_waitcnt vmcnt(5)
	v_fma_f64 v[6:7], v[56:57], v[32:33], v[6:7]
	s_waitcnt vmcnt(4)
	v_fma_f64 v[10:11], v[60:61], v[32:33], v[10:11]
	s_waitcnt vmcnt(3)
	v_fma_f64 v[8:9], v[62:63], v[32:33], v[8:9]
	s_waitcnt vmcnt(2)
	v_fma_f64 v[8:9], v[22:23], v[34:35], v[8:9]
	s_waitcnt vmcnt(1)
	v_fma_f64 v[6:7], v[20:21], v[34:35], v[6:7]
	s_waitcnt vmcnt(0)
	v_fma_f64 v[10:11], v[14:15], v[34:35], v[10:11]
	s_andn2_b32 exec_lo, exec_lo, s6
	s_cbranch_execnz .LBB60_9
; %bb.10:
	s_or_b32 exec_lo, exec_lo, s6
.LBB60_11:
	s_or_b32 exec_lo, exec_lo, s3
	s_cbranch_execz .LBB60_13
	s_branch .LBB60_18
.LBB60_12:
                                        ; implicit-def: $vgpr6_vgpr7
                                        ; implicit-def: $vgpr8_vgpr9
                                        ; implicit-def: $vgpr10_vgpr11
.LBB60_13:
	v_mov_b32_e32 v6, 0
	v_mov_b32_e32 v8, 0
	;; [unrolled: 1-line block ×6, first 2 shown]
	s_and_saveexec_b32 s1, s0
	s_cbranch_execz .LBB60_17
; %bb.14:
	v_mad_u64_u32 v[14:15], null, v12, 18, 17
	v_mov_b32_e32 v6, 0
	v_mov_b32_e32 v8, 0
	;; [unrolled: 1-line block ×7, first 2 shown]
	s_mov_b32 s0, 0
.LBB60_15:                              ; =>This Inner Loop Header: Depth=1
	v_ashrrev_i32_e32 v13, 31, v12
	v_add_nc_u32_e32 v20, -11, v14
	v_mov_b32_e32 v21, v17
	v_add_nc_u32_e32 v22, -5, v14
	v_mov_b32_e32 v23, v17
	v_lshlrev_b64 v[15:16], 2, v[12:13]
	v_mov_b32_e32 v29, v17
	v_lshlrev_b64 v[20:21], 3, v[20:21]
	v_add_nc_u32_e32 v12, 32, v12
	v_lshlrev_b64 v[22:23], 3, v[22:23]
	v_add_co_u32 v15, vcc_lo, s10, v15
	v_add_co_ci_u32_e64 v16, null, s11, v16, vcc_lo
	global_load_dword v13, v[15:16], off
	v_subrev_nc_u32_e32 v16, 17, v14
	v_mov_b32_e32 v15, v17
	v_lshlrev_b64 v[24:25], 3, v[16:17]
	v_add_nc_u32_e32 v16, -10, v14
	v_lshlrev_b64 v[26:27], 3, v[14:15]
	v_lshlrev_b64 v[30:31], 3, v[16:17]
	v_add_co_u32 v24, vcc_lo, s12, v24
	v_add_co_ci_u32_e64 v25, null, s13, v25, vcc_lo
	v_add_co_u32 v32, vcc_lo, s12, v20
	v_add_nc_u32_e32 v16, -4, v14
	v_add_co_ci_u32_e64 v33, null, s13, v21, vcc_lo
	v_add_co_u32 v34, vcc_lo, s12, v22
	v_add_co_ci_u32_e64 v35, null, s13, v23, vcc_lo
	v_add_co_u32 v36, vcc_lo, s12, v26
	v_add_co_ci_u32_e64 v37, null, s13, v27, vcc_lo
	v_lshlrev_b64 v[26:27], 3, v[16:17]
	v_add_nc_u32_e32 v16, -15, v14
	v_add_co_u32 v30, vcc_lo, s12, v30
	v_add_co_ci_u32_e64 v31, null, s13, v31, vcc_lo
	v_lshlrev_b64 v[15:16], 3, v[16:17]
	s_clause 0x2
	global_load_dwordx4 v[20:23], v[24:25], off
	global_load_dwordx2 v[32:33], v[32:33], off
	global_load_dwordx2 v[38:39], v[34:35], off
	v_add_co_u32 v24, vcc_lo, s12, v26
	v_add_co_ci_u32_e64 v25, null, s13, v27, vcc_lo
	v_add_co_u32 v15, vcc_lo, s12, v15
	v_add_co_ci_u32_e64 v16, null, s13, v16, vcc_lo
	s_clause 0x2
	global_load_dwordx2 v[40:41], v[30:31], off
	global_load_dwordx2 v[42:43], v[24:25], off
	;; [unrolled: 1-line block ×3, first 2 shown]
	s_waitcnt vmcnt(6)
	v_subrev_nc_u32_e32 v13, s2, v13
	v_mul_lo_u32 v28, v13, 6
	v_lshlrev_b64 v[24:25], 3, v[28:29]
	v_add_nc_u32_e32 v16, 2, v28
	v_lshlrev_b64 v[29:30], 3, v[16:17]
	v_add_co_u32 v24, vcc_lo, s14, v24
	v_add_co_ci_u32_e64 v25, null, s15, v25, vcc_lo
	v_add_nc_u32_e32 v16, -9, v14
	v_add_co_u32 v29, vcc_lo, s14, v29
	global_load_dwordx4 v[24:27], v[24:25], off
	v_add_co_ci_u32_e64 v30, null, s15, v30, vcc_lo
	v_lshlrev_b64 v[34:35], 3, v[16:17]
	v_add_nc_u32_e32 v16, -3, v14
	v_lshlrev_b64 v[46:47], 3, v[16:17]
	v_add_nc_u32_e32 v16, -14, v14
	v_add_co_u32 v34, vcc_lo, s12, v34
	v_add_co_ci_u32_e64 v35, null, s13, v35, vcc_lo
	v_lshlrev_b64 v[48:49], 3, v[16:17]
	v_add_nc_u32_e32 v16, -8, v14
	v_add_co_u32 v46, vcc_lo, s12, v46
	v_add_co_ci_u32_e64 v47, null, s13, v47, vcc_lo
	v_lshlrev_b64 v[50:51], 3, v[16:17]
	v_add_nc_u32_e32 v16, -2, v14
	v_add_co_u32 v48, vcc_lo, s12, v48
	v_add_co_ci_u32_e64 v49, null, s13, v49, vcc_lo
	v_lshlrev_b64 v[52:53], 3, v[16:17]
	v_add_nc_u32_e32 v16, -13, v14
	v_add_co_u32 v50, vcc_lo, s12, v50
	v_add_co_ci_u32_e64 v51, null, s13, v51, vcc_lo
	v_lshlrev_b64 v[54:55], 3, v[16:17]
	v_add_co_u32 v52, vcc_lo, s12, v52
	v_add_co_ci_u32_e64 v53, null, s13, v53, vcc_lo
	v_add_nc_u32_e32 v16, 4, v28
	v_add_co_u32 v54, vcc_lo, s12, v54
	v_add_co_ci_u32_e64 v55, null, s13, v55, vcc_lo
	global_load_dwordx4 v[28:31], v[29:30], off
	s_clause 0x5
	global_load_dwordx2 v[64:65], v[34:35], off
	global_load_dwordx2 v[46:47], v[46:47], off
	;; [unrolled: 1-line block ×6, first 2 shown]
	v_lshlrev_b64 v[56:57], 3, v[16:17]
	v_add_nc_u32_e32 v16, -7, v14
	v_lshlrev_b64 v[58:59], 3, v[16:17]
	v_add_nc_u32_e32 v16, -1, v14
	v_add_co_u32 v56, vcc_lo, s14, v56
	v_add_co_ci_u32_e64 v57, null, s15, v57, vcc_lo
	v_lshlrev_b64 v[60:61], 3, v[16:17]
	v_add_nc_u32_e32 v16, -12, v14
	v_add_co_u32 v58, vcc_lo, s12, v58
	v_add_co_ci_u32_e64 v59, null, s13, v59, vcc_lo
	;; [unrolled: 4-line block ×3, first 2 shown]
	v_lshlrev_b64 v[15:16], 3, v[16:17]
	v_add_co_u32 v62, vcc_lo, s12, v62
	v_add_co_ci_u32_e64 v63, null, s13, v63, vcc_lo
	v_add_nc_u32_e32 v14, 0x240, v14
	v_add_co_u32 v15, vcc_lo, s12, v15
	v_add_co_ci_u32_e64 v16, null, s13, v16, vcc_lo
	v_cmp_ge_i32_e32 vcc_lo, v12, v19
	s_or_b32 s0, vcc_lo, s0
	s_waitcnt vmcnt(7)
	v_fma_f64 v[10:11], v[32:33], v[24:25], v[10:11]
	global_load_dwordx4 v[32:35], v[56:57], off
	s_clause 0x4
	global_load_dwordx2 v[56:57], v[58:59], off
	global_load_dwordx2 v[58:59], v[60:61], off
	;; [unrolled: 1-line block ×5, first 2 shown]
	v_fma_f64 v[6:7], v[20:21], v[24:25], v[6:7]
	v_fma_f64 v[8:9], v[38:39], v[24:25], v[8:9]
	;; [unrolled: 1-line block ×5, first 2 shown]
	s_waitcnt vmcnt(11)
	v_fma_f64 v[10:11], v[64:65], v[28:29], v[10:11]
	v_fma_f64 v[6:7], v[44:45], v[28:29], v[6:7]
	s_waitcnt vmcnt(10)
	v_fma_f64 v[8:9], v[46:47], v[28:29], v[8:9]
	s_waitcnt vmcnt(8)
	v_fma_f64 v[10:11], v[50:51], v[30:31], v[10:11]
	v_fma_f64 v[6:7], v[48:49], v[30:31], v[6:7]
	s_waitcnt vmcnt(7)
	v_fma_f64 v[8:9], v[52:53], v[30:31], v[8:9]
	s_waitcnt vmcnt(5)
	v_fma_f64 v[6:7], v[54:55], v[32:33], v[6:7]
	s_waitcnt vmcnt(4)
	v_fma_f64 v[10:11], v[56:57], v[32:33], v[10:11]
	s_waitcnt vmcnt(3)
	v_fma_f64 v[8:9], v[58:59], v[32:33], v[8:9]
	s_waitcnt vmcnt(1)
	v_fma_f64 v[6:7], v[60:61], v[34:35], v[6:7]
	s_waitcnt vmcnt(0)
	v_fma_f64 v[10:11], v[15:16], v[34:35], v[10:11]
	v_fma_f64 v[8:9], v[36:37], v[34:35], v[8:9]
	s_andn2_b32 exec_lo, exec_lo, s0
	s_cbranch_execnz .LBB60_15
; %bb.16:
	s_or_b32 exec_lo, exec_lo, s0
.LBB60_17:
	s_or_b32 exec_lo, exec_lo, s1
.LBB60_18:
	v_mbcnt_lo_u32_b32 v18, -1, 0
	v_xor_b32_e32 v12, 16, v18
	v_cmp_gt_i32_e32 vcc_lo, 32, v12
	v_cndmask_b32_e32 v12, v18, v12, vcc_lo
	v_lshlrev_b32_e32 v17, 2, v12
	ds_bpermute_b32 v12, v17, v6
	ds_bpermute_b32 v13, v17, v7
	;; [unrolled: 1-line block ×6, first 2 shown]
	s_waitcnt lgkmcnt(4)
	v_add_f64 v[6:7], v[6:7], v[12:13]
	v_xor_b32_e32 v12, 8, v18
	s_waitcnt lgkmcnt(2)
	v_add_f64 v[10:11], v[10:11], v[14:15]
	s_waitcnt lgkmcnt(0)
	v_add_f64 v[8:9], v[8:9], v[16:17]
	v_cmp_gt_i32_e32 vcc_lo, 32, v12
	v_cndmask_b32_e32 v12, v18, v12, vcc_lo
	v_lshlrev_b32_e32 v17, 2, v12
	ds_bpermute_b32 v12, v17, v6
	ds_bpermute_b32 v13, v17, v7
	;; [unrolled: 1-line block ×6, first 2 shown]
	s_waitcnt lgkmcnt(4)
	v_add_f64 v[6:7], v[6:7], v[12:13]
	v_xor_b32_e32 v12, 4, v18
	s_waitcnt lgkmcnt(2)
	v_add_f64 v[10:11], v[10:11], v[14:15]
	s_waitcnt lgkmcnt(0)
	v_add_f64 v[8:9], v[8:9], v[16:17]
	v_cmp_gt_i32_e32 vcc_lo, 32, v12
	v_cndmask_b32_e32 v12, v18, v12, vcc_lo
	v_lshlrev_b32_e32 v17, 2, v12
	ds_bpermute_b32 v12, v17, v6
	ds_bpermute_b32 v13, v17, v7
	;; [unrolled: 1-line block ×6, first 2 shown]
	s_waitcnt lgkmcnt(4)
	v_add_f64 v[6:7], v[6:7], v[12:13]
	s_waitcnt lgkmcnt(2)
	v_add_f64 v[10:11], v[10:11], v[14:15]
	;; [unrolled: 2-line block ×3, first 2 shown]
	v_xor_b32_e32 v8, 2, v18
	v_cmp_gt_i32_e32 vcc_lo, 32, v8
	v_cndmask_b32_e32 v8, v18, v8, vcc_lo
	v_lshlrev_b32_e32 v17, 2, v8
	ds_bpermute_b32 v8, v17, v6
	ds_bpermute_b32 v9, v17, v7
	;; [unrolled: 1-line block ×6, first 2 shown]
	s_waitcnt lgkmcnt(4)
	v_add_f64 v[8:9], v[6:7], v[8:9]
	s_waitcnt lgkmcnt(2)
	v_add_f64 v[6:7], v[10:11], v[14:15]
	v_xor_b32_e32 v10, 1, v18
	s_waitcnt lgkmcnt(0)
	v_add_f64 v[12:13], v[12:13], v[16:17]
	v_cmp_gt_i32_e32 vcc_lo, 32, v10
	v_cndmask_b32_e32 v10, v18, v10, vcc_lo
	v_cmp_eq_u32_e32 vcc_lo, 31, v0
	v_lshlrev_b32_e32 v15, 2, v10
	ds_bpermute_b32 v10, v15, v8
	ds_bpermute_b32 v11, v15, v9
	;; [unrolled: 1-line block ×6, first 2 shown]
	s_and_b32 exec_lo, exec_lo, vcc_lo
	s_cbranch_execz .LBB60_23
; %bb.19:
	s_waitcnt lgkmcnt(4)
	v_add_f64 v[10:11], v[8:9], v[10:11]
	s_waitcnt lgkmcnt(2)
	v_add_f64 v[8:9], v[6:7], v[16:17]
	;; [unrolled: 2-line block ×3, first 2 shown]
	s_load_dwordx2 s[0:1], s[4:5], 0x38
	s_mov_b32 s2, exec_lo
	v_cmpx_eq_f64_e32 0, v[3:4]
	s_xor_b32 s2, exec_lo, s2
	s_cbranch_execz .LBB60_21
; %bb.20:
	v_lshl_add_u32 v0, v5, 1, v5
	v_mul_f64 v[10:11], v[1:2], v[10:11]
	v_mul_f64 v[12:13], v[1:2], v[8:9]
	;; [unrolled: 1-line block ×3, first 2 shown]
                                        ; implicit-def: $vgpr5
                                        ; implicit-def: $vgpr8_vgpr9
                                        ; implicit-def: $vgpr6_vgpr7
	v_ashrrev_i32_e32 v1, 31, v0
	v_lshlrev_b64 v[0:1], 3, v[0:1]
	s_waitcnt lgkmcnt(0)
	v_add_co_u32 v0, vcc_lo, s0, v0
	v_add_co_ci_u32_e64 v1, null, s1, v1, vcc_lo
	global_store_dwordx4 v[0:1], v[10:13], off
	global_store_dwordx2 v[0:1], v[2:3], off offset:16
                                        ; implicit-def: $vgpr1_vgpr2
                                        ; implicit-def: $vgpr10_vgpr11
                                        ; implicit-def: $vgpr3_vgpr4
.LBB60_21:
	s_andn2_saveexec_b32 s2, s2
	s_cbranch_execz .LBB60_23
; %bb.22:
	v_lshl_add_u32 v12, v5, 1, v5
	v_mul_f64 v[10:11], v[1:2], v[10:11]
	v_mul_f64 v[8:9], v[1:2], v[8:9]
	;; [unrolled: 1-line block ×3, first 2 shown]
	v_ashrrev_i32_e32 v13, 31, v12
	v_lshlrev_b64 v[12:13], 3, v[12:13]
	s_waitcnt lgkmcnt(0)
	v_add_co_u32 v16, vcc_lo, s0, v12
	v_add_co_ci_u32_e64 v17, null, s1, v13, vcc_lo
	s_clause 0x1
	global_load_dwordx4 v[12:15], v[16:17], off
	global_load_dwordx2 v[18:19], v[16:17], off offset:16
	s_waitcnt vmcnt(1)
	v_fma_f64 v[5:6], v[3:4], v[12:13], v[10:11]
	v_fma_f64 v[7:8], v[3:4], v[14:15], v[8:9]
	s_waitcnt vmcnt(0)
	v_fma_f64 v[0:1], v[3:4], v[18:19], v[0:1]
	global_store_dwordx4 v[16:17], v[5:8], off
	global_store_dwordx2 v[16:17], v[0:1], off offset:16
.LBB60_23:
	s_endpgm
	.section	.rodata,"a",@progbits
	.p2align	6, 0x0
	.amdhsa_kernel _ZN9rocsparseL19gebsrmvn_3xn_kernelILj128ELj6ELj32EdEEvi20rocsparse_direction_NS_24const_host_device_scalarIT2_EEPKiS6_PKS3_S8_S4_PS3_21rocsparse_index_base_b
		.amdhsa_group_segment_fixed_size 0
		.amdhsa_private_segment_fixed_size 0
		.amdhsa_kernarg_size 72
		.amdhsa_user_sgpr_count 6
		.amdhsa_user_sgpr_private_segment_buffer 1
		.amdhsa_user_sgpr_dispatch_ptr 0
		.amdhsa_user_sgpr_queue_ptr 0
		.amdhsa_user_sgpr_kernarg_segment_ptr 1
		.amdhsa_user_sgpr_dispatch_id 0
		.amdhsa_user_sgpr_flat_scratch_init 0
		.amdhsa_user_sgpr_private_segment_size 0
		.amdhsa_wavefront_size32 1
		.amdhsa_uses_dynamic_stack 0
		.amdhsa_system_sgpr_private_segment_wavefront_offset 0
		.amdhsa_system_sgpr_workgroup_id_x 1
		.amdhsa_system_sgpr_workgroup_id_y 0
		.amdhsa_system_sgpr_workgroup_id_z 0
		.amdhsa_system_sgpr_workgroup_info 0
		.amdhsa_system_vgpr_workitem_id 0
		.amdhsa_next_free_vgpr 66
		.amdhsa_next_free_sgpr 16
		.amdhsa_reserve_vcc 1
		.amdhsa_reserve_flat_scratch 0
		.amdhsa_float_round_mode_32 0
		.amdhsa_float_round_mode_16_64 0
		.amdhsa_float_denorm_mode_32 3
		.amdhsa_float_denorm_mode_16_64 3
		.amdhsa_dx10_clamp 1
		.amdhsa_ieee_mode 1
		.amdhsa_fp16_overflow 0
		.amdhsa_workgroup_processor_mode 1
		.amdhsa_memory_ordered 1
		.amdhsa_forward_progress 1
		.amdhsa_shared_vgpr_count 0
		.amdhsa_exception_fp_ieee_invalid_op 0
		.amdhsa_exception_fp_denorm_src 0
		.amdhsa_exception_fp_ieee_div_zero 0
		.amdhsa_exception_fp_ieee_overflow 0
		.amdhsa_exception_fp_ieee_underflow 0
		.amdhsa_exception_fp_ieee_inexact 0
		.amdhsa_exception_int_div_zero 0
	.end_amdhsa_kernel
	.section	.text._ZN9rocsparseL19gebsrmvn_3xn_kernelILj128ELj6ELj32EdEEvi20rocsparse_direction_NS_24const_host_device_scalarIT2_EEPKiS6_PKS3_S8_S4_PS3_21rocsparse_index_base_b,"axG",@progbits,_ZN9rocsparseL19gebsrmvn_3xn_kernelILj128ELj6ELj32EdEEvi20rocsparse_direction_NS_24const_host_device_scalarIT2_EEPKiS6_PKS3_S8_S4_PS3_21rocsparse_index_base_b,comdat
.Lfunc_end60:
	.size	_ZN9rocsparseL19gebsrmvn_3xn_kernelILj128ELj6ELj32EdEEvi20rocsparse_direction_NS_24const_host_device_scalarIT2_EEPKiS6_PKS3_S8_S4_PS3_21rocsparse_index_base_b, .Lfunc_end60-_ZN9rocsparseL19gebsrmvn_3xn_kernelILj128ELj6ELj32EdEEvi20rocsparse_direction_NS_24const_host_device_scalarIT2_EEPKiS6_PKS3_S8_S4_PS3_21rocsparse_index_base_b
                                        ; -- End function
	.set _ZN9rocsparseL19gebsrmvn_3xn_kernelILj128ELj6ELj32EdEEvi20rocsparse_direction_NS_24const_host_device_scalarIT2_EEPKiS6_PKS3_S8_S4_PS3_21rocsparse_index_base_b.num_vgpr, 66
	.set _ZN9rocsparseL19gebsrmvn_3xn_kernelILj128ELj6ELj32EdEEvi20rocsparse_direction_NS_24const_host_device_scalarIT2_EEPKiS6_PKS3_S8_S4_PS3_21rocsparse_index_base_b.num_agpr, 0
	.set _ZN9rocsparseL19gebsrmvn_3xn_kernelILj128ELj6ELj32EdEEvi20rocsparse_direction_NS_24const_host_device_scalarIT2_EEPKiS6_PKS3_S8_S4_PS3_21rocsparse_index_base_b.numbered_sgpr, 16
	.set _ZN9rocsparseL19gebsrmvn_3xn_kernelILj128ELj6ELj32EdEEvi20rocsparse_direction_NS_24const_host_device_scalarIT2_EEPKiS6_PKS3_S8_S4_PS3_21rocsparse_index_base_b.num_named_barrier, 0
	.set _ZN9rocsparseL19gebsrmvn_3xn_kernelILj128ELj6ELj32EdEEvi20rocsparse_direction_NS_24const_host_device_scalarIT2_EEPKiS6_PKS3_S8_S4_PS3_21rocsparse_index_base_b.private_seg_size, 0
	.set _ZN9rocsparseL19gebsrmvn_3xn_kernelILj128ELj6ELj32EdEEvi20rocsparse_direction_NS_24const_host_device_scalarIT2_EEPKiS6_PKS3_S8_S4_PS3_21rocsparse_index_base_b.uses_vcc, 1
	.set _ZN9rocsparseL19gebsrmvn_3xn_kernelILj128ELj6ELj32EdEEvi20rocsparse_direction_NS_24const_host_device_scalarIT2_EEPKiS6_PKS3_S8_S4_PS3_21rocsparse_index_base_b.uses_flat_scratch, 0
	.set _ZN9rocsparseL19gebsrmvn_3xn_kernelILj128ELj6ELj32EdEEvi20rocsparse_direction_NS_24const_host_device_scalarIT2_EEPKiS6_PKS3_S8_S4_PS3_21rocsparse_index_base_b.has_dyn_sized_stack, 0
	.set _ZN9rocsparseL19gebsrmvn_3xn_kernelILj128ELj6ELj32EdEEvi20rocsparse_direction_NS_24const_host_device_scalarIT2_EEPKiS6_PKS3_S8_S4_PS3_21rocsparse_index_base_b.has_recursion, 0
	.set _ZN9rocsparseL19gebsrmvn_3xn_kernelILj128ELj6ELj32EdEEvi20rocsparse_direction_NS_24const_host_device_scalarIT2_EEPKiS6_PKS3_S8_S4_PS3_21rocsparse_index_base_b.has_indirect_call, 0
	.section	.AMDGPU.csdata,"",@progbits
; Kernel info:
; codeLenInByte = 3232
; TotalNumSgprs: 18
; NumVgprs: 66
; ScratchSize: 0
; MemoryBound: 0
; FloatMode: 240
; IeeeMode: 1
; LDSByteSize: 0 bytes/workgroup (compile time only)
; SGPRBlocks: 0
; VGPRBlocks: 8
; NumSGPRsForWavesPerEU: 18
; NumVGPRsForWavesPerEU: 66
; Occupancy: 12
; WaveLimiterHint : 1
; COMPUTE_PGM_RSRC2:SCRATCH_EN: 0
; COMPUTE_PGM_RSRC2:USER_SGPR: 6
; COMPUTE_PGM_RSRC2:TRAP_HANDLER: 0
; COMPUTE_PGM_RSRC2:TGID_X_EN: 1
; COMPUTE_PGM_RSRC2:TGID_Y_EN: 0
; COMPUTE_PGM_RSRC2:TGID_Z_EN: 0
; COMPUTE_PGM_RSRC2:TIDIG_COMP_CNT: 0
	.section	.text._ZN9rocsparseL19gebsrmvn_3xn_kernelILj128ELj6ELj64EdEEvi20rocsparse_direction_NS_24const_host_device_scalarIT2_EEPKiS6_PKS3_S8_S4_PS3_21rocsparse_index_base_b,"axG",@progbits,_ZN9rocsparseL19gebsrmvn_3xn_kernelILj128ELj6ELj64EdEEvi20rocsparse_direction_NS_24const_host_device_scalarIT2_EEPKiS6_PKS3_S8_S4_PS3_21rocsparse_index_base_b,comdat
	.globl	_ZN9rocsparseL19gebsrmvn_3xn_kernelILj128ELj6ELj64EdEEvi20rocsparse_direction_NS_24const_host_device_scalarIT2_EEPKiS6_PKS3_S8_S4_PS3_21rocsparse_index_base_b ; -- Begin function _ZN9rocsparseL19gebsrmvn_3xn_kernelILj128ELj6ELj64EdEEvi20rocsparse_direction_NS_24const_host_device_scalarIT2_EEPKiS6_PKS3_S8_S4_PS3_21rocsparse_index_base_b
	.p2align	8
	.type	_ZN9rocsparseL19gebsrmvn_3xn_kernelILj128ELj6ELj64EdEEvi20rocsparse_direction_NS_24const_host_device_scalarIT2_EEPKiS6_PKS3_S8_S4_PS3_21rocsparse_index_base_b,@function
_ZN9rocsparseL19gebsrmvn_3xn_kernelILj128ELj6ELj64EdEEvi20rocsparse_direction_NS_24const_host_device_scalarIT2_EEPKiS6_PKS3_S8_S4_PS3_21rocsparse_index_base_b: ; @_ZN9rocsparseL19gebsrmvn_3xn_kernelILj128ELj6ELj64EdEEvi20rocsparse_direction_NS_24const_host_device_scalarIT2_EEPKiS6_PKS3_S8_S4_PS3_21rocsparse_index_base_b
; %bb.0:
	s_clause 0x2
	s_load_dwordx2 s[2:3], s[4:5], 0x40
	s_load_dwordx2 s[8:9], s[4:5], 0x8
	;; [unrolled: 1-line block ×3, first 2 shown]
	s_waitcnt lgkmcnt(0)
	s_bitcmp1_b32 s3, 0
	v_mov_b32_e32 v1, s8
	v_mov_b32_e32 v2, s9
	s_cselect_b32 s3, -1, 0
	s_and_b32 vcc_lo, exec_lo, s3
	s_xor_b32 s3, s3, -1
	s_cbranch_vccnz .LBB61_2
; %bb.1:
	v_mov_b32_e32 v1, s8
	v_mov_b32_e32 v2, s9
	flat_load_dwordx2 v[1:2], v[1:2]
.LBB61_2:
	v_mov_b32_e32 v4, s1
	v_mov_b32_e32 v3, s0
	s_andn2_b32 vcc_lo, exec_lo, s3
	s_cbranch_vccnz .LBB61_4
; %bb.3:
	v_mov_b32_e32 v4, s1
	v_mov_b32_e32 v3, s0
	flat_load_dwordx2 v[3:4], v[3:4]
.LBB61_4:
	s_waitcnt vmcnt(0) lgkmcnt(0)
	v_cmp_neq_f64_e32 vcc_lo, 0, v[1:2]
	v_cmp_neq_f64_e64 s0, 1.0, v[3:4]
	s_or_b32 s0, vcc_lo, s0
	s_and_saveexec_b32 s1, s0
	s_cbranch_execz .LBB61_23
; %bb.5:
	s_load_dwordx2 s[0:1], s[4:5], 0x0
	v_lshrrev_b32_e32 v5, 6, v0
	v_lshl_or_b32 v5, s6, 1, v5
	s_waitcnt lgkmcnt(0)
	v_cmp_gt_i32_e32 vcc_lo, s0, v5
	s_and_b32 exec_lo, exec_lo, vcc_lo
	s_cbranch_execz .LBB61_23
; %bb.6:
	s_load_dwordx8 s[8:15], s[4:5], 0x10
	v_ashrrev_i32_e32 v6, 31, v5
	v_and_b32_e32 v0, 63, v0
	s_cmp_lg_u32 s1, 0
	v_lshlrev_b64 v[6:7], 2, v[5:6]
	s_waitcnt lgkmcnt(0)
	v_add_co_u32 v6, vcc_lo, s8, v6
	v_add_co_ci_u32_e64 v7, null, s9, v7, vcc_lo
	global_load_dwordx2 v[6:7], v[6:7], off
	s_waitcnt vmcnt(0)
	v_subrev_nc_u32_e32 v6, s2, v6
	v_subrev_nc_u32_e32 v19, s2, v7
	v_add_nc_u32_e32 v12, v6, v0
	v_cmp_lt_i32_e64 s0, v12, v19
	s_cbranch_scc0 .LBB61_12
; %bb.7:
	v_mov_b32_e32 v6, 0
	v_mov_b32_e32 v8, 0
	;; [unrolled: 1-line block ×6, first 2 shown]
	s_and_saveexec_b32 s3, s0
	s_cbranch_execz .LBB61_11
; %bb.8:
	v_mad_u64_u32 v[13:14], null, v12, 18, 17
	v_mov_b32_e32 v6, 0
	v_mov_b32_e32 v8, 0
	;; [unrolled: 1-line block ×8, first 2 shown]
	s_mov_b32 s6, 0
.LBB61_9:                               ; =>This Inner Loop Header: Depth=1
	v_ashrrev_i32_e32 v18, 31, v17
	v_mov_b32_e32 v33, v16
	v_lshlrev_b64 v[14:15], 2, v[17:18]
	v_add_nc_u32_e32 v17, 64, v17
	v_add_co_u32 v14, vcc_lo, s10, v14
	v_add_co_ci_u32_e64 v15, null, s11, v15, vcc_lo
	global_load_dword v18, v[14:15], off
	v_subrev_nc_u32_e32 v15, 17, v13
	v_mov_b32_e32 v14, v16
	v_lshlrev_b64 v[20:21], 3, v[15:16]
	v_add_nc_u32_e32 v15, -15, v13
	v_lshlrev_b64 v[22:23], 3, v[13:14]
	v_lshlrev_b64 v[24:25], 3, v[15:16]
	v_add_nc_u32_e32 v15, -14, v13
	v_add_co_u32 v20, vcc_lo, s12, v20
	v_add_co_ci_u32_e64 v21, null, s13, v21, vcc_lo
	v_lshlrev_b64 v[26:27], 3, v[15:16]
	v_add_nc_u32_e32 v15, -13, v13
	v_add_co_u32 v36, vcc_lo, s12, v22
	v_add_co_ci_u32_e64 v37, null, s13, v23, vcc_lo
	v_add_co_u32 v24, vcc_lo, s12, v24
	v_add_co_ci_u32_e64 v25, null, s13, v25, vcc_lo
	v_lshlrev_b64 v[28:29], 3, v[15:16]
	v_add_nc_u32_e32 v15, -12, v13
	s_clause 0x1
	global_load_dwordx4 v[20:23], v[20:21], off
	global_load_dwordx2 v[38:39], v[24:25], off
	v_add_co_u32 v26, vcc_lo, s12, v26
	v_lshlrev_b64 v[24:25], 3, v[15:16]
	v_add_co_ci_u32_e64 v27, null, s13, v27, vcc_lo
	v_add_co_u32 v28, vcc_lo, s12, v28
	v_add_co_ci_u32_e64 v29, null, s13, v29, vcc_lo
	v_add_co_u32 v30, vcc_lo, s12, v24
	v_add_co_ci_u32_e64 v31, null, s13, v25, vcc_lo
	s_clause 0x1
	global_load_dwordx2 v[40:41], v[26:27], off
	global_load_dwordx2 v[42:43], v[28:29], off
	v_add_nc_u32_e32 v15, -11, v13
	v_lshlrev_b64 v[14:15], 3, v[15:16]
	v_add_co_u32 v14, vcc_lo, s12, v14
	v_add_co_ci_u32_e64 v15, null, s13, v15, vcc_lo
	s_waitcnt vmcnt(4)
	v_subrev_nc_u32_e32 v18, s2, v18
	v_mul_lo_u32 v32, v18, 6
	v_lshlrev_b64 v[24:25], 3, v[32:33]
	v_add_co_u32 v24, s1, s14, v24
	v_add_co_ci_u32_e64 v25, null, s15, v25, s1
	global_load_dwordx4 v[24:27], v[24:25], off
	s_clause 0x1
	global_load_dwordx2 v[44:45], v[30:31], off
	global_load_dwordx2 v[46:47], v[14:15], off
	v_add_nc_u32_e32 v15, 2, v32
	v_lshlrev_b64 v[28:29], 3, v[15:16]
	v_add_nc_u32_e32 v15, -10, v13
	v_lshlrev_b64 v[30:31], 3, v[15:16]
	v_add_nc_u32_e32 v15, -9, v13
	v_add_co_u32 v28, vcc_lo, s14, v28
	v_add_co_ci_u32_e64 v29, null, s15, v29, vcc_lo
	v_lshlrev_b64 v[33:34], 3, v[15:16]
	v_add_nc_u32_e32 v15, -8, v13
	v_add_co_u32 v48, vcc_lo, s12, v30
	v_add_co_ci_u32_e64 v49, null, s13, v31, vcc_lo
	v_lshlrev_b64 v[50:51], 3, v[15:16]
	v_add_co_u32 v33, vcc_lo, s12, v33
	v_add_nc_u32_e32 v15, -7, v13
	v_add_co_ci_u32_e64 v34, null, s13, v34, vcc_lo
	v_add_co_u32 v50, vcc_lo, s12, v50
	v_lshlrev_b64 v[52:53], 3, v[15:16]
	v_add_nc_u32_e32 v15, -6, v13
	v_add_co_ci_u32_e64 v51, null, s13, v51, vcc_lo
	global_load_dwordx4 v[28:31], v[28:29], off
	s_clause 0x2
	global_load_dwordx2 v[48:49], v[48:49], off
	global_load_dwordx2 v[54:55], v[33:34], off
	global_load_dwordx2 v[50:51], v[50:51], off
	v_lshlrev_b64 v[33:34], 3, v[15:16]
	v_add_nc_u32_e32 v15, -5, v13
	v_add_co_u32 v52, vcc_lo, s12, v52
	v_add_co_ci_u32_e64 v53, null, s13, v53, vcc_lo
	v_lshlrev_b64 v[56:57], 3, v[15:16]
	v_add_nc_u32_e32 v15, 4, v32
	v_add_co_u32 v32, vcc_lo, s12, v33
	v_add_co_ci_u32_e64 v33, null, s13, v34, vcc_lo
	v_add_co_u32 v56, vcc_lo, s12, v56
	v_add_co_ci_u32_e64 v57, null, s13, v57, vcc_lo
	global_load_dwordx2 v[52:53], v[52:53], off
	v_lshlrev_b64 v[34:35], 3, v[15:16]
	v_add_nc_u32_e32 v15, -4, v13
	s_clause 0x1
	global_load_dwordx2 v[56:57], v[56:57], off
	global_load_dwordx2 v[58:59], v[32:33], off
	v_lshlrev_b64 v[32:33], 3, v[15:16]
	v_add_nc_u32_e32 v15, -3, v13
	v_add_co_u32 v34, vcc_lo, s14, v34
	v_add_co_ci_u32_e64 v35, null, s15, v35, vcc_lo
	v_lshlrev_b64 v[14:15], 3, v[15:16]
	v_add_co_u32 v60, vcc_lo, s12, v32
	v_add_co_ci_u32_e64 v61, null, s13, v33, vcc_lo
	global_load_dwordx4 v[32:35], v[34:35], off
	v_add_co_u32 v14, vcc_lo, s12, v14
	v_add_co_ci_u32_e64 v15, null, s13, v15, vcc_lo
	s_clause 0x1
	global_load_dwordx2 v[60:61], v[60:61], off
	global_load_dwordx2 v[62:63], v[14:15], off
	v_add_nc_u32_e32 v15, -2, v13
	v_lshlrev_b64 v[64:65], 3, v[15:16]
	v_add_nc_u32_e32 v15, -1, v13
	v_add_nc_u32_e32 v13, 0x480, v13
	v_lshlrev_b64 v[14:15], 3, v[15:16]
	s_waitcnt vmcnt(12)
	v_fma_f64 v[6:7], v[20:21], v[24:25], v[6:7]
	v_add_co_u32 v20, vcc_lo, s12, v64
	v_add_co_ci_u32_e64 v21, null, s13, v65, vcc_lo
	v_add_co_u32 v14, vcc_lo, s12, v14
	v_add_co_ci_u32_e64 v15, null, s13, v15, vcc_lo
	v_fma_f64 v[10:11], v[22:23], v[24:25], v[10:11]
	s_clause 0x2
	global_load_dwordx2 v[22:23], v[36:37], off
	global_load_dwordx2 v[20:21], v[20:21], off
	;; [unrolled: 1-line block ×3, first 2 shown]
	v_fma_f64 v[8:9], v[38:39], v[24:25], v[8:9]
	v_cmp_ge_i32_e32 vcc_lo, v17, v19
	s_or_b32 s6, vcc_lo, s6
	v_fma_f64 v[6:7], v[40:41], v[26:27], v[6:7]
	v_fma_f64 v[10:11], v[42:43], v[26:27], v[10:11]
	s_waitcnt vmcnt(14)
	v_fma_f64 v[8:9], v[44:45], v[26:27], v[8:9]
	s_waitcnt vmcnt(12)
	v_fma_f64 v[6:7], v[46:47], v[28:29], v[6:7]
	s_waitcnt vmcnt(11)
	v_fma_f64 v[10:11], v[48:49], v[28:29], v[10:11]
	s_waitcnt vmcnt(10)
	v_fma_f64 v[8:9], v[54:55], v[28:29], v[8:9]
	s_waitcnt vmcnt(9)
	v_fma_f64 v[6:7], v[50:51], v[30:31], v[6:7]
	s_waitcnt vmcnt(8)
	v_fma_f64 v[10:11], v[52:53], v[30:31], v[10:11]
	s_waitcnt vmcnt(6)
	v_fma_f64 v[8:9], v[58:59], v[30:31], v[8:9]
	s_waitcnt vmcnt(5)
	v_fma_f64 v[6:7], v[56:57], v[32:33], v[6:7]
	s_waitcnt vmcnt(4)
	v_fma_f64 v[10:11], v[60:61], v[32:33], v[10:11]
	s_waitcnt vmcnt(3)
	v_fma_f64 v[8:9], v[62:63], v[32:33], v[8:9]
	s_waitcnt vmcnt(2)
	v_fma_f64 v[8:9], v[22:23], v[34:35], v[8:9]
	s_waitcnt vmcnt(1)
	v_fma_f64 v[6:7], v[20:21], v[34:35], v[6:7]
	s_waitcnt vmcnt(0)
	v_fma_f64 v[10:11], v[14:15], v[34:35], v[10:11]
	s_andn2_b32 exec_lo, exec_lo, s6
	s_cbranch_execnz .LBB61_9
; %bb.10:
	s_or_b32 exec_lo, exec_lo, s6
.LBB61_11:
	s_or_b32 exec_lo, exec_lo, s3
	s_cbranch_execz .LBB61_13
	s_branch .LBB61_18
.LBB61_12:
                                        ; implicit-def: $vgpr6_vgpr7
                                        ; implicit-def: $vgpr8_vgpr9
                                        ; implicit-def: $vgpr10_vgpr11
.LBB61_13:
	v_mov_b32_e32 v6, 0
	v_mov_b32_e32 v8, 0
	;; [unrolled: 1-line block ×6, first 2 shown]
	s_and_saveexec_b32 s1, s0
	s_cbranch_execz .LBB61_17
; %bb.14:
	v_mad_u64_u32 v[14:15], null, v12, 18, 17
	v_mov_b32_e32 v6, 0
	v_mov_b32_e32 v8, 0
	;; [unrolled: 1-line block ×7, first 2 shown]
	s_mov_b32 s0, 0
.LBB61_15:                              ; =>This Inner Loop Header: Depth=1
	v_ashrrev_i32_e32 v13, 31, v12
	v_add_nc_u32_e32 v20, -11, v14
	v_mov_b32_e32 v21, v17
	v_add_nc_u32_e32 v22, -5, v14
	v_mov_b32_e32 v23, v17
	v_lshlrev_b64 v[15:16], 2, v[12:13]
	v_mov_b32_e32 v29, v17
	v_lshlrev_b64 v[20:21], 3, v[20:21]
	v_add_nc_u32_e32 v12, 64, v12
	v_lshlrev_b64 v[22:23], 3, v[22:23]
	v_add_co_u32 v15, vcc_lo, s10, v15
	v_add_co_ci_u32_e64 v16, null, s11, v16, vcc_lo
	global_load_dword v13, v[15:16], off
	v_subrev_nc_u32_e32 v16, 17, v14
	v_mov_b32_e32 v15, v17
	v_lshlrev_b64 v[24:25], 3, v[16:17]
	v_add_nc_u32_e32 v16, -10, v14
	v_lshlrev_b64 v[26:27], 3, v[14:15]
	v_lshlrev_b64 v[30:31], 3, v[16:17]
	v_add_co_u32 v24, vcc_lo, s12, v24
	v_add_co_ci_u32_e64 v25, null, s13, v25, vcc_lo
	v_add_co_u32 v32, vcc_lo, s12, v20
	v_add_nc_u32_e32 v16, -4, v14
	v_add_co_ci_u32_e64 v33, null, s13, v21, vcc_lo
	v_add_co_u32 v34, vcc_lo, s12, v22
	v_add_co_ci_u32_e64 v35, null, s13, v23, vcc_lo
	v_add_co_u32 v36, vcc_lo, s12, v26
	v_add_co_ci_u32_e64 v37, null, s13, v27, vcc_lo
	v_lshlrev_b64 v[26:27], 3, v[16:17]
	v_add_nc_u32_e32 v16, -15, v14
	v_add_co_u32 v30, vcc_lo, s12, v30
	v_add_co_ci_u32_e64 v31, null, s13, v31, vcc_lo
	v_lshlrev_b64 v[15:16], 3, v[16:17]
	s_clause 0x2
	global_load_dwordx4 v[20:23], v[24:25], off
	global_load_dwordx2 v[32:33], v[32:33], off
	global_load_dwordx2 v[38:39], v[34:35], off
	v_add_co_u32 v24, vcc_lo, s12, v26
	v_add_co_ci_u32_e64 v25, null, s13, v27, vcc_lo
	v_add_co_u32 v15, vcc_lo, s12, v15
	v_add_co_ci_u32_e64 v16, null, s13, v16, vcc_lo
	s_clause 0x2
	global_load_dwordx2 v[40:41], v[30:31], off
	global_load_dwordx2 v[42:43], v[24:25], off
	;; [unrolled: 1-line block ×3, first 2 shown]
	s_waitcnt vmcnt(6)
	v_subrev_nc_u32_e32 v13, s2, v13
	v_mul_lo_u32 v28, v13, 6
	v_lshlrev_b64 v[24:25], 3, v[28:29]
	v_add_nc_u32_e32 v16, 2, v28
	v_lshlrev_b64 v[29:30], 3, v[16:17]
	v_add_co_u32 v24, vcc_lo, s14, v24
	v_add_co_ci_u32_e64 v25, null, s15, v25, vcc_lo
	v_add_nc_u32_e32 v16, -9, v14
	v_add_co_u32 v29, vcc_lo, s14, v29
	global_load_dwordx4 v[24:27], v[24:25], off
	v_add_co_ci_u32_e64 v30, null, s15, v30, vcc_lo
	v_lshlrev_b64 v[34:35], 3, v[16:17]
	v_add_nc_u32_e32 v16, -3, v14
	v_lshlrev_b64 v[46:47], 3, v[16:17]
	v_add_nc_u32_e32 v16, -14, v14
	v_add_co_u32 v34, vcc_lo, s12, v34
	v_add_co_ci_u32_e64 v35, null, s13, v35, vcc_lo
	v_lshlrev_b64 v[48:49], 3, v[16:17]
	v_add_nc_u32_e32 v16, -8, v14
	v_add_co_u32 v46, vcc_lo, s12, v46
	v_add_co_ci_u32_e64 v47, null, s13, v47, vcc_lo
	;; [unrolled: 4-line block ×4, first 2 shown]
	v_lshlrev_b64 v[54:55], 3, v[16:17]
	v_add_co_u32 v52, vcc_lo, s12, v52
	v_add_co_ci_u32_e64 v53, null, s13, v53, vcc_lo
	v_add_nc_u32_e32 v16, 4, v28
	v_add_co_u32 v54, vcc_lo, s12, v54
	v_add_co_ci_u32_e64 v55, null, s13, v55, vcc_lo
	global_load_dwordx4 v[28:31], v[29:30], off
	s_clause 0x5
	global_load_dwordx2 v[64:65], v[34:35], off
	global_load_dwordx2 v[46:47], v[46:47], off
	;; [unrolled: 1-line block ×6, first 2 shown]
	v_lshlrev_b64 v[56:57], 3, v[16:17]
	v_add_nc_u32_e32 v16, -7, v14
	v_lshlrev_b64 v[58:59], 3, v[16:17]
	v_add_nc_u32_e32 v16, -1, v14
	v_add_co_u32 v56, vcc_lo, s14, v56
	v_add_co_ci_u32_e64 v57, null, s15, v57, vcc_lo
	v_lshlrev_b64 v[60:61], 3, v[16:17]
	v_add_nc_u32_e32 v16, -12, v14
	v_add_co_u32 v58, vcc_lo, s12, v58
	v_add_co_ci_u32_e64 v59, null, s13, v59, vcc_lo
	;; [unrolled: 4-line block ×3, first 2 shown]
	v_lshlrev_b64 v[15:16], 3, v[16:17]
	v_add_co_u32 v62, vcc_lo, s12, v62
	v_add_co_ci_u32_e64 v63, null, s13, v63, vcc_lo
	v_add_nc_u32_e32 v14, 0x480, v14
	v_add_co_u32 v15, vcc_lo, s12, v15
	v_add_co_ci_u32_e64 v16, null, s13, v16, vcc_lo
	v_cmp_ge_i32_e32 vcc_lo, v12, v19
	s_or_b32 s0, vcc_lo, s0
	s_waitcnt vmcnt(7)
	v_fma_f64 v[10:11], v[32:33], v[24:25], v[10:11]
	global_load_dwordx4 v[32:35], v[56:57], off
	s_clause 0x4
	global_load_dwordx2 v[56:57], v[58:59], off
	global_load_dwordx2 v[58:59], v[60:61], off
	;; [unrolled: 1-line block ×5, first 2 shown]
	v_fma_f64 v[6:7], v[20:21], v[24:25], v[6:7]
	v_fma_f64 v[8:9], v[38:39], v[24:25], v[8:9]
	;; [unrolled: 1-line block ×5, first 2 shown]
	s_waitcnt vmcnt(11)
	v_fma_f64 v[10:11], v[64:65], v[28:29], v[10:11]
	v_fma_f64 v[6:7], v[44:45], v[28:29], v[6:7]
	s_waitcnt vmcnt(10)
	v_fma_f64 v[8:9], v[46:47], v[28:29], v[8:9]
	s_waitcnt vmcnt(8)
	v_fma_f64 v[10:11], v[50:51], v[30:31], v[10:11]
	v_fma_f64 v[6:7], v[48:49], v[30:31], v[6:7]
	s_waitcnt vmcnt(7)
	v_fma_f64 v[8:9], v[52:53], v[30:31], v[8:9]
	s_waitcnt vmcnt(5)
	;; [unrolled: 2-line block ×6, first 2 shown]
	v_fma_f64 v[10:11], v[15:16], v[34:35], v[10:11]
	v_fma_f64 v[8:9], v[36:37], v[34:35], v[8:9]
	s_andn2_b32 exec_lo, exec_lo, s0
	s_cbranch_execnz .LBB61_15
; %bb.16:
	s_or_b32 exec_lo, exec_lo, s0
.LBB61_17:
	s_or_b32 exec_lo, exec_lo, s1
.LBB61_18:
	v_mbcnt_lo_u32_b32 v18, -1, 0
	v_or_b32_e32 v12, 32, v18
	v_cmp_gt_i32_e32 vcc_lo, 32, v12
	v_cndmask_b32_e32 v12, v18, v12, vcc_lo
	v_lshlrev_b32_e32 v17, 2, v12
	ds_bpermute_b32 v12, v17, v6
	ds_bpermute_b32 v13, v17, v7
	ds_bpermute_b32 v14, v17, v10
	ds_bpermute_b32 v15, v17, v11
	ds_bpermute_b32 v16, v17, v8
	ds_bpermute_b32 v17, v17, v9
	s_waitcnt lgkmcnt(4)
	v_add_f64 v[6:7], v[6:7], v[12:13]
	v_xor_b32_e32 v12, 16, v18
	s_waitcnt lgkmcnt(2)
	v_add_f64 v[10:11], v[10:11], v[14:15]
	s_waitcnt lgkmcnt(0)
	v_add_f64 v[8:9], v[8:9], v[16:17]
	v_cmp_gt_i32_e32 vcc_lo, 32, v12
	v_cndmask_b32_e32 v12, v18, v12, vcc_lo
	v_lshlrev_b32_e32 v17, 2, v12
	ds_bpermute_b32 v12, v17, v6
	ds_bpermute_b32 v13, v17, v7
	ds_bpermute_b32 v14, v17, v10
	ds_bpermute_b32 v15, v17, v11
	ds_bpermute_b32 v16, v17, v8
	ds_bpermute_b32 v17, v17, v9
	s_waitcnt lgkmcnt(4)
	v_add_f64 v[6:7], v[6:7], v[12:13]
	v_xor_b32_e32 v12, 8, v18
	s_waitcnt lgkmcnt(2)
	v_add_f64 v[10:11], v[10:11], v[14:15]
	s_waitcnt lgkmcnt(0)
	v_add_f64 v[8:9], v[8:9], v[16:17]
	;; [unrolled: 16-line block ×3, first 2 shown]
	v_cmp_gt_i32_e32 vcc_lo, 32, v12
	v_cndmask_b32_e32 v12, v18, v12, vcc_lo
	v_lshlrev_b32_e32 v17, 2, v12
	ds_bpermute_b32 v12, v17, v6
	ds_bpermute_b32 v13, v17, v7
	ds_bpermute_b32 v14, v17, v10
	ds_bpermute_b32 v15, v17, v11
	ds_bpermute_b32 v16, v17, v8
	ds_bpermute_b32 v17, v17, v9
	s_waitcnt lgkmcnt(4)
	v_add_f64 v[6:7], v[6:7], v[12:13]
	s_waitcnt lgkmcnt(2)
	v_add_f64 v[10:11], v[10:11], v[14:15]
	;; [unrolled: 2-line block ×3, first 2 shown]
	v_xor_b32_e32 v8, 2, v18
	v_cmp_gt_i32_e32 vcc_lo, 32, v8
	v_cndmask_b32_e32 v8, v18, v8, vcc_lo
	v_lshlrev_b32_e32 v17, 2, v8
	ds_bpermute_b32 v8, v17, v6
	ds_bpermute_b32 v9, v17, v7
	;; [unrolled: 1-line block ×6, first 2 shown]
	s_waitcnt lgkmcnt(4)
	v_add_f64 v[8:9], v[6:7], v[8:9]
	s_waitcnt lgkmcnt(2)
	v_add_f64 v[6:7], v[10:11], v[14:15]
	v_xor_b32_e32 v10, 1, v18
	s_waitcnt lgkmcnt(0)
	v_add_f64 v[12:13], v[12:13], v[16:17]
	v_cmp_gt_i32_e32 vcc_lo, 32, v10
	v_cndmask_b32_e32 v10, v18, v10, vcc_lo
	v_cmp_eq_u32_e32 vcc_lo, 63, v0
	v_lshlrev_b32_e32 v15, 2, v10
	ds_bpermute_b32 v10, v15, v8
	ds_bpermute_b32 v11, v15, v9
	;; [unrolled: 1-line block ×6, first 2 shown]
	s_and_b32 exec_lo, exec_lo, vcc_lo
	s_cbranch_execz .LBB61_23
; %bb.19:
	s_waitcnt lgkmcnt(4)
	v_add_f64 v[10:11], v[8:9], v[10:11]
	s_waitcnt lgkmcnt(2)
	v_add_f64 v[8:9], v[6:7], v[16:17]
	;; [unrolled: 2-line block ×3, first 2 shown]
	s_load_dwordx2 s[0:1], s[4:5], 0x38
	s_mov_b32 s2, exec_lo
	v_cmpx_eq_f64_e32 0, v[3:4]
	s_xor_b32 s2, exec_lo, s2
	s_cbranch_execz .LBB61_21
; %bb.20:
	v_lshl_add_u32 v0, v5, 1, v5
	v_mul_f64 v[10:11], v[1:2], v[10:11]
	v_mul_f64 v[12:13], v[1:2], v[8:9]
	;; [unrolled: 1-line block ×3, first 2 shown]
                                        ; implicit-def: $vgpr5
                                        ; implicit-def: $vgpr8_vgpr9
                                        ; implicit-def: $vgpr6_vgpr7
	v_ashrrev_i32_e32 v1, 31, v0
	v_lshlrev_b64 v[0:1], 3, v[0:1]
	s_waitcnt lgkmcnt(0)
	v_add_co_u32 v0, vcc_lo, s0, v0
	v_add_co_ci_u32_e64 v1, null, s1, v1, vcc_lo
	global_store_dwordx4 v[0:1], v[10:13], off
	global_store_dwordx2 v[0:1], v[2:3], off offset:16
                                        ; implicit-def: $vgpr1_vgpr2
                                        ; implicit-def: $vgpr10_vgpr11
                                        ; implicit-def: $vgpr3_vgpr4
.LBB61_21:
	s_andn2_saveexec_b32 s2, s2
	s_cbranch_execz .LBB61_23
; %bb.22:
	v_lshl_add_u32 v12, v5, 1, v5
	v_mul_f64 v[10:11], v[1:2], v[10:11]
	v_mul_f64 v[8:9], v[1:2], v[8:9]
	;; [unrolled: 1-line block ×3, first 2 shown]
	v_ashrrev_i32_e32 v13, 31, v12
	v_lshlrev_b64 v[12:13], 3, v[12:13]
	s_waitcnt lgkmcnt(0)
	v_add_co_u32 v16, vcc_lo, s0, v12
	v_add_co_ci_u32_e64 v17, null, s1, v13, vcc_lo
	s_clause 0x1
	global_load_dwordx4 v[12:15], v[16:17], off
	global_load_dwordx2 v[18:19], v[16:17], off offset:16
	s_waitcnt vmcnt(1)
	v_fma_f64 v[5:6], v[3:4], v[12:13], v[10:11]
	v_fma_f64 v[7:8], v[3:4], v[14:15], v[8:9]
	s_waitcnt vmcnt(0)
	v_fma_f64 v[0:1], v[3:4], v[18:19], v[0:1]
	global_store_dwordx4 v[16:17], v[5:8], off
	global_store_dwordx2 v[16:17], v[0:1], off offset:16
.LBB61_23:
	s_endpgm
	.section	.rodata,"a",@progbits
	.p2align	6, 0x0
	.amdhsa_kernel _ZN9rocsparseL19gebsrmvn_3xn_kernelILj128ELj6ELj64EdEEvi20rocsparse_direction_NS_24const_host_device_scalarIT2_EEPKiS6_PKS3_S8_S4_PS3_21rocsparse_index_base_b
		.amdhsa_group_segment_fixed_size 0
		.amdhsa_private_segment_fixed_size 0
		.amdhsa_kernarg_size 72
		.amdhsa_user_sgpr_count 6
		.amdhsa_user_sgpr_private_segment_buffer 1
		.amdhsa_user_sgpr_dispatch_ptr 0
		.amdhsa_user_sgpr_queue_ptr 0
		.amdhsa_user_sgpr_kernarg_segment_ptr 1
		.amdhsa_user_sgpr_dispatch_id 0
		.amdhsa_user_sgpr_flat_scratch_init 0
		.amdhsa_user_sgpr_private_segment_size 0
		.amdhsa_wavefront_size32 1
		.amdhsa_uses_dynamic_stack 0
		.amdhsa_system_sgpr_private_segment_wavefront_offset 0
		.amdhsa_system_sgpr_workgroup_id_x 1
		.amdhsa_system_sgpr_workgroup_id_y 0
		.amdhsa_system_sgpr_workgroup_id_z 0
		.amdhsa_system_sgpr_workgroup_info 0
		.amdhsa_system_vgpr_workitem_id 0
		.amdhsa_next_free_vgpr 66
		.amdhsa_next_free_sgpr 16
		.amdhsa_reserve_vcc 1
		.amdhsa_reserve_flat_scratch 0
		.amdhsa_float_round_mode_32 0
		.amdhsa_float_round_mode_16_64 0
		.amdhsa_float_denorm_mode_32 3
		.amdhsa_float_denorm_mode_16_64 3
		.amdhsa_dx10_clamp 1
		.amdhsa_ieee_mode 1
		.amdhsa_fp16_overflow 0
		.amdhsa_workgroup_processor_mode 1
		.amdhsa_memory_ordered 1
		.amdhsa_forward_progress 1
		.amdhsa_shared_vgpr_count 0
		.amdhsa_exception_fp_ieee_invalid_op 0
		.amdhsa_exception_fp_denorm_src 0
		.amdhsa_exception_fp_ieee_div_zero 0
		.amdhsa_exception_fp_ieee_overflow 0
		.amdhsa_exception_fp_ieee_underflow 0
		.amdhsa_exception_fp_ieee_inexact 0
		.amdhsa_exception_int_div_zero 0
	.end_amdhsa_kernel
	.section	.text._ZN9rocsparseL19gebsrmvn_3xn_kernelILj128ELj6ELj64EdEEvi20rocsparse_direction_NS_24const_host_device_scalarIT2_EEPKiS6_PKS3_S8_S4_PS3_21rocsparse_index_base_b,"axG",@progbits,_ZN9rocsparseL19gebsrmvn_3xn_kernelILj128ELj6ELj64EdEEvi20rocsparse_direction_NS_24const_host_device_scalarIT2_EEPKiS6_PKS3_S8_S4_PS3_21rocsparse_index_base_b,comdat
.Lfunc_end61:
	.size	_ZN9rocsparseL19gebsrmvn_3xn_kernelILj128ELj6ELj64EdEEvi20rocsparse_direction_NS_24const_host_device_scalarIT2_EEPKiS6_PKS3_S8_S4_PS3_21rocsparse_index_base_b, .Lfunc_end61-_ZN9rocsparseL19gebsrmvn_3xn_kernelILj128ELj6ELj64EdEEvi20rocsparse_direction_NS_24const_host_device_scalarIT2_EEPKiS6_PKS3_S8_S4_PS3_21rocsparse_index_base_b
                                        ; -- End function
	.set _ZN9rocsparseL19gebsrmvn_3xn_kernelILj128ELj6ELj64EdEEvi20rocsparse_direction_NS_24const_host_device_scalarIT2_EEPKiS6_PKS3_S8_S4_PS3_21rocsparse_index_base_b.num_vgpr, 66
	.set _ZN9rocsparseL19gebsrmvn_3xn_kernelILj128ELj6ELj64EdEEvi20rocsparse_direction_NS_24const_host_device_scalarIT2_EEPKiS6_PKS3_S8_S4_PS3_21rocsparse_index_base_b.num_agpr, 0
	.set _ZN9rocsparseL19gebsrmvn_3xn_kernelILj128ELj6ELj64EdEEvi20rocsparse_direction_NS_24const_host_device_scalarIT2_EEPKiS6_PKS3_S8_S4_PS3_21rocsparse_index_base_b.numbered_sgpr, 16
	.set _ZN9rocsparseL19gebsrmvn_3xn_kernelILj128ELj6ELj64EdEEvi20rocsparse_direction_NS_24const_host_device_scalarIT2_EEPKiS6_PKS3_S8_S4_PS3_21rocsparse_index_base_b.num_named_barrier, 0
	.set _ZN9rocsparseL19gebsrmvn_3xn_kernelILj128ELj6ELj64EdEEvi20rocsparse_direction_NS_24const_host_device_scalarIT2_EEPKiS6_PKS3_S8_S4_PS3_21rocsparse_index_base_b.private_seg_size, 0
	.set _ZN9rocsparseL19gebsrmvn_3xn_kernelILj128ELj6ELj64EdEEvi20rocsparse_direction_NS_24const_host_device_scalarIT2_EEPKiS6_PKS3_S8_S4_PS3_21rocsparse_index_base_b.uses_vcc, 1
	.set _ZN9rocsparseL19gebsrmvn_3xn_kernelILj128ELj6ELj64EdEEvi20rocsparse_direction_NS_24const_host_device_scalarIT2_EEPKiS6_PKS3_S8_S4_PS3_21rocsparse_index_base_b.uses_flat_scratch, 0
	.set _ZN9rocsparseL19gebsrmvn_3xn_kernelILj128ELj6ELj64EdEEvi20rocsparse_direction_NS_24const_host_device_scalarIT2_EEPKiS6_PKS3_S8_S4_PS3_21rocsparse_index_base_b.has_dyn_sized_stack, 0
	.set _ZN9rocsparseL19gebsrmvn_3xn_kernelILj128ELj6ELj64EdEEvi20rocsparse_direction_NS_24const_host_device_scalarIT2_EEPKiS6_PKS3_S8_S4_PS3_21rocsparse_index_base_b.has_recursion, 0
	.set _ZN9rocsparseL19gebsrmvn_3xn_kernelILj128ELj6ELj64EdEEvi20rocsparse_direction_NS_24const_host_device_scalarIT2_EEPKiS6_PKS3_S8_S4_PS3_21rocsparse_index_base_b.has_indirect_call, 0
	.section	.AMDGPU.csdata,"",@progbits
; Kernel info:
; codeLenInByte = 3332
; TotalNumSgprs: 18
; NumVgprs: 66
; ScratchSize: 0
; MemoryBound: 0
; FloatMode: 240
; IeeeMode: 1
; LDSByteSize: 0 bytes/workgroup (compile time only)
; SGPRBlocks: 0
; VGPRBlocks: 8
; NumSGPRsForWavesPerEU: 18
; NumVGPRsForWavesPerEU: 66
; Occupancy: 12
; WaveLimiterHint : 1
; COMPUTE_PGM_RSRC2:SCRATCH_EN: 0
; COMPUTE_PGM_RSRC2:USER_SGPR: 6
; COMPUTE_PGM_RSRC2:TRAP_HANDLER: 0
; COMPUTE_PGM_RSRC2:TGID_X_EN: 1
; COMPUTE_PGM_RSRC2:TGID_Y_EN: 0
; COMPUTE_PGM_RSRC2:TGID_Z_EN: 0
; COMPUTE_PGM_RSRC2:TIDIG_COMP_CNT: 0
	.section	.text._ZN9rocsparseL19gebsrmvn_3xn_kernelILj128ELj7ELj4EdEEvi20rocsparse_direction_NS_24const_host_device_scalarIT2_EEPKiS6_PKS3_S8_S4_PS3_21rocsparse_index_base_b,"axG",@progbits,_ZN9rocsparseL19gebsrmvn_3xn_kernelILj128ELj7ELj4EdEEvi20rocsparse_direction_NS_24const_host_device_scalarIT2_EEPKiS6_PKS3_S8_S4_PS3_21rocsparse_index_base_b,comdat
	.globl	_ZN9rocsparseL19gebsrmvn_3xn_kernelILj128ELj7ELj4EdEEvi20rocsparse_direction_NS_24const_host_device_scalarIT2_EEPKiS6_PKS3_S8_S4_PS3_21rocsparse_index_base_b ; -- Begin function _ZN9rocsparseL19gebsrmvn_3xn_kernelILj128ELj7ELj4EdEEvi20rocsparse_direction_NS_24const_host_device_scalarIT2_EEPKiS6_PKS3_S8_S4_PS3_21rocsparse_index_base_b
	.p2align	8
	.type	_ZN9rocsparseL19gebsrmvn_3xn_kernelILj128ELj7ELj4EdEEvi20rocsparse_direction_NS_24const_host_device_scalarIT2_EEPKiS6_PKS3_S8_S4_PS3_21rocsparse_index_base_b,@function
_ZN9rocsparseL19gebsrmvn_3xn_kernelILj128ELj7ELj4EdEEvi20rocsparse_direction_NS_24const_host_device_scalarIT2_EEPKiS6_PKS3_S8_S4_PS3_21rocsparse_index_base_b: ; @_ZN9rocsparseL19gebsrmvn_3xn_kernelILj128ELj7ELj4EdEEvi20rocsparse_direction_NS_24const_host_device_scalarIT2_EEPKiS6_PKS3_S8_S4_PS3_21rocsparse_index_base_b
; %bb.0:
	s_clause 0x2
	s_load_dwordx2 s[2:3], s[4:5], 0x40
	s_load_dwordx2 s[8:9], s[4:5], 0x8
	;; [unrolled: 1-line block ×3, first 2 shown]
	s_waitcnt lgkmcnt(0)
	s_bitcmp1_b32 s3, 0
	v_mov_b32_e32 v1, s8
	v_mov_b32_e32 v2, s9
	s_cselect_b32 s3, -1, 0
	s_and_b32 vcc_lo, exec_lo, s3
	s_xor_b32 s3, s3, -1
	s_cbranch_vccnz .LBB62_2
; %bb.1:
	v_mov_b32_e32 v1, s8
	v_mov_b32_e32 v2, s9
	flat_load_dwordx2 v[1:2], v[1:2]
.LBB62_2:
	v_mov_b32_e32 v4, s1
	v_mov_b32_e32 v3, s0
	s_andn2_b32 vcc_lo, exec_lo, s3
	s_cbranch_vccnz .LBB62_4
; %bb.3:
	v_mov_b32_e32 v4, s1
	v_mov_b32_e32 v3, s0
	flat_load_dwordx2 v[3:4], v[3:4]
.LBB62_4:
	s_waitcnt vmcnt(0) lgkmcnt(0)
	v_cmp_neq_f64_e32 vcc_lo, 0, v[1:2]
	v_cmp_neq_f64_e64 s0, 1.0, v[3:4]
	s_or_b32 s0, vcc_lo, s0
	s_and_saveexec_b32 s1, s0
	s_cbranch_execz .LBB62_23
; %bb.5:
	s_load_dwordx2 s[0:1], s[4:5], 0x0
	v_lshrrev_b32_e32 v5, 2, v0
	v_lshl_or_b32 v5, s6, 5, v5
	s_waitcnt lgkmcnt(0)
	v_cmp_gt_i32_e32 vcc_lo, s0, v5
	s_and_b32 exec_lo, exec_lo, vcc_lo
	s_cbranch_execz .LBB62_23
; %bb.6:
	s_load_dwordx8 s[8:15], s[4:5], 0x10
	v_ashrrev_i32_e32 v6, 31, v5
	v_and_b32_e32 v0, 3, v0
	s_cmp_lg_u32 s1, 0
	v_lshlrev_b64 v[6:7], 2, v[5:6]
	s_waitcnt lgkmcnt(0)
	v_add_co_u32 v6, vcc_lo, s8, v6
	v_add_co_ci_u32_e64 v7, null, s9, v7, vcc_lo
	global_load_dwordx2 v[6:7], v[6:7], off
	s_waitcnt vmcnt(0)
	v_subrev_nc_u32_e32 v6, s2, v6
	v_subrev_nc_u32_e32 v20, s2, v7
	v_add_nc_u32_e32 v6, v6, v0
	v_cmp_lt_i32_e64 s0, v6, v20
	s_cbranch_scc0 .LBB62_12
; %bb.7:
	v_mov_b32_e32 v10, 0
	v_mov_b32_e32 v8, 0
	;; [unrolled: 1-line block ×6, first 2 shown]
	s_and_saveexec_b32 s1, s0
	s_cbranch_execz .LBB62_11
; %bb.8:
	v_mad_u64_u32 v[14:15], null, v6, 21, 20
	v_mov_b32_e32 v10, 0
	v_mov_b32_e32 v8, 0
	;; [unrolled: 1-line block ×8, first 2 shown]
	s_mov_b32 s3, 0
.LBB62_9:                               ; =>This Inner Loop Header: Depth=1
	v_ashrrev_i32_e32 v19, 31, v18
	v_mov_b32_e32 v22, v17
	v_lshlrev_b64 v[15:16], 2, v[18:19]
	v_add_nc_u32_e32 v18, 4, v18
	v_add_co_u32 v15, vcc_lo, s10, v15
	v_add_co_ci_u32_e64 v16, null, s11, v16, vcc_lo
	global_load_dword v7, v[15:16], off
	v_subrev_nc_u32_e32 v16, 20, v14
	v_mov_b32_e32 v15, v17
	v_lshlrev_b64 v[23:24], 3, v[16:17]
	v_subrev_nc_u32_e32 v16, 19, v14
	v_lshlrev_b64 v[25:26], 3, v[14:15]
	v_lshlrev_b64 v[27:28], 3, v[16:17]
	v_subrev_nc_u32_e32 v16, 18, v14
	v_add_co_u32 v23, vcc_lo, s12, v23
	v_add_co_ci_u32_e64 v24, null, s13, v24, vcc_lo
	v_lshlrev_b64 v[29:30], 3, v[16:17]
	v_subrev_nc_u32_e32 v16, 17, v14
	v_add_co_u32 v25, vcc_lo, s12, v25
	v_add_co_ci_u32_e64 v26, null, s13, v26, vcc_lo
	v_lshlrev_b64 v[15:16], 3, v[16:17]
	v_add_co_u32 v27, vcc_lo, s12, v27
	v_add_co_ci_u32_e64 v28, null, s13, v28, vcc_lo
	v_add_co_u32 v29, vcc_lo, s12, v29
	v_add_co_ci_u32_e64 v30, null, s13, v30, vcc_lo
	;; [unrolled: 2-line block ×3, first 2 shown]
	s_clause 0x3
	global_load_dwordx2 v[23:24], v[23:24], off
	global_load_dwordx2 v[27:28], v[27:28], off
	;; [unrolled: 1-line block ×4, first 2 shown]
	s_waitcnt vmcnt(4)
	v_subrev_nc_u32_e32 v7, s2, v7
	v_mul_lo_u32 v21, v7, 7
	v_lshlrev_b64 v[33:34], 3, v[21:22]
	v_add_nc_u32_e32 v16, 1, v21
	v_lshlrev_b64 v[35:36], 3, v[16:17]
	v_add_co_u32 v33, vcc_lo, s14, v33
	v_add_co_ci_u32_e64 v34, null, s15, v34, vcc_lo
	v_add_nc_u32_e32 v16, -16, v14
	v_add_co_u32 v35, vcc_lo, s14, v35
	global_load_dwordx2 v[33:34], v[33:34], off
	v_add_co_ci_u32_e64 v36, null, s15, v36, vcc_lo
	v_lshlrev_b64 v[37:38], 3, v[16:17]
	v_add_nc_u32_e32 v16, -15, v14
	global_load_dwordx2 v[35:36], v[35:36], off
	v_lshlrev_b64 v[39:40], 3, v[16:17]
	v_add_nc_u32_e32 v16, -14, v14
	v_add_co_u32 v37, vcc_lo, s12, v37
	v_add_co_ci_u32_e64 v38, null, s13, v38, vcc_lo
	v_add_co_u32 v39, vcc_lo, s12, v39
	v_lshlrev_b64 v[41:42], 3, v[16:17]
	v_add_nc_u32_e32 v16, 2, v21
	v_add_co_ci_u32_e64 v40, null, s13, v40, vcc_lo
	global_load_dwordx2 v[37:38], v[37:38], off
	v_lshlrev_b64 v[43:44], 3, v[16:17]
	v_add_nc_u32_e32 v16, -13, v14
	global_load_dwordx2 v[39:40], v[39:40], off
	v_add_co_u32 v41, vcc_lo, s12, v41
	v_add_co_ci_u32_e64 v42, null, s13, v42, vcc_lo
	v_lshlrev_b64 v[45:46], 3, v[16:17]
	v_add_nc_u32_e32 v16, -12, v14
	v_add_co_u32 v43, vcc_lo, s14, v43
	v_add_co_ci_u32_e64 v44, null, s15, v44, vcc_lo
	v_lshlrev_b64 v[47:48], 3, v[16:17]
	v_add_nc_u32_e32 v16, -11, v14
	v_add_co_u32 v45, vcc_lo, s12, v45
	v_add_co_ci_u32_e64 v46, null, s13, v46, vcc_lo
	v_add_co_u32 v47, vcc_lo, s12, v47
	v_lshlrev_b64 v[49:50], 3, v[16:17]
	v_add_nc_u32_e32 v16, 3, v21
	v_add_co_ci_u32_e64 v48, null, s13, v48, vcc_lo
	global_load_dwordx2 v[41:42], v[41:42], off
	global_load_dwordx2 v[43:44], v[43:44], off
	v_lshlrev_b64 v[51:52], 3, v[16:17]
	v_add_nc_u32_e32 v16, -10, v14
	s_clause 0x1
	global_load_dwordx2 v[45:46], v[45:46], off
	global_load_dwordx2 v[47:48], v[47:48], off
	v_add_co_u32 v49, vcc_lo, s12, v49
	v_lshlrev_b64 v[53:54], 3, v[16:17]
	v_add_nc_u32_e32 v16, -9, v14
	v_add_co_ci_u32_e64 v50, null, s13, v50, vcc_lo
	v_add_co_u32 v51, vcc_lo, s14, v51
	v_lshlrev_b64 v[55:56], 3, v[16:17]
	v_add_nc_u32_e32 v16, -8, v14
	v_add_co_ci_u32_e64 v52, null, s15, v52, vcc_lo
	v_add_co_u32 v53, vcc_lo, s12, v53
	v_add_co_ci_u32_e64 v54, null, s13, v54, vcc_lo
	v_add_co_u32 v55, vcc_lo, s12, v55
	v_lshlrev_b64 v[57:58], 3, v[16:17]
	v_add_nc_u32_e32 v16, 4, v21
	v_add_co_ci_u32_e64 v56, null, s13, v56, vcc_lo
	global_load_dwordx2 v[49:50], v[49:50], off
	global_load_dwordx2 v[51:52], v[51:52], off
	v_lshlrev_b64 v[59:60], 3, v[16:17]
	v_add_nc_u32_e32 v16, -7, v14
	s_clause 0x1
	global_load_dwordx2 v[53:54], v[53:54], off
	global_load_dwordx2 v[55:56], v[55:56], off
	v_add_co_u32 v57, vcc_lo, s12, v57
	v_lshlrev_b64 v[61:62], 3, v[16:17]
	v_add_nc_u32_e32 v16, -6, v14
	v_add_co_ci_u32_e64 v58, null, s13, v58, vcc_lo
	v_add_co_u32 v59, vcc_lo, s14, v59
	v_lshlrev_b64 v[63:64], 3, v[16:17]
	v_add_nc_u32_e32 v16, -5, v14
	v_add_co_ci_u32_e64 v60, null, s15, v60, vcc_lo
	v_add_co_u32 v61, vcc_lo, s12, v61
	v_add_co_ci_u32_e64 v62, null, s13, v62, vcc_lo
	v_add_co_u32 v63, vcc_lo, s12, v63
	v_lshlrev_b64 v[65:66], 3, v[16:17]
	v_add_nc_u32_e32 v16, 5, v21
	v_add_co_ci_u32_e64 v64, null, s13, v64, vcc_lo
	global_load_dwordx2 v[57:58], v[57:58], off
	global_load_dwordx2 v[59:60], v[59:60], off
	s_clause 0x1
	global_load_dwordx2 v[61:62], v[61:62], off
	global_load_dwordx2 v[63:64], v[63:64], off
	v_lshlrev_b64 v[67:68], 3, v[16:17]
	v_add_nc_u32_e32 v16, -4, v14
	v_add_co_u32 v65, vcc_lo, s12, v65
	v_add_co_ci_u32_e64 v66, null, s13, v66, vcc_lo
	v_lshlrev_b64 v[69:70], 3, v[16:17]
	v_add_nc_u32_e32 v16, -3, v14
	v_add_co_u32 v67, vcc_lo, s14, v67
	v_add_co_ci_u32_e64 v68, null, s15, v68, vcc_lo
	v_lshlrev_b64 v[71:72], 3, v[16:17]
	v_add_nc_u32_e32 v16, -2, v14
	v_add_co_u32 v69, vcc_lo, s12, v69
	v_add_co_ci_u32_e64 v70, null, s13, v70, vcc_lo
	v_add_co_u32 v15, vcc_lo, s12, v71
	v_lshlrev_b64 v[73:74], 3, v[16:17]
	v_add_co_ci_u32_e64 v16, null, s13, v72, vcc_lo
	global_load_dwordx2 v[65:66], v[65:66], off
	global_load_dwordx2 v[67:68], v[67:68], off
	s_clause 0x1
	global_load_dwordx2 v[69:70], v[69:70], off
	global_load_dwordx2 v[71:72], v[15:16], off
	v_add_nc_u32_e32 v16, 6, v21
	v_add_co_u32 v73, vcc_lo, s12, v73
	v_add_co_ci_u32_e64 v74, null, s13, v74, vcc_lo
	v_lshlrev_b64 v[21:22], 3, v[16:17]
	v_add_nc_u32_e32 v16, -1, v14
	v_add_nc_u32_e32 v14, 0x54, v14
	v_lshlrev_b64 v[15:16], 3, v[16:17]
	v_add_co_u32 v21, vcc_lo, s14, v21
	v_add_co_ci_u32_e64 v22, null, s15, v22, vcc_lo
	v_add_co_u32 v15, vcc_lo, s12, v15
	v_add_co_ci_u32_e64 v16, null, s13, v16, vcc_lo
	s_clause 0x1
	global_load_dwordx2 v[25:26], v[25:26], off
	global_load_dwordx2 v[73:74], v[73:74], off
	;; [unrolled: 1-line block ×4, first 2 shown]
	v_cmp_ge_i32_e32 vcc_lo, v18, v20
	s_or_b32 s3, vcc_lo, s3
	s_waitcnt vmcnt(23)
	v_fma_f64 v[10:11], v[23:24], v[33:34], v[10:11]
	v_fma_f64 v[12:13], v[27:28], v[33:34], v[12:13]
	v_fma_f64 v[7:8], v[29:30], v[33:34], v[8:9]
	s_waitcnt vmcnt(22)
	v_fma_f64 v[9:10], v[31:32], v[35:36], v[10:11]
	s_waitcnt vmcnt(21)
	v_fma_f64 v[11:12], v[37:38], v[35:36], v[12:13]
	s_waitcnt vmcnt(20)
	v_fma_f64 v[7:8], v[39:40], v[35:36], v[7:8]
	s_waitcnt vmcnt(18)
	v_fma_f64 v[9:10], v[41:42], v[43:44], v[9:10]
	s_waitcnt vmcnt(17)
	v_fma_f64 v[11:12], v[45:46], v[43:44], v[11:12]
	s_waitcnt vmcnt(16)
	v_fma_f64 v[7:8], v[47:48], v[43:44], v[7:8]
	s_waitcnt vmcnt(14)
	v_fma_f64 v[9:10], v[49:50], v[51:52], v[9:10]
	s_waitcnt vmcnt(13)
	v_fma_f64 v[11:12], v[53:54], v[51:52], v[11:12]
	s_waitcnt vmcnt(12)
	v_fma_f64 v[7:8], v[55:56], v[51:52], v[7:8]
	s_waitcnt vmcnt(10)
	v_fma_f64 v[9:10], v[57:58], v[59:60], v[9:10]
	s_waitcnt vmcnt(9)
	v_fma_f64 v[11:12], v[61:62], v[59:60], v[11:12]
	s_waitcnt vmcnt(8)
	v_fma_f64 v[7:8], v[63:64], v[59:60], v[7:8]
	s_waitcnt vmcnt(6)
	v_fma_f64 v[9:10], v[65:66], v[67:68], v[9:10]
	s_waitcnt vmcnt(5)
	v_fma_f64 v[12:13], v[69:70], v[67:68], v[11:12]
	s_waitcnt vmcnt(4)
	v_fma_f64 v[7:8], v[71:72], v[67:68], v[7:8]
	s_waitcnt vmcnt(1)
	v_fma_f64 v[10:11], v[73:74], v[21:22], v[9:10]
	s_waitcnt vmcnt(0)
	v_fma_f64 v[12:13], v[15:16], v[21:22], v[12:13]
	v_fma_f64 v[8:9], v[25:26], v[21:22], v[7:8]
	s_andn2_b32 exec_lo, exec_lo, s3
	s_cbranch_execnz .LBB62_9
; %bb.10:
	s_or_b32 exec_lo, exec_lo, s3
.LBB62_11:
	s_or_b32 exec_lo, exec_lo, s1
	s_cbranch_execz .LBB62_13
	s_branch .LBB62_18
.LBB62_12:
                                        ; implicit-def: $vgpr10_vgpr11
                                        ; implicit-def: $vgpr8_vgpr9
                                        ; implicit-def: $vgpr12_vgpr13
.LBB62_13:
	v_mov_b32_e32 v10, 0
	v_mov_b32_e32 v8, 0
	v_mov_b32_e32 v12, 0
	v_mov_b32_e32 v11, 0
	v_mov_b32_e32 v9, 0
	v_mov_b32_e32 v13, 0
	s_and_saveexec_b32 s1, s0
	s_cbranch_execz .LBB62_17
; %bb.14:
	v_mad_u64_u32 v[14:15], null, v6, 21, 20
	v_mov_b32_e32 v10, 0
	v_mov_b32_e32 v8, 0
	v_mov_b32_e32 v12, 0
	v_mov_b32_e32 v11, 0
	v_mov_b32_e32 v9, 0
	v_mov_b32_e32 v13, 0
	v_mov_b32_e32 v17, 0
	s_mov_b32 s0, 0
.LBB62_15:                              ; =>This Inner Loop Header: Depth=1
	v_ashrrev_i32_e32 v7, 31, v6
	v_subrev_nc_u32_e32 v16, 20, v14
	v_add_nc_u32_e32 v18, -13, v14
	v_mov_b32_e32 v19, v17
	v_add_nc_u32_e32 v21, -6, v14
	v_lshlrev_b64 v[26:27], 2, v[6:7]
	v_mov_b32_e32 v22, v17
	v_lshlrev_b64 v[24:25], 3, v[16:17]
	v_lshlrev_b64 v[18:19], 3, v[18:19]
	v_mov_b32_e32 v15, v17
	v_subrev_nc_u32_e32 v16, 19, v14
	v_add_co_u32 v26, vcc_lo, s10, v26
	v_add_co_ci_u32_e64 v27, null, s11, v27, vcc_lo
	v_lshlrev_b64 v[21:22], 3, v[21:22]
	v_add_co_u32 v24, vcc_lo, s12, v24
	global_load_dword v7, v[26:27], off
	v_add_co_ci_u32_e64 v25, null, s13, v25, vcc_lo
	v_add_co_u32 v18, vcc_lo, s12, v18
	v_lshlrev_b64 v[28:29], 3, v[14:15]
	v_add_co_ci_u32_e64 v19, null, s13, v19, vcc_lo
	v_add_co_u32 v30, vcc_lo, s12, v21
	v_lshlrev_b64 v[15:16], 3, v[16:17]
	v_add_co_ci_u32_e64 v31, null, s13, v22, vcc_lo
	v_add_co_u32 v28, vcc_lo, s12, v28
	v_add_co_ci_u32_e64 v29, null, s13, v29, vcc_lo
	v_add_co_u32 v26, vcc_lo, s12, v15
	v_add_co_ci_u32_e64 v27, null, s13, v16, vcc_lo
	v_mov_b32_e32 v23, v17
	v_add_nc_u32_e32 v6, 4, v6
	s_waitcnt vmcnt(0)
	v_subrev_nc_u32_e32 v7, s2, v7
	v_mul_lo_u32 v22, v7, 7
	v_add_nc_u32_e32 v16, 1, v22
	v_lshlrev_b64 v[32:33], 3, v[22:23]
	v_lshlrev_b64 v[34:35], 3, v[16:17]
	v_add_nc_u32_e32 v16, -12, v14
	v_add_co_u32 v32, vcc_lo, s14, v32
	v_add_co_ci_u32_e64 v33, null, s15, v33, vcc_lo
	v_lshlrev_b64 v[36:37], 3, v[16:17]
	v_add_nc_u32_e32 v16, -5, v14
	v_add_co_u32 v34, vcc_lo, s14, v34
	v_add_co_ci_u32_e64 v35, null, s15, v35, vcc_lo
	v_lshlrev_b64 v[38:39], 3, v[16:17]
	v_subrev_nc_u32_e32 v16, 18, v14
	v_add_co_u32 v36, vcc_lo, s12, v36
	v_add_co_ci_u32_e64 v37, null, s13, v37, vcc_lo
	v_lshlrev_b64 v[40:41], 3, v[16:17]
	v_add_nc_u32_e32 v16, 2, v22
	v_add_co_u32 v38, vcc_lo, s12, v38
	v_add_co_ci_u32_e64 v39, null, s13, v39, vcc_lo
	v_lshlrev_b64 v[42:43], 3, v[16:17]
	v_add_nc_u32_e32 v16, -11, v14
	v_add_co_u32 v40, vcc_lo, s12, v40
	v_add_co_ci_u32_e64 v41, null, s13, v41, vcc_lo
	v_lshlrev_b64 v[44:45], 3, v[16:17]
	v_add_nc_u32_e32 v16, -4, v14
	v_add_co_u32 v42, vcc_lo, s14, v42
	v_add_co_ci_u32_e64 v43, null, s15, v43, vcc_lo
	v_lshlrev_b64 v[46:47], 3, v[16:17]
	v_subrev_nc_u32_e32 v16, 17, v14
	v_add_co_u32 v44, vcc_lo, s12, v44
	v_add_co_ci_u32_e64 v45, null, s13, v45, vcc_lo
	v_lshlrev_b64 v[48:49], 3, v[16:17]
	v_add_nc_u32_e32 v16, 3, v22
	v_add_co_u32 v46, vcc_lo, s12, v46
	v_add_co_ci_u32_e64 v47, null, s13, v47, vcc_lo
	v_lshlrev_b64 v[50:51], 3, v[16:17]
	v_add_nc_u32_e32 v16, -10, v14
	v_add_co_u32 v48, vcc_lo, s12, v48
	v_add_co_ci_u32_e64 v49, null, s13, v49, vcc_lo
	v_lshlrev_b64 v[52:53], 3, v[16:17]
	v_add_nc_u32_e32 v16, -3, v14
	;; [unrolled: 4-line block ×3, first 2 shown]
	v_add_co_u32 v52, vcc_lo, s12, v52
	v_add_co_ci_u32_e64 v53, null, s13, v53, vcc_lo
	v_lshlrev_b64 v[56:57], 3, v[16:17]
	v_add_nc_u32_e32 v16, 4, v22
	v_add_co_u32 v54, vcc_lo, s12, v54
	v_add_co_ci_u32_e64 v55, null, s13, v55, vcc_lo
	v_lshlrev_b64 v[58:59], 3, v[16:17]
	v_add_nc_u32_e32 v16, -9, v14
	v_add_co_u32 v56, vcc_lo, s12, v56
	v_add_co_ci_u32_e64 v57, null, s13, v57, vcc_lo
	v_lshlrev_b64 v[60:61], 3, v[16:17]
	v_add_nc_u32_e32 v16, -2, v14
	v_add_co_u32 v58, vcc_lo, s14, v58
	v_add_co_ci_u32_e64 v59, null, s15, v59, vcc_lo
	v_lshlrev_b64 v[62:63], 3, v[16:17]
	v_add_nc_u32_e32 v16, -15, v14
	v_add_co_u32 v60, vcc_lo, s12, v60
	v_add_co_ci_u32_e64 v61, null, s13, v61, vcc_lo
	v_lshlrev_b64 v[15:16], 3, v[16:17]
	v_add_co_u32 v62, vcc_lo, s12, v62
	v_add_co_ci_u32_e64 v63, null, s13, v63, vcc_lo
	v_add_co_u32 v64, vcc_lo, s12, v15
	v_add_co_ci_u32_e64 v65, null, s13, v16, vcc_lo
	v_add_nc_u32_e32 v16, 5, v22
	v_lshlrev_b64 v[15:16], 3, v[16:17]
	v_add_co_u32 v66, vcc_lo, s14, v15
	v_add_co_ci_u32_e64 v67, null, s15, v16, vcc_lo
	global_load_dwordx2 v[15:16], v[24:25], off
	global_load_dwordx2 v[23:24], v[32:33], off
	s_clause 0x2
	global_load_dwordx2 v[18:19], v[18:19], off
	global_load_dwordx2 v[30:31], v[30:31], off
	;; [unrolled: 1-line block ×4, first 2 shown]
	s_waitcnt vmcnt(4)
	v_fma_f64 v[10:11], v[15:16], v[23:24], v[10:11]
	v_add_nc_u32_e32 v16, -8, v14
	s_waitcnt vmcnt(3)
	v_fma_f64 v[12:13], v[18:19], v[23:24], v[12:13]
	s_waitcnt vmcnt(2)
	v_fma_f64 v[7:8], v[30:31], v[23:24], v[8:9]
	v_lshlrev_b64 v[18:19], 3, v[16:17]
	v_add_nc_u32_e32 v16, -1, v14
	v_lshlrev_b64 v[23:24], 3, v[16:17]
	v_add_nc_u32_e32 v16, -14, v14
	v_add_co_u32 v18, vcc_lo, s12, v18
	v_add_co_ci_u32_e64 v19, null, s13, v19, vcc_lo
	v_lshlrev_b64 v[30:31], 3, v[16:17]
	v_add_nc_u32_e32 v16, 6, v22
	v_add_co_u32 v21, vcc_lo, s12, v23
	v_add_co_ci_u32_e64 v22, null, s13, v24, vcc_lo
	v_lshlrev_b64 v[15:16], 3, v[16:17]
	v_add_co_u32 v23, vcc_lo, s12, v30
	v_add_co_ci_u32_e64 v24, null, s13, v31, vcc_lo
	s_waitcnt vmcnt(0)
	v_fma_f64 v[9:10], v[25:26], v[32:33], v[10:11]
	v_add_co_u32 v30, vcc_lo, s14, v15
	v_add_co_ci_u32_e64 v31, null, s15, v16, vcc_lo
	v_add_nc_u32_e32 v16, -7, v14
	v_add_nc_u32_e32 v14, 0x54, v14
	v_lshlrev_b64 v[15:16], 3, v[16:17]
	v_add_co_u32 v15, vcc_lo, s12, v15
	v_add_co_ci_u32_e64 v16, null, s13, v16, vcc_lo
	s_clause 0x2
	global_load_dwordx2 v[25:26], v[36:37], off
	global_load_dwordx2 v[34:35], v[38:39], off
	global_load_dwordx2 v[36:37], v[40:41], off
	global_load_dwordx2 v[38:39], v[42:43], off
	s_clause 0x2
	global_load_dwordx2 v[40:41], v[44:45], off
	global_load_dwordx2 v[42:43], v[46:47], off
	global_load_dwordx2 v[44:45], v[48:49], off
	global_load_dwordx2 v[46:47], v[50:51], off
	;; [unrolled: 5-line block ×5, first 2 shown]
	global_load_dwordx2 v[29:30], v[30:31], off
	global_load_dwordx2 v[15:16], v[15:16], off
	v_cmp_ge_i32_e32 vcc_lo, v6, v20
	s_or_b32 s0, vcc_lo, s0
	s_waitcnt vmcnt(21)
	v_fma_f64 v[11:12], v[25:26], v[32:33], v[12:13]
	s_waitcnt vmcnt(20)
	v_fma_f64 v[7:8], v[34:35], v[32:33], v[7:8]
	;; [unrolled: 2-line block ×16, first 2 shown]
	v_fma_f64 v[8:9], v[27:28], v[29:30], v[7:8]
	s_andn2_b32 exec_lo, exec_lo, s0
	s_cbranch_execnz .LBB62_15
; %bb.16:
	s_or_b32 exec_lo, exec_lo, s0
.LBB62_17:
	s_or_b32 exec_lo, exec_lo, s1
.LBB62_18:
	v_mbcnt_lo_u32_b32 v18, -1, 0
	v_xor_b32_e32 v6, 2, v18
	v_cmp_gt_i32_e32 vcc_lo, 32, v6
	v_cndmask_b32_e32 v6, v18, v6, vcc_lo
	v_lshlrev_b32_e32 v17, 2, v6
	ds_bpermute_b32 v6, v17, v10
	ds_bpermute_b32 v7, v17, v11
	;; [unrolled: 1-line block ×6, first 2 shown]
	s_waitcnt lgkmcnt(4)
	v_add_f64 v[10:11], v[10:11], v[6:7]
	s_waitcnt lgkmcnt(2)
	v_add_f64 v[6:7], v[12:13], v[14:15]
	;; [unrolled: 2-line block ×3, first 2 shown]
	v_xor_b32_e32 v8, 1, v18
	v_cmp_gt_i32_e32 vcc_lo, 32, v8
	v_cndmask_b32_e32 v8, v18, v8, vcc_lo
	v_cmp_eq_u32_e32 vcc_lo, 3, v0
	v_lshlrev_b32_e32 v15, 2, v8
	ds_bpermute_b32 v16, v15, v10
	ds_bpermute_b32 v17, v15, v11
	;; [unrolled: 1-line block ×6, first 2 shown]
	s_and_b32 exec_lo, exec_lo, vcc_lo
	s_cbranch_execz .LBB62_23
; %bb.19:
	s_waitcnt lgkmcnt(4)
	v_add_f64 v[10:11], v[10:11], v[16:17]
	s_waitcnt lgkmcnt(2)
	v_add_f64 v[8:9], v[6:7], v[8:9]
	;; [unrolled: 2-line block ×3, first 2 shown]
	s_load_dwordx2 s[0:1], s[4:5], 0x38
	s_mov_b32 s2, exec_lo
	v_cmpx_eq_f64_e32 0, v[3:4]
	s_xor_b32 s2, exec_lo, s2
	s_cbranch_execz .LBB62_21
; %bb.20:
	v_lshl_add_u32 v0, v5, 1, v5
	v_mul_f64 v[10:11], v[1:2], v[10:11]
	v_mul_f64 v[12:13], v[1:2], v[8:9]
	v_mul_f64 v[2:3], v[1:2], v[6:7]
                                        ; implicit-def: $vgpr5
                                        ; implicit-def: $vgpr8_vgpr9
                                        ; implicit-def: $vgpr6_vgpr7
	v_ashrrev_i32_e32 v1, 31, v0
	v_lshlrev_b64 v[0:1], 3, v[0:1]
	s_waitcnt lgkmcnt(0)
	v_add_co_u32 v0, vcc_lo, s0, v0
	v_add_co_ci_u32_e64 v1, null, s1, v1, vcc_lo
	global_store_dwordx4 v[0:1], v[10:13], off
	global_store_dwordx2 v[0:1], v[2:3], off offset:16
                                        ; implicit-def: $vgpr1_vgpr2
                                        ; implicit-def: $vgpr10_vgpr11
                                        ; implicit-def: $vgpr3_vgpr4
.LBB62_21:
	s_andn2_saveexec_b32 s2, s2
	s_cbranch_execz .LBB62_23
; %bb.22:
	v_lshl_add_u32 v12, v5, 1, v5
	v_mul_f64 v[10:11], v[1:2], v[10:11]
	v_mul_f64 v[8:9], v[1:2], v[8:9]
	;; [unrolled: 1-line block ×3, first 2 shown]
	v_ashrrev_i32_e32 v13, 31, v12
	v_lshlrev_b64 v[12:13], 3, v[12:13]
	s_waitcnt lgkmcnt(0)
	v_add_co_u32 v16, vcc_lo, s0, v12
	v_add_co_ci_u32_e64 v17, null, s1, v13, vcc_lo
	s_clause 0x1
	global_load_dwordx4 v[12:15], v[16:17], off
	global_load_dwordx2 v[18:19], v[16:17], off offset:16
	s_waitcnt vmcnt(1)
	v_fma_f64 v[5:6], v[3:4], v[12:13], v[10:11]
	v_fma_f64 v[7:8], v[3:4], v[14:15], v[8:9]
	s_waitcnt vmcnt(0)
	v_fma_f64 v[0:1], v[3:4], v[18:19], v[0:1]
	global_store_dwordx4 v[16:17], v[5:8], off
	global_store_dwordx2 v[16:17], v[0:1], off offset:16
.LBB62_23:
	s_endpgm
	.section	.rodata,"a",@progbits
	.p2align	6, 0x0
	.amdhsa_kernel _ZN9rocsparseL19gebsrmvn_3xn_kernelILj128ELj7ELj4EdEEvi20rocsparse_direction_NS_24const_host_device_scalarIT2_EEPKiS6_PKS3_S8_S4_PS3_21rocsparse_index_base_b
		.amdhsa_group_segment_fixed_size 0
		.amdhsa_private_segment_fixed_size 0
		.amdhsa_kernarg_size 72
		.amdhsa_user_sgpr_count 6
		.amdhsa_user_sgpr_private_segment_buffer 1
		.amdhsa_user_sgpr_dispatch_ptr 0
		.amdhsa_user_sgpr_queue_ptr 0
		.amdhsa_user_sgpr_kernarg_segment_ptr 1
		.amdhsa_user_sgpr_dispatch_id 0
		.amdhsa_user_sgpr_flat_scratch_init 0
		.amdhsa_user_sgpr_private_segment_size 0
		.amdhsa_wavefront_size32 1
		.amdhsa_uses_dynamic_stack 0
		.amdhsa_system_sgpr_private_segment_wavefront_offset 0
		.amdhsa_system_sgpr_workgroup_id_x 1
		.amdhsa_system_sgpr_workgroup_id_y 0
		.amdhsa_system_sgpr_workgroup_id_z 0
		.amdhsa_system_sgpr_workgroup_info 0
		.amdhsa_system_vgpr_workitem_id 0
		.amdhsa_next_free_vgpr 75
		.amdhsa_next_free_sgpr 16
		.amdhsa_reserve_vcc 1
		.amdhsa_reserve_flat_scratch 0
		.amdhsa_float_round_mode_32 0
		.amdhsa_float_round_mode_16_64 0
		.amdhsa_float_denorm_mode_32 3
		.amdhsa_float_denorm_mode_16_64 3
		.amdhsa_dx10_clamp 1
		.amdhsa_ieee_mode 1
		.amdhsa_fp16_overflow 0
		.amdhsa_workgroup_processor_mode 1
		.amdhsa_memory_ordered 1
		.amdhsa_forward_progress 1
		.amdhsa_shared_vgpr_count 0
		.amdhsa_exception_fp_ieee_invalid_op 0
		.amdhsa_exception_fp_denorm_src 0
		.amdhsa_exception_fp_ieee_div_zero 0
		.amdhsa_exception_fp_ieee_overflow 0
		.amdhsa_exception_fp_ieee_underflow 0
		.amdhsa_exception_fp_ieee_inexact 0
		.amdhsa_exception_int_div_zero 0
	.end_amdhsa_kernel
	.section	.text._ZN9rocsparseL19gebsrmvn_3xn_kernelILj128ELj7ELj4EdEEvi20rocsparse_direction_NS_24const_host_device_scalarIT2_EEPKiS6_PKS3_S8_S4_PS3_21rocsparse_index_base_b,"axG",@progbits,_ZN9rocsparseL19gebsrmvn_3xn_kernelILj128ELj7ELj4EdEEvi20rocsparse_direction_NS_24const_host_device_scalarIT2_EEPKiS6_PKS3_S8_S4_PS3_21rocsparse_index_base_b,comdat
.Lfunc_end62:
	.size	_ZN9rocsparseL19gebsrmvn_3xn_kernelILj128ELj7ELj4EdEEvi20rocsparse_direction_NS_24const_host_device_scalarIT2_EEPKiS6_PKS3_S8_S4_PS3_21rocsparse_index_base_b, .Lfunc_end62-_ZN9rocsparseL19gebsrmvn_3xn_kernelILj128ELj7ELj4EdEEvi20rocsparse_direction_NS_24const_host_device_scalarIT2_EEPKiS6_PKS3_S8_S4_PS3_21rocsparse_index_base_b
                                        ; -- End function
	.set _ZN9rocsparseL19gebsrmvn_3xn_kernelILj128ELj7ELj4EdEEvi20rocsparse_direction_NS_24const_host_device_scalarIT2_EEPKiS6_PKS3_S8_S4_PS3_21rocsparse_index_base_b.num_vgpr, 75
	.set _ZN9rocsparseL19gebsrmvn_3xn_kernelILj128ELj7ELj4EdEEvi20rocsparse_direction_NS_24const_host_device_scalarIT2_EEPKiS6_PKS3_S8_S4_PS3_21rocsparse_index_base_b.num_agpr, 0
	.set _ZN9rocsparseL19gebsrmvn_3xn_kernelILj128ELj7ELj4EdEEvi20rocsparse_direction_NS_24const_host_device_scalarIT2_EEPKiS6_PKS3_S8_S4_PS3_21rocsparse_index_base_b.numbered_sgpr, 16
	.set _ZN9rocsparseL19gebsrmvn_3xn_kernelILj128ELj7ELj4EdEEvi20rocsparse_direction_NS_24const_host_device_scalarIT2_EEPKiS6_PKS3_S8_S4_PS3_21rocsparse_index_base_b.num_named_barrier, 0
	.set _ZN9rocsparseL19gebsrmvn_3xn_kernelILj128ELj7ELj4EdEEvi20rocsparse_direction_NS_24const_host_device_scalarIT2_EEPKiS6_PKS3_S8_S4_PS3_21rocsparse_index_base_b.private_seg_size, 0
	.set _ZN9rocsparseL19gebsrmvn_3xn_kernelILj128ELj7ELj4EdEEvi20rocsparse_direction_NS_24const_host_device_scalarIT2_EEPKiS6_PKS3_S8_S4_PS3_21rocsparse_index_base_b.uses_vcc, 1
	.set _ZN9rocsparseL19gebsrmvn_3xn_kernelILj128ELj7ELj4EdEEvi20rocsparse_direction_NS_24const_host_device_scalarIT2_EEPKiS6_PKS3_S8_S4_PS3_21rocsparse_index_base_b.uses_flat_scratch, 0
	.set _ZN9rocsparseL19gebsrmvn_3xn_kernelILj128ELj7ELj4EdEEvi20rocsparse_direction_NS_24const_host_device_scalarIT2_EEPKiS6_PKS3_S8_S4_PS3_21rocsparse_index_base_b.has_dyn_sized_stack, 0
	.set _ZN9rocsparseL19gebsrmvn_3xn_kernelILj128ELj7ELj4EdEEvi20rocsparse_direction_NS_24const_host_device_scalarIT2_EEPKiS6_PKS3_S8_S4_PS3_21rocsparse_index_base_b.has_recursion, 0
	.set _ZN9rocsparseL19gebsrmvn_3xn_kernelILj128ELj7ELj4EdEEvi20rocsparse_direction_NS_24const_host_device_scalarIT2_EEPKiS6_PKS3_S8_S4_PS3_21rocsparse_index_base_b.has_indirect_call, 0
	.section	.AMDGPU.csdata,"",@progbits
; Kernel info:
; codeLenInByte = 3616
; TotalNumSgprs: 18
; NumVgprs: 75
; ScratchSize: 0
; MemoryBound: 0
; FloatMode: 240
; IeeeMode: 1
; LDSByteSize: 0 bytes/workgroup (compile time only)
; SGPRBlocks: 0
; VGPRBlocks: 9
; NumSGPRsForWavesPerEU: 18
; NumVGPRsForWavesPerEU: 75
; Occupancy: 12
; WaveLimiterHint : 1
; COMPUTE_PGM_RSRC2:SCRATCH_EN: 0
; COMPUTE_PGM_RSRC2:USER_SGPR: 6
; COMPUTE_PGM_RSRC2:TRAP_HANDLER: 0
; COMPUTE_PGM_RSRC2:TGID_X_EN: 1
; COMPUTE_PGM_RSRC2:TGID_Y_EN: 0
; COMPUTE_PGM_RSRC2:TGID_Z_EN: 0
; COMPUTE_PGM_RSRC2:TIDIG_COMP_CNT: 0
	.section	.text._ZN9rocsparseL19gebsrmvn_3xn_kernelILj128ELj7ELj8EdEEvi20rocsparse_direction_NS_24const_host_device_scalarIT2_EEPKiS6_PKS3_S8_S4_PS3_21rocsparse_index_base_b,"axG",@progbits,_ZN9rocsparseL19gebsrmvn_3xn_kernelILj128ELj7ELj8EdEEvi20rocsparse_direction_NS_24const_host_device_scalarIT2_EEPKiS6_PKS3_S8_S4_PS3_21rocsparse_index_base_b,comdat
	.globl	_ZN9rocsparseL19gebsrmvn_3xn_kernelILj128ELj7ELj8EdEEvi20rocsparse_direction_NS_24const_host_device_scalarIT2_EEPKiS6_PKS3_S8_S4_PS3_21rocsparse_index_base_b ; -- Begin function _ZN9rocsparseL19gebsrmvn_3xn_kernelILj128ELj7ELj8EdEEvi20rocsparse_direction_NS_24const_host_device_scalarIT2_EEPKiS6_PKS3_S8_S4_PS3_21rocsparse_index_base_b
	.p2align	8
	.type	_ZN9rocsparseL19gebsrmvn_3xn_kernelILj128ELj7ELj8EdEEvi20rocsparse_direction_NS_24const_host_device_scalarIT2_EEPKiS6_PKS3_S8_S4_PS3_21rocsparse_index_base_b,@function
_ZN9rocsparseL19gebsrmvn_3xn_kernelILj128ELj7ELj8EdEEvi20rocsparse_direction_NS_24const_host_device_scalarIT2_EEPKiS6_PKS3_S8_S4_PS3_21rocsparse_index_base_b: ; @_ZN9rocsparseL19gebsrmvn_3xn_kernelILj128ELj7ELj8EdEEvi20rocsparse_direction_NS_24const_host_device_scalarIT2_EEPKiS6_PKS3_S8_S4_PS3_21rocsparse_index_base_b
; %bb.0:
	s_clause 0x2
	s_load_dwordx2 s[2:3], s[4:5], 0x40
	s_load_dwordx2 s[8:9], s[4:5], 0x8
	;; [unrolled: 1-line block ×3, first 2 shown]
	s_waitcnt lgkmcnt(0)
	s_bitcmp1_b32 s3, 0
	v_mov_b32_e32 v1, s8
	v_mov_b32_e32 v2, s9
	s_cselect_b32 s3, -1, 0
	s_and_b32 vcc_lo, exec_lo, s3
	s_xor_b32 s3, s3, -1
	s_cbranch_vccnz .LBB63_2
; %bb.1:
	v_mov_b32_e32 v1, s8
	v_mov_b32_e32 v2, s9
	flat_load_dwordx2 v[1:2], v[1:2]
.LBB63_2:
	v_mov_b32_e32 v4, s1
	v_mov_b32_e32 v3, s0
	s_andn2_b32 vcc_lo, exec_lo, s3
	s_cbranch_vccnz .LBB63_4
; %bb.3:
	v_mov_b32_e32 v4, s1
	v_mov_b32_e32 v3, s0
	flat_load_dwordx2 v[3:4], v[3:4]
.LBB63_4:
	s_waitcnt vmcnt(0) lgkmcnt(0)
	v_cmp_neq_f64_e32 vcc_lo, 0, v[1:2]
	v_cmp_neq_f64_e64 s0, 1.0, v[3:4]
	s_or_b32 s0, vcc_lo, s0
	s_and_saveexec_b32 s1, s0
	s_cbranch_execz .LBB63_23
; %bb.5:
	s_load_dwordx2 s[0:1], s[4:5], 0x0
	v_lshrrev_b32_e32 v5, 3, v0
	v_lshl_or_b32 v5, s6, 4, v5
	s_waitcnt lgkmcnt(0)
	v_cmp_gt_i32_e32 vcc_lo, s0, v5
	s_and_b32 exec_lo, exec_lo, vcc_lo
	s_cbranch_execz .LBB63_23
; %bb.6:
	s_load_dwordx8 s[8:15], s[4:5], 0x10
	v_ashrrev_i32_e32 v6, 31, v5
	v_and_b32_e32 v0, 7, v0
	s_cmp_lg_u32 s1, 0
	v_lshlrev_b64 v[6:7], 2, v[5:6]
	s_waitcnt lgkmcnt(0)
	v_add_co_u32 v6, vcc_lo, s8, v6
	v_add_co_ci_u32_e64 v7, null, s9, v7, vcc_lo
	global_load_dwordx2 v[6:7], v[6:7], off
	s_waitcnt vmcnt(0)
	v_subrev_nc_u32_e32 v6, s2, v6
	v_subrev_nc_u32_e32 v20, s2, v7
	v_add_nc_u32_e32 v6, v6, v0
	v_cmp_lt_i32_e64 s0, v6, v20
	s_cbranch_scc0 .LBB63_12
; %bb.7:
	v_mov_b32_e32 v10, 0
	v_mov_b32_e32 v8, 0
	;; [unrolled: 1-line block ×6, first 2 shown]
	s_and_saveexec_b32 s1, s0
	s_cbranch_execz .LBB63_11
; %bb.8:
	v_mad_u64_u32 v[14:15], null, v6, 21, 20
	v_mov_b32_e32 v10, 0
	v_mov_b32_e32 v8, 0
	;; [unrolled: 1-line block ×8, first 2 shown]
	s_mov_b32 s3, 0
.LBB63_9:                               ; =>This Inner Loop Header: Depth=1
	v_ashrrev_i32_e32 v19, 31, v18
	v_mov_b32_e32 v22, v17
	v_lshlrev_b64 v[15:16], 2, v[18:19]
	v_add_nc_u32_e32 v18, 8, v18
	v_add_co_u32 v15, vcc_lo, s10, v15
	v_add_co_ci_u32_e64 v16, null, s11, v16, vcc_lo
	global_load_dword v7, v[15:16], off
	v_subrev_nc_u32_e32 v16, 20, v14
	v_mov_b32_e32 v15, v17
	v_lshlrev_b64 v[23:24], 3, v[16:17]
	v_subrev_nc_u32_e32 v16, 19, v14
	v_lshlrev_b64 v[25:26], 3, v[14:15]
	v_lshlrev_b64 v[27:28], 3, v[16:17]
	v_subrev_nc_u32_e32 v16, 18, v14
	v_add_co_u32 v23, vcc_lo, s12, v23
	v_add_co_ci_u32_e64 v24, null, s13, v24, vcc_lo
	v_lshlrev_b64 v[29:30], 3, v[16:17]
	v_subrev_nc_u32_e32 v16, 17, v14
	v_add_co_u32 v25, vcc_lo, s12, v25
	v_add_co_ci_u32_e64 v26, null, s13, v26, vcc_lo
	v_lshlrev_b64 v[15:16], 3, v[16:17]
	v_add_co_u32 v27, vcc_lo, s12, v27
	v_add_co_ci_u32_e64 v28, null, s13, v28, vcc_lo
	v_add_co_u32 v29, vcc_lo, s12, v29
	v_add_co_ci_u32_e64 v30, null, s13, v30, vcc_lo
	;; [unrolled: 2-line block ×3, first 2 shown]
	s_clause 0x3
	global_load_dwordx2 v[23:24], v[23:24], off
	global_load_dwordx2 v[27:28], v[27:28], off
	;; [unrolled: 1-line block ×4, first 2 shown]
	s_waitcnt vmcnt(4)
	v_subrev_nc_u32_e32 v7, s2, v7
	v_mul_lo_u32 v21, v7, 7
	v_lshlrev_b64 v[33:34], 3, v[21:22]
	v_add_nc_u32_e32 v16, 1, v21
	v_lshlrev_b64 v[35:36], 3, v[16:17]
	v_add_co_u32 v33, vcc_lo, s14, v33
	v_add_co_ci_u32_e64 v34, null, s15, v34, vcc_lo
	v_add_nc_u32_e32 v16, -16, v14
	v_add_co_u32 v35, vcc_lo, s14, v35
	global_load_dwordx2 v[33:34], v[33:34], off
	v_add_co_ci_u32_e64 v36, null, s15, v36, vcc_lo
	v_lshlrev_b64 v[37:38], 3, v[16:17]
	v_add_nc_u32_e32 v16, -15, v14
	global_load_dwordx2 v[35:36], v[35:36], off
	v_lshlrev_b64 v[39:40], 3, v[16:17]
	v_add_nc_u32_e32 v16, -14, v14
	v_add_co_u32 v37, vcc_lo, s12, v37
	v_add_co_ci_u32_e64 v38, null, s13, v38, vcc_lo
	v_add_co_u32 v39, vcc_lo, s12, v39
	v_lshlrev_b64 v[41:42], 3, v[16:17]
	v_add_nc_u32_e32 v16, 2, v21
	v_add_co_ci_u32_e64 v40, null, s13, v40, vcc_lo
	global_load_dwordx2 v[37:38], v[37:38], off
	v_lshlrev_b64 v[43:44], 3, v[16:17]
	v_add_nc_u32_e32 v16, -13, v14
	global_load_dwordx2 v[39:40], v[39:40], off
	v_add_co_u32 v41, vcc_lo, s12, v41
	v_add_co_ci_u32_e64 v42, null, s13, v42, vcc_lo
	v_lshlrev_b64 v[45:46], 3, v[16:17]
	v_add_nc_u32_e32 v16, -12, v14
	v_add_co_u32 v43, vcc_lo, s14, v43
	v_add_co_ci_u32_e64 v44, null, s15, v44, vcc_lo
	v_lshlrev_b64 v[47:48], 3, v[16:17]
	v_add_nc_u32_e32 v16, -11, v14
	v_add_co_u32 v45, vcc_lo, s12, v45
	v_add_co_ci_u32_e64 v46, null, s13, v46, vcc_lo
	v_add_co_u32 v47, vcc_lo, s12, v47
	v_lshlrev_b64 v[49:50], 3, v[16:17]
	v_add_nc_u32_e32 v16, 3, v21
	v_add_co_ci_u32_e64 v48, null, s13, v48, vcc_lo
	global_load_dwordx2 v[41:42], v[41:42], off
	global_load_dwordx2 v[43:44], v[43:44], off
	v_lshlrev_b64 v[51:52], 3, v[16:17]
	v_add_nc_u32_e32 v16, -10, v14
	s_clause 0x1
	global_load_dwordx2 v[45:46], v[45:46], off
	global_load_dwordx2 v[47:48], v[47:48], off
	v_add_co_u32 v49, vcc_lo, s12, v49
	v_lshlrev_b64 v[53:54], 3, v[16:17]
	v_add_nc_u32_e32 v16, -9, v14
	v_add_co_ci_u32_e64 v50, null, s13, v50, vcc_lo
	v_add_co_u32 v51, vcc_lo, s14, v51
	v_lshlrev_b64 v[55:56], 3, v[16:17]
	v_add_nc_u32_e32 v16, -8, v14
	v_add_co_ci_u32_e64 v52, null, s15, v52, vcc_lo
	v_add_co_u32 v53, vcc_lo, s12, v53
	v_add_co_ci_u32_e64 v54, null, s13, v54, vcc_lo
	v_add_co_u32 v55, vcc_lo, s12, v55
	v_lshlrev_b64 v[57:58], 3, v[16:17]
	v_add_nc_u32_e32 v16, 4, v21
	v_add_co_ci_u32_e64 v56, null, s13, v56, vcc_lo
	global_load_dwordx2 v[49:50], v[49:50], off
	global_load_dwordx2 v[51:52], v[51:52], off
	v_lshlrev_b64 v[59:60], 3, v[16:17]
	v_add_nc_u32_e32 v16, -7, v14
	s_clause 0x1
	global_load_dwordx2 v[53:54], v[53:54], off
	global_load_dwordx2 v[55:56], v[55:56], off
	v_add_co_u32 v57, vcc_lo, s12, v57
	v_lshlrev_b64 v[61:62], 3, v[16:17]
	v_add_nc_u32_e32 v16, -6, v14
	v_add_co_ci_u32_e64 v58, null, s13, v58, vcc_lo
	v_add_co_u32 v59, vcc_lo, s14, v59
	v_lshlrev_b64 v[63:64], 3, v[16:17]
	v_add_nc_u32_e32 v16, -5, v14
	v_add_co_ci_u32_e64 v60, null, s15, v60, vcc_lo
	v_add_co_u32 v61, vcc_lo, s12, v61
	v_add_co_ci_u32_e64 v62, null, s13, v62, vcc_lo
	v_add_co_u32 v63, vcc_lo, s12, v63
	v_lshlrev_b64 v[65:66], 3, v[16:17]
	v_add_nc_u32_e32 v16, 5, v21
	v_add_co_ci_u32_e64 v64, null, s13, v64, vcc_lo
	global_load_dwordx2 v[57:58], v[57:58], off
	global_load_dwordx2 v[59:60], v[59:60], off
	s_clause 0x1
	global_load_dwordx2 v[61:62], v[61:62], off
	global_load_dwordx2 v[63:64], v[63:64], off
	v_lshlrev_b64 v[67:68], 3, v[16:17]
	v_add_nc_u32_e32 v16, -4, v14
	v_add_co_u32 v65, vcc_lo, s12, v65
	v_add_co_ci_u32_e64 v66, null, s13, v66, vcc_lo
	v_lshlrev_b64 v[69:70], 3, v[16:17]
	v_add_nc_u32_e32 v16, -3, v14
	v_add_co_u32 v67, vcc_lo, s14, v67
	v_add_co_ci_u32_e64 v68, null, s15, v68, vcc_lo
	;; [unrolled: 4-line block ×3, first 2 shown]
	v_add_co_u32 v15, vcc_lo, s12, v71
	v_lshlrev_b64 v[73:74], 3, v[16:17]
	v_add_co_ci_u32_e64 v16, null, s13, v72, vcc_lo
	global_load_dwordx2 v[65:66], v[65:66], off
	global_load_dwordx2 v[67:68], v[67:68], off
	s_clause 0x1
	global_load_dwordx2 v[69:70], v[69:70], off
	global_load_dwordx2 v[71:72], v[15:16], off
	v_add_nc_u32_e32 v16, 6, v21
	v_add_co_u32 v73, vcc_lo, s12, v73
	v_add_co_ci_u32_e64 v74, null, s13, v74, vcc_lo
	v_lshlrev_b64 v[21:22], 3, v[16:17]
	v_add_nc_u32_e32 v16, -1, v14
	v_add_nc_u32_e32 v14, 0xa8, v14
	v_lshlrev_b64 v[15:16], 3, v[16:17]
	v_add_co_u32 v21, vcc_lo, s14, v21
	v_add_co_ci_u32_e64 v22, null, s15, v22, vcc_lo
	v_add_co_u32 v15, vcc_lo, s12, v15
	v_add_co_ci_u32_e64 v16, null, s13, v16, vcc_lo
	s_clause 0x1
	global_load_dwordx2 v[25:26], v[25:26], off
	global_load_dwordx2 v[73:74], v[73:74], off
	;; [unrolled: 1-line block ×4, first 2 shown]
	v_cmp_ge_i32_e32 vcc_lo, v18, v20
	s_or_b32 s3, vcc_lo, s3
	s_waitcnt vmcnt(23)
	v_fma_f64 v[10:11], v[23:24], v[33:34], v[10:11]
	v_fma_f64 v[12:13], v[27:28], v[33:34], v[12:13]
	;; [unrolled: 1-line block ×3, first 2 shown]
	s_waitcnt vmcnt(22)
	v_fma_f64 v[9:10], v[31:32], v[35:36], v[10:11]
	s_waitcnt vmcnt(21)
	v_fma_f64 v[11:12], v[37:38], v[35:36], v[12:13]
	;; [unrolled: 2-line block ×17, first 2 shown]
	v_fma_f64 v[8:9], v[25:26], v[21:22], v[7:8]
	s_andn2_b32 exec_lo, exec_lo, s3
	s_cbranch_execnz .LBB63_9
; %bb.10:
	s_or_b32 exec_lo, exec_lo, s3
.LBB63_11:
	s_or_b32 exec_lo, exec_lo, s1
	s_cbranch_execz .LBB63_13
	s_branch .LBB63_18
.LBB63_12:
                                        ; implicit-def: $vgpr10_vgpr11
                                        ; implicit-def: $vgpr8_vgpr9
                                        ; implicit-def: $vgpr12_vgpr13
.LBB63_13:
	v_mov_b32_e32 v10, 0
	v_mov_b32_e32 v8, 0
	;; [unrolled: 1-line block ×6, first 2 shown]
	s_and_saveexec_b32 s1, s0
	s_cbranch_execz .LBB63_17
; %bb.14:
	v_mad_u64_u32 v[14:15], null, v6, 21, 20
	v_mov_b32_e32 v10, 0
	v_mov_b32_e32 v8, 0
	;; [unrolled: 1-line block ×7, first 2 shown]
	s_mov_b32 s0, 0
.LBB63_15:                              ; =>This Inner Loop Header: Depth=1
	v_ashrrev_i32_e32 v7, 31, v6
	v_subrev_nc_u32_e32 v16, 20, v14
	v_add_nc_u32_e32 v18, -13, v14
	v_mov_b32_e32 v19, v17
	v_add_nc_u32_e32 v21, -6, v14
	v_lshlrev_b64 v[26:27], 2, v[6:7]
	v_mov_b32_e32 v22, v17
	v_lshlrev_b64 v[24:25], 3, v[16:17]
	v_lshlrev_b64 v[18:19], 3, v[18:19]
	v_mov_b32_e32 v15, v17
	v_subrev_nc_u32_e32 v16, 19, v14
	v_add_co_u32 v26, vcc_lo, s10, v26
	v_add_co_ci_u32_e64 v27, null, s11, v27, vcc_lo
	v_lshlrev_b64 v[21:22], 3, v[21:22]
	v_add_co_u32 v24, vcc_lo, s12, v24
	global_load_dword v7, v[26:27], off
	v_add_co_ci_u32_e64 v25, null, s13, v25, vcc_lo
	v_add_co_u32 v18, vcc_lo, s12, v18
	v_lshlrev_b64 v[28:29], 3, v[14:15]
	v_add_co_ci_u32_e64 v19, null, s13, v19, vcc_lo
	v_add_co_u32 v30, vcc_lo, s12, v21
	v_lshlrev_b64 v[15:16], 3, v[16:17]
	v_add_co_ci_u32_e64 v31, null, s13, v22, vcc_lo
	v_add_co_u32 v28, vcc_lo, s12, v28
	v_add_co_ci_u32_e64 v29, null, s13, v29, vcc_lo
	v_add_co_u32 v26, vcc_lo, s12, v15
	v_add_co_ci_u32_e64 v27, null, s13, v16, vcc_lo
	v_mov_b32_e32 v23, v17
	v_add_nc_u32_e32 v6, 8, v6
	s_waitcnt vmcnt(0)
	v_subrev_nc_u32_e32 v7, s2, v7
	v_mul_lo_u32 v22, v7, 7
	v_add_nc_u32_e32 v16, 1, v22
	v_lshlrev_b64 v[32:33], 3, v[22:23]
	v_lshlrev_b64 v[34:35], 3, v[16:17]
	v_add_nc_u32_e32 v16, -12, v14
	v_add_co_u32 v32, vcc_lo, s14, v32
	v_add_co_ci_u32_e64 v33, null, s15, v33, vcc_lo
	v_lshlrev_b64 v[36:37], 3, v[16:17]
	v_add_nc_u32_e32 v16, -5, v14
	v_add_co_u32 v34, vcc_lo, s14, v34
	v_add_co_ci_u32_e64 v35, null, s15, v35, vcc_lo
	v_lshlrev_b64 v[38:39], 3, v[16:17]
	v_subrev_nc_u32_e32 v16, 18, v14
	v_add_co_u32 v36, vcc_lo, s12, v36
	v_add_co_ci_u32_e64 v37, null, s13, v37, vcc_lo
	v_lshlrev_b64 v[40:41], 3, v[16:17]
	v_add_nc_u32_e32 v16, 2, v22
	v_add_co_u32 v38, vcc_lo, s12, v38
	v_add_co_ci_u32_e64 v39, null, s13, v39, vcc_lo
	v_lshlrev_b64 v[42:43], 3, v[16:17]
	v_add_nc_u32_e32 v16, -11, v14
	v_add_co_u32 v40, vcc_lo, s12, v40
	v_add_co_ci_u32_e64 v41, null, s13, v41, vcc_lo
	v_lshlrev_b64 v[44:45], 3, v[16:17]
	v_add_nc_u32_e32 v16, -4, v14
	v_add_co_u32 v42, vcc_lo, s14, v42
	v_add_co_ci_u32_e64 v43, null, s15, v43, vcc_lo
	v_lshlrev_b64 v[46:47], 3, v[16:17]
	v_subrev_nc_u32_e32 v16, 17, v14
	v_add_co_u32 v44, vcc_lo, s12, v44
	v_add_co_ci_u32_e64 v45, null, s13, v45, vcc_lo
	v_lshlrev_b64 v[48:49], 3, v[16:17]
	v_add_nc_u32_e32 v16, 3, v22
	v_add_co_u32 v46, vcc_lo, s12, v46
	v_add_co_ci_u32_e64 v47, null, s13, v47, vcc_lo
	v_lshlrev_b64 v[50:51], 3, v[16:17]
	v_add_nc_u32_e32 v16, -10, v14
	v_add_co_u32 v48, vcc_lo, s12, v48
	v_add_co_ci_u32_e64 v49, null, s13, v49, vcc_lo
	v_lshlrev_b64 v[52:53], 3, v[16:17]
	v_add_nc_u32_e32 v16, -3, v14
	;; [unrolled: 4-line block ×3, first 2 shown]
	v_add_co_u32 v52, vcc_lo, s12, v52
	v_add_co_ci_u32_e64 v53, null, s13, v53, vcc_lo
	v_lshlrev_b64 v[56:57], 3, v[16:17]
	v_add_nc_u32_e32 v16, 4, v22
	v_add_co_u32 v54, vcc_lo, s12, v54
	v_add_co_ci_u32_e64 v55, null, s13, v55, vcc_lo
	v_lshlrev_b64 v[58:59], 3, v[16:17]
	v_add_nc_u32_e32 v16, -9, v14
	v_add_co_u32 v56, vcc_lo, s12, v56
	v_add_co_ci_u32_e64 v57, null, s13, v57, vcc_lo
	v_lshlrev_b64 v[60:61], 3, v[16:17]
	v_add_nc_u32_e32 v16, -2, v14
	;; [unrolled: 4-line block ×3, first 2 shown]
	v_add_co_u32 v60, vcc_lo, s12, v60
	v_add_co_ci_u32_e64 v61, null, s13, v61, vcc_lo
	v_lshlrev_b64 v[15:16], 3, v[16:17]
	v_add_co_u32 v62, vcc_lo, s12, v62
	v_add_co_ci_u32_e64 v63, null, s13, v63, vcc_lo
	v_add_co_u32 v64, vcc_lo, s12, v15
	v_add_co_ci_u32_e64 v65, null, s13, v16, vcc_lo
	v_add_nc_u32_e32 v16, 5, v22
	v_lshlrev_b64 v[15:16], 3, v[16:17]
	v_add_co_u32 v66, vcc_lo, s14, v15
	v_add_co_ci_u32_e64 v67, null, s15, v16, vcc_lo
	global_load_dwordx2 v[15:16], v[24:25], off
	global_load_dwordx2 v[23:24], v[32:33], off
	s_clause 0x2
	global_load_dwordx2 v[18:19], v[18:19], off
	global_load_dwordx2 v[30:31], v[30:31], off
	;; [unrolled: 1-line block ×4, first 2 shown]
	s_waitcnt vmcnt(4)
	v_fma_f64 v[10:11], v[15:16], v[23:24], v[10:11]
	v_add_nc_u32_e32 v16, -8, v14
	s_waitcnt vmcnt(3)
	v_fma_f64 v[12:13], v[18:19], v[23:24], v[12:13]
	s_waitcnt vmcnt(2)
	v_fma_f64 v[7:8], v[30:31], v[23:24], v[8:9]
	v_lshlrev_b64 v[18:19], 3, v[16:17]
	v_add_nc_u32_e32 v16, -1, v14
	v_lshlrev_b64 v[23:24], 3, v[16:17]
	v_add_nc_u32_e32 v16, -14, v14
	v_add_co_u32 v18, vcc_lo, s12, v18
	v_add_co_ci_u32_e64 v19, null, s13, v19, vcc_lo
	v_lshlrev_b64 v[30:31], 3, v[16:17]
	v_add_nc_u32_e32 v16, 6, v22
	v_add_co_u32 v21, vcc_lo, s12, v23
	v_add_co_ci_u32_e64 v22, null, s13, v24, vcc_lo
	v_lshlrev_b64 v[15:16], 3, v[16:17]
	v_add_co_u32 v23, vcc_lo, s12, v30
	v_add_co_ci_u32_e64 v24, null, s13, v31, vcc_lo
	s_waitcnt vmcnt(0)
	v_fma_f64 v[9:10], v[25:26], v[32:33], v[10:11]
	v_add_co_u32 v30, vcc_lo, s14, v15
	v_add_co_ci_u32_e64 v31, null, s15, v16, vcc_lo
	v_add_nc_u32_e32 v16, -7, v14
	v_add_nc_u32_e32 v14, 0xa8, v14
	v_lshlrev_b64 v[15:16], 3, v[16:17]
	v_add_co_u32 v15, vcc_lo, s12, v15
	v_add_co_ci_u32_e64 v16, null, s13, v16, vcc_lo
	s_clause 0x2
	global_load_dwordx2 v[25:26], v[36:37], off
	global_load_dwordx2 v[34:35], v[38:39], off
	global_load_dwordx2 v[36:37], v[40:41], off
	global_load_dwordx2 v[38:39], v[42:43], off
	s_clause 0x2
	global_load_dwordx2 v[40:41], v[44:45], off
	global_load_dwordx2 v[42:43], v[46:47], off
	global_load_dwordx2 v[44:45], v[48:49], off
	global_load_dwordx2 v[46:47], v[50:51], off
	;; [unrolled: 5-line block ×5, first 2 shown]
	global_load_dwordx2 v[29:30], v[30:31], off
	global_load_dwordx2 v[15:16], v[15:16], off
	v_cmp_ge_i32_e32 vcc_lo, v6, v20
	s_or_b32 s0, vcc_lo, s0
	s_waitcnt vmcnt(21)
	v_fma_f64 v[11:12], v[25:26], v[32:33], v[12:13]
	s_waitcnt vmcnt(20)
	v_fma_f64 v[7:8], v[34:35], v[32:33], v[7:8]
	;; [unrolled: 2-line block ×16, first 2 shown]
	v_fma_f64 v[8:9], v[27:28], v[29:30], v[7:8]
	s_andn2_b32 exec_lo, exec_lo, s0
	s_cbranch_execnz .LBB63_15
; %bb.16:
	s_or_b32 exec_lo, exec_lo, s0
.LBB63_17:
	s_or_b32 exec_lo, exec_lo, s1
.LBB63_18:
	v_mbcnt_lo_u32_b32 v18, -1, 0
	v_xor_b32_e32 v6, 4, v18
	v_cmp_gt_i32_e32 vcc_lo, 32, v6
	v_cndmask_b32_e32 v6, v18, v6, vcc_lo
	v_lshlrev_b32_e32 v17, 2, v6
	ds_bpermute_b32 v6, v17, v10
	ds_bpermute_b32 v7, v17, v11
	;; [unrolled: 1-line block ×6, first 2 shown]
	s_waitcnt lgkmcnt(4)
	v_add_f64 v[6:7], v[10:11], v[6:7]
	s_waitcnt lgkmcnt(2)
	v_add_f64 v[10:11], v[12:13], v[14:15]
	;; [unrolled: 2-line block ×3, first 2 shown]
	v_xor_b32_e32 v8, 2, v18
	v_cmp_gt_i32_e32 vcc_lo, 32, v8
	v_cndmask_b32_e32 v8, v18, v8, vcc_lo
	v_lshlrev_b32_e32 v17, 2, v8
	ds_bpermute_b32 v8, v17, v6
	ds_bpermute_b32 v9, v17, v7
	;; [unrolled: 1-line block ×6, first 2 shown]
	s_waitcnt lgkmcnt(4)
	v_add_f64 v[8:9], v[6:7], v[8:9]
	s_waitcnt lgkmcnt(2)
	v_add_f64 v[6:7], v[10:11], v[14:15]
	v_xor_b32_e32 v10, 1, v18
	s_waitcnt lgkmcnt(0)
	v_add_f64 v[12:13], v[12:13], v[16:17]
	v_cmp_gt_i32_e32 vcc_lo, 32, v10
	v_cndmask_b32_e32 v10, v18, v10, vcc_lo
	v_cmp_eq_u32_e32 vcc_lo, 7, v0
	v_lshlrev_b32_e32 v15, 2, v10
	ds_bpermute_b32 v10, v15, v8
	ds_bpermute_b32 v11, v15, v9
	ds_bpermute_b32 v16, v15, v6
	ds_bpermute_b32 v17, v15, v7
	ds_bpermute_b32 v14, v15, v12
	ds_bpermute_b32 v15, v15, v13
	s_and_b32 exec_lo, exec_lo, vcc_lo
	s_cbranch_execz .LBB63_23
; %bb.19:
	s_waitcnt lgkmcnt(4)
	v_add_f64 v[10:11], v[8:9], v[10:11]
	s_waitcnt lgkmcnt(2)
	v_add_f64 v[8:9], v[6:7], v[16:17]
	;; [unrolled: 2-line block ×3, first 2 shown]
	s_load_dwordx2 s[0:1], s[4:5], 0x38
	s_mov_b32 s2, exec_lo
	v_cmpx_eq_f64_e32 0, v[3:4]
	s_xor_b32 s2, exec_lo, s2
	s_cbranch_execz .LBB63_21
; %bb.20:
	v_lshl_add_u32 v0, v5, 1, v5
	v_mul_f64 v[10:11], v[1:2], v[10:11]
	v_mul_f64 v[12:13], v[1:2], v[8:9]
	;; [unrolled: 1-line block ×3, first 2 shown]
                                        ; implicit-def: $vgpr5
                                        ; implicit-def: $vgpr8_vgpr9
                                        ; implicit-def: $vgpr6_vgpr7
	v_ashrrev_i32_e32 v1, 31, v0
	v_lshlrev_b64 v[0:1], 3, v[0:1]
	s_waitcnt lgkmcnt(0)
	v_add_co_u32 v0, vcc_lo, s0, v0
	v_add_co_ci_u32_e64 v1, null, s1, v1, vcc_lo
	global_store_dwordx4 v[0:1], v[10:13], off
	global_store_dwordx2 v[0:1], v[2:3], off offset:16
                                        ; implicit-def: $vgpr1_vgpr2
                                        ; implicit-def: $vgpr10_vgpr11
                                        ; implicit-def: $vgpr3_vgpr4
.LBB63_21:
	s_andn2_saveexec_b32 s2, s2
	s_cbranch_execz .LBB63_23
; %bb.22:
	v_lshl_add_u32 v12, v5, 1, v5
	v_mul_f64 v[10:11], v[1:2], v[10:11]
	v_mul_f64 v[8:9], v[1:2], v[8:9]
	;; [unrolled: 1-line block ×3, first 2 shown]
	v_ashrrev_i32_e32 v13, 31, v12
	v_lshlrev_b64 v[12:13], 3, v[12:13]
	s_waitcnt lgkmcnt(0)
	v_add_co_u32 v16, vcc_lo, s0, v12
	v_add_co_ci_u32_e64 v17, null, s1, v13, vcc_lo
	s_clause 0x1
	global_load_dwordx4 v[12:15], v[16:17], off
	global_load_dwordx2 v[18:19], v[16:17], off offset:16
	s_waitcnt vmcnt(1)
	v_fma_f64 v[5:6], v[3:4], v[12:13], v[10:11]
	v_fma_f64 v[7:8], v[3:4], v[14:15], v[8:9]
	s_waitcnt vmcnt(0)
	v_fma_f64 v[0:1], v[3:4], v[18:19], v[0:1]
	global_store_dwordx4 v[16:17], v[5:8], off
	global_store_dwordx2 v[16:17], v[0:1], off offset:16
.LBB63_23:
	s_endpgm
	.section	.rodata,"a",@progbits
	.p2align	6, 0x0
	.amdhsa_kernel _ZN9rocsparseL19gebsrmvn_3xn_kernelILj128ELj7ELj8EdEEvi20rocsparse_direction_NS_24const_host_device_scalarIT2_EEPKiS6_PKS3_S8_S4_PS3_21rocsparse_index_base_b
		.amdhsa_group_segment_fixed_size 0
		.amdhsa_private_segment_fixed_size 0
		.amdhsa_kernarg_size 72
		.amdhsa_user_sgpr_count 6
		.amdhsa_user_sgpr_private_segment_buffer 1
		.amdhsa_user_sgpr_dispatch_ptr 0
		.amdhsa_user_sgpr_queue_ptr 0
		.amdhsa_user_sgpr_kernarg_segment_ptr 1
		.amdhsa_user_sgpr_dispatch_id 0
		.amdhsa_user_sgpr_flat_scratch_init 0
		.amdhsa_user_sgpr_private_segment_size 0
		.amdhsa_wavefront_size32 1
		.amdhsa_uses_dynamic_stack 0
		.amdhsa_system_sgpr_private_segment_wavefront_offset 0
		.amdhsa_system_sgpr_workgroup_id_x 1
		.amdhsa_system_sgpr_workgroup_id_y 0
		.amdhsa_system_sgpr_workgroup_id_z 0
		.amdhsa_system_sgpr_workgroup_info 0
		.amdhsa_system_vgpr_workitem_id 0
		.amdhsa_next_free_vgpr 75
		.amdhsa_next_free_sgpr 16
		.amdhsa_reserve_vcc 1
		.amdhsa_reserve_flat_scratch 0
		.amdhsa_float_round_mode_32 0
		.amdhsa_float_round_mode_16_64 0
		.amdhsa_float_denorm_mode_32 3
		.amdhsa_float_denorm_mode_16_64 3
		.amdhsa_dx10_clamp 1
		.amdhsa_ieee_mode 1
		.amdhsa_fp16_overflow 0
		.amdhsa_workgroup_processor_mode 1
		.amdhsa_memory_ordered 1
		.amdhsa_forward_progress 1
		.amdhsa_shared_vgpr_count 0
		.amdhsa_exception_fp_ieee_invalid_op 0
		.amdhsa_exception_fp_denorm_src 0
		.amdhsa_exception_fp_ieee_div_zero 0
		.amdhsa_exception_fp_ieee_overflow 0
		.amdhsa_exception_fp_ieee_underflow 0
		.amdhsa_exception_fp_ieee_inexact 0
		.amdhsa_exception_int_div_zero 0
	.end_amdhsa_kernel
	.section	.text._ZN9rocsparseL19gebsrmvn_3xn_kernelILj128ELj7ELj8EdEEvi20rocsparse_direction_NS_24const_host_device_scalarIT2_EEPKiS6_PKS3_S8_S4_PS3_21rocsparse_index_base_b,"axG",@progbits,_ZN9rocsparseL19gebsrmvn_3xn_kernelILj128ELj7ELj8EdEEvi20rocsparse_direction_NS_24const_host_device_scalarIT2_EEPKiS6_PKS3_S8_S4_PS3_21rocsparse_index_base_b,comdat
.Lfunc_end63:
	.size	_ZN9rocsparseL19gebsrmvn_3xn_kernelILj128ELj7ELj8EdEEvi20rocsparse_direction_NS_24const_host_device_scalarIT2_EEPKiS6_PKS3_S8_S4_PS3_21rocsparse_index_base_b, .Lfunc_end63-_ZN9rocsparseL19gebsrmvn_3xn_kernelILj128ELj7ELj8EdEEvi20rocsparse_direction_NS_24const_host_device_scalarIT2_EEPKiS6_PKS3_S8_S4_PS3_21rocsparse_index_base_b
                                        ; -- End function
	.set _ZN9rocsparseL19gebsrmvn_3xn_kernelILj128ELj7ELj8EdEEvi20rocsparse_direction_NS_24const_host_device_scalarIT2_EEPKiS6_PKS3_S8_S4_PS3_21rocsparse_index_base_b.num_vgpr, 75
	.set _ZN9rocsparseL19gebsrmvn_3xn_kernelILj128ELj7ELj8EdEEvi20rocsparse_direction_NS_24const_host_device_scalarIT2_EEPKiS6_PKS3_S8_S4_PS3_21rocsparse_index_base_b.num_agpr, 0
	.set _ZN9rocsparseL19gebsrmvn_3xn_kernelILj128ELj7ELj8EdEEvi20rocsparse_direction_NS_24const_host_device_scalarIT2_EEPKiS6_PKS3_S8_S4_PS3_21rocsparse_index_base_b.numbered_sgpr, 16
	.set _ZN9rocsparseL19gebsrmvn_3xn_kernelILj128ELj7ELj8EdEEvi20rocsparse_direction_NS_24const_host_device_scalarIT2_EEPKiS6_PKS3_S8_S4_PS3_21rocsparse_index_base_b.num_named_barrier, 0
	.set _ZN9rocsparseL19gebsrmvn_3xn_kernelILj128ELj7ELj8EdEEvi20rocsparse_direction_NS_24const_host_device_scalarIT2_EEPKiS6_PKS3_S8_S4_PS3_21rocsparse_index_base_b.private_seg_size, 0
	.set _ZN9rocsparseL19gebsrmvn_3xn_kernelILj128ELj7ELj8EdEEvi20rocsparse_direction_NS_24const_host_device_scalarIT2_EEPKiS6_PKS3_S8_S4_PS3_21rocsparse_index_base_b.uses_vcc, 1
	.set _ZN9rocsparseL19gebsrmvn_3xn_kernelILj128ELj7ELj8EdEEvi20rocsparse_direction_NS_24const_host_device_scalarIT2_EEPKiS6_PKS3_S8_S4_PS3_21rocsparse_index_base_b.uses_flat_scratch, 0
	.set _ZN9rocsparseL19gebsrmvn_3xn_kernelILj128ELj7ELj8EdEEvi20rocsparse_direction_NS_24const_host_device_scalarIT2_EEPKiS6_PKS3_S8_S4_PS3_21rocsparse_index_base_b.has_dyn_sized_stack, 0
	.set _ZN9rocsparseL19gebsrmvn_3xn_kernelILj128ELj7ELj8EdEEvi20rocsparse_direction_NS_24const_host_device_scalarIT2_EEPKiS6_PKS3_S8_S4_PS3_21rocsparse_index_base_b.has_recursion, 0
	.set _ZN9rocsparseL19gebsrmvn_3xn_kernelILj128ELj7ELj8EdEEvi20rocsparse_direction_NS_24const_host_device_scalarIT2_EEPKiS6_PKS3_S8_S4_PS3_21rocsparse_index_base_b.has_indirect_call, 0
	.section	.AMDGPU.csdata,"",@progbits
; Kernel info:
; codeLenInByte = 3716
; TotalNumSgprs: 18
; NumVgprs: 75
; ScratchSize: 0
; MemoryBound: 0
; FloatMode: 240
; IeeeMode: 1
; LDSByteSize: 0 bytes/workgroup (compile time only)
; SGPRBlocks: 0
; VGPRBlocks: 9
; NumSGPRsForWavesPerEU: 18
; NumVGPRsForWavesPerEU: 75
; Occupancy: 12
; WaveLimiterHint : 1
; COMPUTE_PGM_RSRC2:SCRATCH_EN: 0
; COMPUTE_PGM_RSRC2:USER_SGPR: 6
; COMPUTE_PGM_RSRC2:TRAP_HANDLER: 0
; COMPUTE_PGM_RSRC2:TGID_X_EN: 1
; COMPUTE_PGM_RSRC2:TGID_Y_EN: 0
; COMPUTE_PGM_RSRC2:TGID_Z_EN: 0
; COMPUTE_PGM_RSRC2:TIDIG_COMP_CNT: 0
	.section	.text._ZN9rocsparseL19gebsrmvn_3xn_kernelILj128ELj7ELj16EdEEvi20rocsparse_direction_NS_24const_host_device_scalarIT2_EEPKiS6_PKS3_S8_S4_PS3_21rocsparse_index_base_b,"axG",@progbits,_ZN9rocsparseL19gebsrmvn_3xn_kernelILj128ELj7ELj16EdEEvi20rocsparse_direction_NS_24const_host_device_scalarIT2_EEPKiS6_PKS3_S8_S4_PS3_21rocsparse_index_base_b,comdat
	.globl	_ZN9rocsparseL19gebsrmvn_3xn_kernelILj128ELj7ELj16EdEEvi20rocsparse_direction_NS_24const_host_device_scalarIT2_EEPKiS6_PKS3_S8_S4_PS3_21rocsparse_index_base_b ; -- Begin function _ZN9rocsparseL19gebsrmvn_3xn_kernelILj128ELj7ELj16EdEEvi20rocsparse_direction_NS_24const_host_device_scalarIT2_EEPKiS6_PKS3_S8_S4_PS3_21rocsparse_index_base_b
	.p2align	8
	.type	_ZN9rocsparseL19gebsrmvn_3xn_kernelILj128ELj7ELj16EdEEvi20rocsparse_direction_NS_24const_host_device_scalarIT2_EEPKiS6_PKS3_S8_S4_PS3_21rocsparse_index_base_b,@function
_ZN9rocsparseL19gebsrmvn_3xn_kernelILj128ELj7ELj16EdEEvi20rocsparse_direction_NS_24const_host_device_scalarIT2_EEPKiS6_PKS3_S8_S4_PS3_21rocsparse_index_base_b: ; @_ZN9rocsparseL19gebsrmvn_3xn_kernelILj128ELj7ELj16EdEEvi20rocsparse_direction_NS_24const_host_device_scalarIT2_EEPKiS6_PKS3_S8_S4_PS3_21rocsparse_index_base_b
; %bb.0:
	s_clause 0x2
	s_load_dwordx2 s[2:3], s[4:5], 0x40
	s_load_dwordx2 s[8:9], s[4:5], 0x8
	s_load_dwordx2 s[0:1], s[4:5], 0x30
	s_waitcnt lgkmcnt(0)
	s_bitcmp1_b32 s3, 0
	v_mov_b32_e32 v1, s8
	v_mov_b32_e32 v2, s9
	s_cselect_b32 s3, -1, 0
	s_and_b32 vcc_lo, exec_lo, s3
	s_xor_b32 s3, s3, -1
	s_cbranch_vccnz .LBB64_2
; %bb.1:
	v_mov_b32_e32 v1, s8
	v_mov_b32_e32 v2, s9
	flat_load_dwordx2 v[1:2], v[1:2]
.LBB64_2:
	v_mov_b32_e32 v4, s1
	v_mov_b32_e32 v3, s0
	s_andn2_b32 vcc_lo, exec_lo, s3
	s_cbranch_vccnz .LBB64_4
; %bb.3:
	v_mov_b32_e32 v4, s1
	v_mov_b32_e32 v3, s0
	flat_load_dwordx2 v[3:4], v[3:4]
.LBB64_4:
	s_waitcnt vmcnt(0) lgkmcnt(0)
	v_cmp_neq_f64_e32 vcc_lo, 0, v[1:2]
	v_cmp_neq_f64_e64 s0, 1.0, v[3:4]
	s_or_b32 s0, vcc_lo, s0
	s_and_saveexec_b32 s1, s0
	s_cbranch_execz .LBB64_23
; %bb.5:
	s_load_dwordx2 s[0:1], s[4:5], 0x0
	v_lshrrev_b32_e32 v5, 4, v0
	v_lshl_or_b32 v5, s6, 3, v5
	s_waitcnt lgkmcnt(0)
	v_cmp_gt_i32_e32 vcc_lo, s0, v5
	s_and_b32 exec_lo, exec_lo, vcc_lo
	s_cbranch_execz .LBB64_23
; %bb.6:
	s_load_dwordx8 s[8:15], s[4:5], 0x10
	v_ashrrev_i32_e32 v6, 31, v5
	v_and_b32_e32 v0, 15, v0
	s_cmp_lg_u32 s1, 0
	v_lshlrev_b64 v[6:7], 2, v[5:6]
	s_waitcnt lgkmcnt(0)
	v_add_co_u32 v6, vcc_lo, s8, v6
	v_add_co_ci_u32_e64 v7, null, s9, v7, vcc_lo
	global_load_dwordx2 v[6:7], v[6:7], off
	s_waitcnt vmcnt(0)
	v_subrev_nc_u32_e32 v6, s2, v6
	v_subrev_nc_u32_e32 v20, s2, v7
	v_add_nc_u32_e32 v6, v6, v0
	v_cmp_lt_i32_e64 s0, v6, v20
	s_cbranch_scc0 .LBB64_12
; %bb.7:
	v_mov_b32_e32 v10, 0
	v_mov_b32_e32 v8, 0
	;; [unrolled: 1-line block ×6, first 2 shown]
	s_and_saveexec_b32 s1, s0
	s_cbranch_execz .LBB64_11
; %bb.8:
	v_mad_u64_u32 v[14:15], null, v6, 21, 20
	v_mov_b32_e32 v10, 0
	v_mov_b32_e32 v8, 0
	;; [unrolled: 1-line block ×8, first 2 shown]
	s_mov_b32 s3, 0
.LBB64_9:                               ; =>This Inner Loop Header: Depth=1
	v_ashrrev_i32_e32 v19, 31, v18
	v_mov_b32_e32 v22, v17
	v_lshlrev_b64 v[15:16], 2, v[18:19]
	v_add_nc_u32_e32 v18, 16, v18
	v_add_co_u32 v15, vcc_lo, s10, v15
	v_add_co_ci_u32_e64 v16, null, s11, v16, vcc_lo
	global_load_dword v7, v[15:16], off
	v_subrev_nc_u32_e32 v16, 20, v14
	v_mov_b32_e32 v15, v17
	v_lshlrev_b64 v[23:24], 3, v[16:17]
	v_subrev_nc_u32_e32 v16, 19, v14
	v_lshlrev_b64 v[25:26], 3, v[14:15]
	v_lshlrev_b64 v[27:28], 3, v[16:17]
	v_subrev_nc_u32_e32 v16, 18, v14
	v_add_co_u32 v23, vcc_lo, s12, v23
	v_add_co_ci_u32_e64 v24, null, s13, v24, vcc_lo
	v_lshlrev_b64 v[29:30], 3, v[16:17]
	v_subrev_nc_u32_e32 v16, 17, v14
	v_add_co_u32 v25, vcc_lo, s12, v25
	v_add_co_ci_u32_e64 v26, null, s13, v26, vcc_lo
	v_lshlrev_b64 v[15:16], 3, v[16:17]
	v_add_co_u32 v27, vcc_lo, s12, v27
	v_add_co_ci_u32_e64 v28, null, s13, v28, vcc_lo
	v_add_co_u32 v29, vcc_lo, s12, v29
	v_add_co_ci_u32_e64 v30, null, s13, v30, vcc_lo
	;; [unrolled: 2-line block ×3, first 2 shown]
	s_clause 0x3
	global_load_dwordx2 v[23:24], v[23:24], off
	global_load_dwordx2 v[27:28], v[27:28], off
	;; [unrolled: 1-line block ×4, first 2 shown]
	s_waitcnt vmcnt(4)
	v_subrev_nc_u32_e32 v7, s2, v7
	v_mul_lo_u32 v21, v7, 7
	v_lshlrev_b64 v[33:34], 3, v[21:22]
	v_add_nc_u32_e32 v16, 1, v21
	v_lshlrev_b64 v[35:36], 3, v[16:17]
	v_add_co_u32 v33, vcc_lo, s14, v33
	v_add_co_ci_u32_e64 v34, null, s15, v34, vcc_lo
	v_add_nc_u32_e32 v16, -16, v14
	v_add_co_u32 v35, vcc_lo, s14, v35
	global_load_dwordx2 v[33:34], v[33:34], off
	v_add_co_ci_u32_e64 v36, null, s15, v36, vcc_lo
	v_lshlrev_b64 v[37:38], 3, v[16:17]
	v_add_nc_u32_e32 v16, -15, v14
	global_load_dwordx2 v[35:36], v[35:36], off
	v_lshlrev_b64 v[39:40], 3, v[16:17]
	v_add_nc_u32_e32 v16, -14, v14
	v_add_co_u32 v37, vcc_lo, s12, v37
	v_add_co_ci_u32_e64 v38, null, s13, v38, vcc_lo
	v_add_co_u32 v39, vcc_lo, s12, v39
	v_lshlrev_b64 v[41:42], 3, v[16:17]
	v_add_nc_u32_e32 v16, 2, v21
	v_add_co_ci_u32_e64 v40, null, s13, v40, vcc_lo
	global_load_dwordx2 v[37:38], v[37:38], off
	v_lshlrev_b64 v[43:44], 3, v[16:17]
	v_add_nc_u32_e32 v16, -13, v14
	global_load_dwordx2 v[39:40], v[39:40], off
	v_add_co_u32 v41, vcc_lo, s12, v41
	v_add_co_ci_u32_e64 v42, null, s13, v42, vcc_lo
	v_lshlrev_b64 v[45:46], 3, v[16:17]
	v_add_nc_u32_e32 v16, -12, v14
	v_add_co_u32 v43, vcc_lo, s14, v43
	v_add_co_ci_u32_e64 v44, null, s15, v44, vcc_lo
	v_lshlrev_b64 v[47:48], 3, v[16:17]
	v_add_nc_u32_e32 v16, -11, v14
	v_add_co_u32 v45, vcc_lo, s12, v45
	v_add_co_ci_u32_e64 v46, null, s13, v46, vcc_lo
	v_add_co_u32 v47, vcc_lo, s12, v47
	v_lshlrev_b64 v[49:50], 3, v[16:17]
	v_add_nc_u32_e32 v16, 3, v21
	v_add_co_ci_u32_e64 v48, null, s13, v48, vcc_lo
	global_load_dwordx2 v[41:42], v[41:42], off
	global_load_dwordx2 v[43:44], v[43:44], off
	v_lshlrev_b64 v[51:52], 3, v[16:17]
	v_add_nc_u32_e32 v16, -10, v14
	s_clause 0x1
	global_load_dwordx2 v[45:46], v[45:46], off
	global_load_dwordx2 v[47:48], v[47:48], off
	v_add_co_u32 v49, vcc_lo, s12, v49
	v_lshlrev_b64 v[53:54], 3, v[16:17]
	v_add_nc_u32_e32 v16, -9, v14
	v_add_co_ci_u32_e64 v50, null, s13, v50, vcc_lo
	v_add_co_u32 v51, vcc_lo, s14, v51
	v_lshlrev_b64 v[55:56], 3, v[16:17]
	v_add_nc_u32_e32 v16, -8, v14
	v_add_co_ci_u32_e64 v52, null, s15, v52, vcc_lo
	v_add_co_u32 v53, vcc_lo, s12, v53
	v_add_co_ci_u32_e64 v54, null, s13, v54, vcc_lo
	v_add_co_u32 v55, vcc_lo, s12, v55
	v_lshlrev_b64 v[57:58], 3, v[16:17]
	v_add_nc_u32_e32 v16, 4, v21
	v_add_co_ci_u32_e64 v56, null, s13, v56, vcc_lo
	global_load_dwordx2 v[49:50], v[49:50], off
	global_load_dwordx2 v[51:52], v[51:52], off
	v_lshlrev_b64 v[59:60], 3, v[16:17]
	v_add_nc_u32_e32 v16, -7, v14
	s_clause 0x1
	global_load_dwordx2 v[53:54], v[53:54], off
	global_load_dwordx2 v[55:56], v[55:56], off
	v_add_co_u32 v57, vcc_lo, s12, v57
	v_lshlrev_b64 v[61:62], 3, v[16:17]
	v_add_nc_u32_e32 v16, -6, v14
	v_add_co_ci_u32_e64 v58, null, s13, v58, vcc_lo
	v_add_co_u32 v59, vcc_lo, s14, v59
	v_lshlrev_b64 v[63:64], 3, v[16:17]
	v_add_nc_u32_e32 v16, -5, v14
	v_add_co_ci_u32_e64 v60, null, s15, v60, vcc_lo
	v_add_co_u32 v61, vcc_lo, s12, v61
	v_add_co_ci_u32_e64 v62, null, s13, v62, vcc_lo
	v_add_co_u32 v63, vcc_lo, s12, v63
	v_lshlrev_b64 v[65:66], 3, v[16:17]
	v_add_nc_u32_e32 v16, 5, v21
	v_add_co_ci_u32_e64 v64, null, s13, v64, vcc_lo
	global_load_dwordx2 v[57:58], v[57:58], off
	global_load_dwordx2 v[59:60], v[59:60], off
	s_clause 0x1
	global_load_dwordx2 v[61:62], v[61:62], off
	global_load_dwordx2 v[63:64], v[63:64], off
	v_lshlrev_b64 v[67:68], 3, v[16:17]
	v_add_nc_u32_e32 v16, -4, v14
	v_add_co_u32 v65, vcc_lo, s12, v65
	v_add_co_ci_u32_e64 v66, null, s13, v66, vcc_lo
	v_lshlrev_b64 v[69:70], 3, v[16:17]
	v_add_nc_u32_e32 v16, -3, v14
	v_add_co_u32 v67, vcc_lo, s14, v67
	v_add_co_ci_u32_e64 v68, null, s15, v68, vcc_lo
	;; [unrolled: 4-line block ×3, first 2 shown]
	v_add_co_u32 v15, vcc_lo, s12, v71
	v_lshlrev_b64 v[73:74], 3, v[16:17]
	v_add_co_ci_u32_e64 v16, null, s13, v72, vcc_lo
	global_load_dwordx2 v[65:66], v[65:66], off
	global_load_dwordx2 v[67:68], v[67:68], off
	s_clause 0x1
	global_load_dwordx2 v[69:70], v[69:70], off
	global_load_dwordx2 v[71:72], v[15:16], off
	v_add_nc_u32_e32 v16, 6, v21
	v_add_co_u32 v73, vcc_lo, s12, v73
	v_add_co_ci_u32_e64 v74, null, s13, v74, vcc_lo
	v_lshlrev_b64 v[21:22], 3, v[16:17]
	v_add_nc_u32_e32 v16, -1, v14
	v_add_nc_u32_e32 v14, 0x150, v14
	v_lshlrev_b64 v[15:16], 3, v[16:17]
	v_add_co_u32 v21, vcc_lo, s14, v21
	v_add_co_ci_u32_e64 v22, null, s15, v22, vcc_lo
	v_add_co_u32 v15, vcc_lo, s12, v15
	v_add_co_ci_u32_e64 v16, null, s13, v16, vcc_lo
	s_clause 0x1
	global_load_dwordx2 v[25:26], v[25:26], off
	global_load_dwordx2 v[73:74], v[73:74], off
	;; [unrolled: 1-line block ×4, first 2 shown]
	v_cmp_ge_i32_e32 vcc_lo, v18, v20
	s_or_b32 s3, vcc_lo, s3
	s_waitcnt vmcnt(23)
	v_fma_f64 v[10:11], v[23:24], v[33:34], v[10:11]
	v_fma_f64 v[12:13], v[27:28], v[33:34], v[12:13]
	;; [unrolled: 1-line block ×3, first 2 shown]
	s_waitcnt vmcnt(22)
	v_fma_f64 v[9:10], v[31:32], v[35:36], v[10:11]
	s_waitcnt vmcnt(21)
	v_fma_f64 v[11:12], v[37:38], v[35:36], v[12:13]
	;; [unrolled: 2-line block ×17, first 2 shown]
	v_fma_f64 v[8:9], v[25:26], v[21:22], v[7:8]
	s_andn2_b32 exec_lo, exec_lo, s3
	s_cbranch_execnz .LBB64_9
; %bb.10:
	s_or_b32 exec_lo, exec_lo, s3
.LBB64_11:
	s_or_b32 exec_lo, exec_lo, s1
	s_cbranch_execz .LBB64_13
	s_branch .LBB64_18
.LBB64_12:
                                        ; implicit-def: $vgpr10_vgpr11
                                        ; implicit-def: $vgpr8_vgpr9
                                        ; implicit-def: $vgpr12_vgpr13
.LBB64_13:
	v_mov_b32_e32 v10, 0
	v_mov_b32_e32 v8, 0
	v_mov_b32_e32 v12, 0
	v_mov_b32_e32 v11, 0
	v_mov_b32_e32 v9, 0
	v_mov_b32_e32 v13, 0
	s_and_saveexec_b32 s1, s0
	s_cbranch_execz .LBB64_17
; %bb.14:
	v_mad_u64_u32 v[14:15], null, v6, 21, 20
	v_mov_b32_e32 v10, 0
	v_mov_b32_e32 v8, 0
	;; [unrolled: 1-line block ×7, first 2 shown]
	s_mov_b32 s0, 0
.LBB64_15:                              ; =>This Inner Loop Header: Depth=1
	v_ashrrev_i32_e32 v7, 31, v6
	v_subrev_nc_u32_e32 v16, 20, v14
	v_add_nc_u32_e32 v18, -13, v14
	v_mov_b32_e32 v19, v17
	v_add_nc_u32_e32 v21, -6, v14
	v_lshlrev_b64 v[26:27], 2, v[6:7]
	v_mov_b32_e32 v22, v17
	v_lshlrev_b64 v[24:25], 3, v[16:17]
	v_lshlrev_b64 v[18:19], 3, v[18:19]
	v_mov_b32_e32 v15, v17
	v_subrev_nc_u32_e32 v16, 19, v14
	v_add_co_u32 v26, vcc_lo, s10, v26
	v_add_co_ci_u32_e64 v27, null, s11, v27, vcc_lo
	v_lshlrev_b64 v[21:22], 3, v[21:22]
	v_add_co_u32 v24, vcc_lo, s12, v24
	global_load_dword v7, v[26:27], off
	v_add_co_ci_u32_e64 v25, null, s13, v25, vcc_lo
	v_add_co_u32 v18, vcc_lo, s12, v18
	v_lshlrev_b64 v[28:29], 3, v[14:15]
	v_add_co_ci_u32_e64 v19, null, s13, v19, vcc_lo
	v_add_co_u32 v30, vcc_lo, s12, v21
	v_lshlrev_b64 v[15:16], 3, v[16:17]
	v_add_co_ci_u32_e64 v31, null, s13, v22, vcc_lo
	v_add_co_u32 v28, vcc_lo, s12, v28
	v_add_co_ci_u32_e64 v29, null, s13, v29, vcc_lo
	v_add_co_u32 v26, vcc_lo, s12, v15
	v_add_co_ci_u32_e64 v27, null, s13, v16, vcc_lo
	v_mov_b32_e32 v23, v17
	v_add_nc_u32_e32 v6, 16, v6
	s_waitcnt vmcnt(0)
	v_subrev_nc_u32_e32 v7, s2, v7
	v_mul_lo_u32 v22, v7, 7
	v_add_nc_u32_e32 v16, 1, v22
	v_lshlrev_b64 v[32:33], 3, v[22:23]
	v_lshlrev_b64 v[34:35], 3, v[16:17]
	v_add_nc_u32_e32 v16, -12, v14
	v_add_co_u32 v32, vcc_lo, s14, v32
	v_add_co_ci_u32_e64 v33, null, s15, v33, vcc_lo
	v_lshlrev_b64 v[36:37], 3, v[16:17]
	v_add_nc_u32_e32 v16, -5, v14
	v_add_co_u32 v34, vcc_lo, s14, v34
	v_add_co_ci_u32_e64 v35, null, s15, v35, vcc_lo
	v_lshlrev_b64 v[38:39], 3, v[16:17]
	v_subrev_nc_u32_e32 v16, 18, v14
	v_add_co_u32 v36, vcc_lo, s12, v36
	v_add_co_ci_u32_e64 v37, null, s13, v37, vcc_lo
	v_lshlrev_b64 v[40:41], 3, v[16:17]
	v_add_nc_u32_e32 v16, 2, v22
	v_add_co_u32 v38, vcc_lo, s12, v38
	v_add_co_ci_u32_e64 v39, null, s13, v39, vcc_lo
	v_lshlrev_b64 v[42:43], 3, v[16:17]
	v_add_nc_u32_e32 v16, -11, v14
	v_add_co_u32 v40, vcc_lo, s12, v40
	v_add_co_ci_u32_e64 v41, null, s13, v41, vcc_lo
	v_lshlrev_b64 v[44:45], 3, v[16:17]
	v_add_nc_u32_e32 v16, -4, v14
	v_add_co_u32 v42, vcc_lo, s14, v42
	v_add_co_ci_u32_e64 v43, null, s15, v43, vcc_lo
	v_lshlrev_b64 v[46:47], 3, v[16:17]
	v_subrev_nc_u32_e32 v16, 17, v14
	v_add_co_u32 v44, vcc_lo, s12, v44
	v_add_co_ci_u32_e64 v45, null, s13, v45, vcc_lo
	v_lshlrev_b64 v[48:49], 3, v[16:17]
	v_add_nc_u32_e32 v16, 3, v22
	v_add_co_u32 v46, vcc_lo, s12, v46
	v_add_co_ci_u32_e64 v47, null, s13, v47, vcc_lo
	v_lshlrev_b64 v[50:51], 3, v[16:17]
	v_add_nc_u32_e32 v16, -10, v14
	v_add_co_u32 v48, vcc_lo, s12, v48
	v_add_co_ci_u32_e64 v49, null, s13, v49, vcc_lo
	v_lshlrev_b64 v[52:53], 3, v[16:17]
	v_add_nc_u32_e32 v16, -3, v14
	;; [unrolled: 4-line block ×3, first 2 shown]
	v_add_co_u32 v52, vcc_lo, s12, v52
	v_add_co_ci_u32_e64 v53, null, s13, v53, vcc_lo
	v_lshlrev_b64 v[56:57], 3, v[16:17]
	v_add_nc_u32_e32 v16, 4, v22
	v_add_co_u32 v54, vcc_lo, s12, v54
	v_add_co_ci_u32_e64 v55, null, s13, v55, vcc_lo
	v_lshlrev_b64 v[58:59], 3, v[16:17]
	v_add_nc_u32_e32 v16, -9, v14
	v_add_co_u32 v56, vcc_lo, s12, v56
	v_add_co_ci_u32_e64 v57, null, s13, v57, vcc_lo
	v_lshlrev_b64 v[60:61], 3, v[16:17]
	v_add_nc_u32_e32 v16, -2, v14
	;; [unrolled: 4-line block ×3, first 2 shown]
	v_add_co_u32 v60, vcc_lo, s12, v60
	v_add_co_ci_u32_e64 v61, null, s13, v61, vcc_lo
	v_lshlrev_b64 v[15:16], 3, v[16:17]
	v_add_co_u32 v62, vcc_lo, s12, v62
	v_add_co_ci_u32_e64 v63, null, s13, v63, vcc_lo
	v_add_co_u32 v64, vcc_lo, s12, v15
	v_add_co_ci_u32_e64 v65, null, s13, v16, vcc_lo
	v_add_nc_u32_e32 v16, 5, v22
	v_lshlrev_b64 v[15:16], 3, v[16:17]
	v_add_co_u32 v66, vcc_lo, s14, v15
	v_add_co_ci_u32_e64 v67, null, s15, v16, vcc_lo
	global_load_dwordx2 v[15:16], v[24:25], off
	global_load_dwordx2 v[23:24], v[32:33], off
	s_clause 0x2
	global_load_dwordx2 v[18:19], v[18:19], off
	global_load_dwordx2 v[30:31], v[30:31], off
	;; [unrolled: 1-line block ×4, first 2 shown]
	s_waitcnt vmcnt(4)
	v_fma_f64 v[10:11], v[15:16], v[23:24], v[10:11]
	v_add_nc_u32_e32 v16, -8, v14
	s_waitcnt vmcnt(3)
	v_fma_f64 v[12:13], v[18:19], v[23:24], v[12:13]
	s_waitcnt vmcnt(2)
	v_fma_f64 v[7:8], v[30:31], v[23:24], v[8:9]
	v_lshlrev_b64 v[18:19], 3, v[16:17]
	v_add_nc_u32_e32 v16, -1, v14
	v_lshlrev_b64 v[23:24], 3, v[16:17]
	v_add_nc_u32_e32 v16, -14, v14
	v_add_co_u32 v18, vcc_lo, s12, v18
	v_add_co_ci_u32_e64 v19, null, s13, v19, vcc_lo
	v_lshlrev_b64 v[30:31], 3, v[16:17]
	v_add_nc_u32_e32 v16, 6, v22
	v_add_co_u32 v21, vcc_lo, s12, v23
	v_add_co_ci_u32_e64 v22, null, s13, v24, vcc_lo
	v_lshlrev_b64 v[15:16], 3, v[16:17]
	v_add_co_u32 v23, vcc_lo, s12, v30
	v_add_co_ci_u32_e64 v24, null, s13, v31, vcc_lo
	s_waitcnt vmcnt(0)
	v_fma_f64 v[9:10], v[25:26], v[32:33], v[10:11]
	v_add_co_u32 v30, vcc_lo, s14, v15
	v_add_co_ci_u32_e64 v31, null, s15, v16, vcc_lo
	v_add_nc_u32_e32 v16, -7, v14
	v_add_nc_u32_e32 v14, 0x150, v14
	v_lshlrev_b64 v[15:16], 3, v[16:17]
	v_add_co_u32 v15, vcc_lo, s12, v15
	v_add_co_ci_u32_e64 v16, null, s13, v16, vcc_lo
	s_clause 0x2
	global_load_dwordx2 v[25:26], v[36:37], off
	global_load_dwordx2 v[34:35], v[38:39], off
	global_load_dwordx2 v[36:37], v[40:41], off
	global_load_dwordx2 v[38:39], v[42:43], off
	s_clause 0x2
	global_load_dwordx2 v[40:41], v[44:45], off
	global_load_dwordx2 v[42:43], v[46:47], off
	global_load_dwordx2 v[44:45], v[48:49], off
	global_load_dwordx2 v[46:47], v[50:51], off
	;; [unrolled: 5-line block ×5, first 2 shown]
	global_load_dwordx2 v[29:30], v[30:31], off
	global_load_dwordx2 v[15:16], v[15:16], off
	v_cmp_ge_i32_e32 vcc_lo, v6, v20
	s_or_b32 s0, vcc_lo, s0
	s_waitcnt vmcnt(21)
	v_fma_f64 v[11:12], v[25:26], v[32:33], v[12:13]
	s_waitcnt vmcnt(20)
	v_fma_f64 v[7:8], v[34:35], v[32:33], v[7:8]
	;; [unrolled: 2-line block ×16, first 2 shown]
	v_fma_f64 v[8:9], v[27:28], v[29:30], v[7:8]
	s_andn2_b32 exec_lo, exec_lo, s0
	s_cbranch_execnz .LBB64_15
; %bb.16:
	s_or_b32 exec_lo, exec_lo, s0
.LBB64_17:
	s_or_b32 exec_lo, exec_lo, s1
.LBB64_18:
	v_mbcnt_lo_u32_b32 v18, -1, 0
	v_xor_b32_e32 v6, 8, v18
	v_cmp_gt_i32_e32 vcc_lo, 32, v6
	v_cndmask_b32_e32 v6, v18, v6, vcc_lo
	v_lshlrev_b32_e32 v17, 2, v6
	ds_bpermute_b32 v6, v17, v10
	ds_bpermute_b32 v7, v17, v11
	ds_bpermute_b32 v14, v17, v12
	ds_bpermute_b32 v15, v17, v13
	ds_bpermute_b32 v16, v17, v8
	ds_bpermute_b32 v17, v17, v9
	s_waitcnt lgkmcnt(4)
	v_add_f64 v[6:7], v[10:11], v[6:7]
	s_waitcnt lgkmcnt(2)
	v_add_f64 v[10:11], v[12:13], v[14:15]
	v_xor_b32_e32 v12, 4, v18
	s_waitcnt lgkmcnt(0)
	v_add_f64 v[8:9], v[8:9], v[16:17]
	v_cmp_gt_i32_e32 vcc_lo, 32, v12
	v_cndmask_b32_e32 v12, v18, v12, vcc_lo
	v_lshlrev_b32_e32 v17, 2, v12
	ds_bpermute_b32 v12, v17, v6
	ds_bpermute_b32 v13, v17, v7
	;; [unrolled: 1-line block ×6, first 2 shown]
	s_waitcnt lgkmcnt(4)
	v_add_f64 v[6:7], v[6:7], v[12:13]
	s_waitcnt lgkmcnt(2)
	v_add_f64 v[10:11], v[10:11], v[14:15]
	;; [unrolled: 2-line block ×3, first 2 shown]
	v_xor_b32_e32 v8, 2, v18
	v_cmp_gt_i32_e32 vcc_lo, 32, v8
	v_cndmask_b32_e32 v8, v18, v8, vcc_lo
	v_lshlrev_b32_e32 v17, 2, v8
	ds_bpermute_b32 v8, v17, v6
	ds_bpermute_b32 v9, v17, v7
	;; [unrolled: 1-line block ×6, first 2 shown]
	s_waitcnt lgkmcnt(4)
	v_add_f64 v[8:9], v[6:7], v[8:9]
	s_waitcnt lgkmcnt(2)
	v_add_f64 v[6:7], v[10:11], v[14:15]
	v_xor_b32_e32 v10, 1, v18
	s_waitcnt lgkmcnt(0)
	v_add_f64 v[12:13], v[12:13], v[16:17]
	v_cmp_gt_i32_e32 vcc_lo, 32, v10
	v_cndmask_b32_e32 v10, v18, v10, vcc_lo
	v_cmp_eq_u32_e32 vcc_lo, 15, v0
	v_lshlrev_b32_e32 v15, 2, v10
	ds_bpermute_b32 v10, v15, v8
	ds_bpermute_b32 v11, v15, v9
	;; [unrolled: 1-line block ×6, first 2 shown]
	s_and_b32 exec_lo, exec_lo, vcc_lo
	s_cbranch_execz .LBB64_23
; %bb.19:
	s_waitcnt lgkmcnt(4)
	v_add_f64 v[10:11], v[8:9], v[10:11]
	s_waitcnt lgkmcnt(2)
	v_add_f64 v[8:9], v[6:7], v[16:17]
	;; [unrolled: 2-line block ×3, first 2 shown]
	s_load_dwordx2 s[0:1], s[4:5], 0x38
	s_mov_b32 s2, exec_lo
	v_cmpx_eq_f64_e32 0, v[3:4]
	s_xor_b32 s2, exec_lo, s2
	s_cbranch_execz .LBB64_21
; %bb.20:
	v_lshl_add_u32 v0, v5, 1, v5
	v_mul_f64 v[10:11], v[1:2], v[10:11]
	v_mul_f64 v[12:13], v[1:2], v[8:9]
	;; [unrolled: 1-line block ×3, first 2 shown]
                                        ; implicit-def: $vgpr5
                                        ; implicit-def: $vgpr8_vgpr9
                                        ; implicit-def: $vgpr6_vgpr7
	v_ashrrev_i32_e32 v1, 31, v0
	v_lshlrev_b64 v[0:1], 3, v[0:1]
	s_waitcnt lgkmcnt(0)
	v_add_co_u32 v0, vcc_lo, s0, v0
	v_add_co_ci_u32_e64 v1, null, s1, v1, vcc_lo
	global_store_dwordx4 v[0:1], v[10:13], off
	global_store_dwordx2 v[0:1], v[2:3], off offset:16
                                        ; implicit-def: $vgpr1_vgpr2
                                        ; implicit-def: $vgpr10_vgpr11
                                        ; implicit-def: $vgpr3_vgpr4
.LBB64_21:
	s_andn2_saveexec_b32 s2, s2
	s_cbranch_execz .LBB64_23
; %bb.22:
	v_lshl_add_u32 v12, v5, 1, v5
	v_mul_f64 v[10:11], v[1:2], v[10:11]
	v_mul_f64 v[8:9], v[1:2], v[8:9]
	v_mul_f64 v[0:1], v[1:2], v[6:7]
	v_ashrrev_i32_e32 v13, 31, v12
	v_lshlrev_b64 v[12:13], 3, v[12:13]
	s_waitcnt lgkmcnt(0)
	v_add_co_u32 v16, vcc_lo, s0, v12
	v_add_co_ci_u32_e64 v17, null, s1, v13, vcc_lo
	s_clause 0x1
	global_load_dwordx4 v[12:15], v[16:17], off
	global_load_dwordx2 v[18:19], v[16:17], off offset:16
	s_waitcnt vmcnt(1)
	v_fma_f64 v[5:6], v[3:4], v[12:13], v[10:11]
	v_fma_f64 v[7:8], v[3:4], v[14:15], v[8:9]
	s_waitcnt vmcnt(0)
	v_fma_f64 v[0:1], v[3:4], v[18:19], v[0:1]
	global_store_dwordx4 v[16:17], v[5:8], off
	global_store_dwordx2 v[16:17], v[0:1], off offset:16
.LBB64_23:
	s_endpgm
	.section	.rodata,"a",@progbits
	.p2align	6, 0x0
	.amdhsa_kernel _ZN9rocsparseL19gebsrmvn_3xn_kernelILj128ELj7ELj16EdEEvi20rocsparse_direction_NS_24const_host_device_scalarIT2_EEPKiS6_PKS3_S8_S4_PS3_21rocsparse_index_base_b
		.amdhsa_group_segment_fixed_size 0
		.amdhsa_private_segment_fixed_size 0
		.amdhsa_kernarg_size 72
		.amdhsa_user_sgpr_count 6
		.amdhsa_user_sgpr_private_segment_buffer 1
		.amdhsa_user_sgpr_dispatch_ptr 0
		.amdhsa_user_sgpr_queue_ptr 0
		.amdhsa_user_sgpr_kernarg_segment_ptr 1
		.amdhsa_user_sgpr_dispatch_id 0
		.amdhsa_user_sgpr_flat_scratch_init 0
		.amdhsa_user_sgpr_private_segment_size 0
		.amdhsa_wavefront_size32 1
		.amdhsa_uses_dynamic_stack 0
		.amdhsa_system_sgpr_private_segment_wavefront_offset 0
		.amdhsa_system_sgpr_workgroup_id_x 1
		.amdhsa_system_sgpr_workgroup_id_y 0
		.amdhsa_system_sgpr_workgroup_id_z 0
		.amdhsa_system_sgpr_workgroup_info 0
		.amdhsa_system_vgpr_workitem_id 0
		.amdhsa_next_free_vgpr 75
		.amdhsa_next_free_sgpr 16
		.amdhsa_reserve_vcc 1
		.amdhsa_reserve_flat_scratch 0
		.amdhsa_float_round_mode_32 0
		.amdhsa_float_round_mode_16_64 0
		.amdhsa_float_denorm_mode_32 3
		.amdhsa_float_denorm_mode_16_64 3
		.amdhsa_dx10_clamp 1
		.amdhsa_ieee_mode 1
		.amdhsa_fp16_overflow 0
		.amdhsa_workgroup_processor_mode 1
		.amdhsa_memory_ordered 1
		.amdhsa_forward_progress 1
		.amdhsa_shared_vgpr_count 0
		.amdhsa_exception_fp_ieee_invalid_op 0
		.amdhsa_exception_fp_denorm_src 0
		.amdhsa_exception_fp_ieee_div_zero 0
		.amdhsa_exception_fp_ieee_overflow 0
		.amdhsa_exception_fp_ieee_underflow 0
		.amdhsa_exception_fp_ieee_inexact 0
		.amdhsa_exception_int_div_zero 0
	.end_amdhsa_kernel
	.section	.text._ZN9rocsparseL19gebsrmvn_3xn_kernelILj128ELj7ELj16EdEEvi20rocsparse_direction_NS_24const_host_device_scalarIT2_EEPKiS6_PKS3_S8_S4_PS3_21rocsparse_index_base_b,"axG",@progbits,_ZN9rocsparseL19gebsrmvn_3xn_kernelILj128ELj7ELj16EdEEvi20rocsparse_direction_NS_24const_host_device_scalarIT2_EEPKiS6_PKS3_S8_S4_PS3_21rocsparse_index_base_b,comdat
.Lfunc_end64:
	.size	_ZN9rocsparseL19gebsrmvn_3xn_kernelILj128ELj7ELj16EdEEvi20rocsparse_direction_NS_24const_host_device_scalarIT2_EEPKiS6_PKS3_S8_S4_PS3_21rocsparse_index_base_b, .Lfunc_end64-_ZN9rocsparseL19gebsrmvn_3xn_kernelILj128ELj7ELj16EdEEvi20rocsparse_direction_NS_24const_host_device_scalarIT2_EEPKiS6_PKS3_S8_S4_PS3_21rocsparse_index_base_b
                                        ; -- End function
	.set _ZN9rocsparseL19gebsrmvn_3xn_kernelILj128ELj7ELj16EdEEvi20rocsparse_direction_NS_24const_host_device_scalarIT2_EEPKiS6_PKS3_S8_S4_PS3_21rocsparse_index_base_b.num_vgpr, 75
	.set _ZN9rocsparseL19gebsrmvn_3xn_kernelILj128ELj7ELj16EdEEvi20rocsparse_direction_NS_24const_host_device_scalarIT2_EEPKiS6_PKS3_S8_S4_PS3_21rocsparse_index_base_b.num_agpr, 0
	.set _ZN9rocsparseL19gebsrmvn_3xn_kernelILj128ELj7ELj16EdEEvi20rocsparse_direction_NS_24const_host_device_scalarIT2_EEPKiS6_PKS3_S8_S4_PS3_21rocsparse_index_base_b.numbered_sgpr, 16
	.set _ZN9rocsparseL19gebsrmvn_3xn_kernelILj128ELj7ELj16EdEEvi20rocsparse_direction_NS_24const_host_device_scalarIT2_EEPKiS6_PKS3_S8_S4_PS3_21rocsparse_index_base_b.num_named_barrier, 0
	.set _ZN9rocsparseL19gebsrmvn_3xn_kernelILj128ELj7ELj16EdEEvi20rocsparse_direction_NS_24const_host_device_scalarIT2_EEPKiS6_PKS3_S8_S4_PS3_21rocsparse_index_base_b.private_seg_size, 0
	.set _ZN9rocsparseL19gebsrmvn_3xn_kernelILj128ELj7ELj16EdEEvi20rocsparse_direction_NS_24const_host_device_scalarIT2_EEPKiS6_PKS3_S8_S4_PS3_21rocsparse_index_base_b.uses_vcc, 1
	.set _ZN9rocsparseL19gebsrmvn_3xn_kernelILj128ELj7ELj16EdEEvi20rocsparse_direction_NS_24const_host_device_scalarIT2_EEPKiS6_PKS3_S8_S4_PS3_21rocsparse_index_base_b.uses_flat_scratch, 0
	.set _ZN9rocsparseL19gebsrmvn_3xn_kernelILj128ELj7ELj16EdEEvi20rocsparse_direction_NS_24const_host_device_scalarIT2_EEPKiS6_PKS3_S8_S4_PS3_21rocsparse_index_base_b.has_dyn_sized_stack, 0
	.set _ZN9rocsparseL19gebsrmvn_3xn_kernelILj128ELj7ELj16EdEEvi20rocsparse_direction_NS_24const_host_device_scalarIT2_EEPKiS6_PKS3_S8_S4_PS3_21rocsparse_index_base_b.has_recursion, 0
	.set _ZN9rocsparseL19gebsrmvn_3xn_kernelILj128ELj7ELj16EdEEvi20rocsparse_direction_NS_24const_host_device_scalarIT2_EEPKiS6_PKS3_S8_S4_PS3_21rocsparse_index_base_b.has_indirect_call, 0
	.section	.AMDGPU.csdata,"",@progbits
; Kernel info:
; codeLenInByte = 3816
; TotalNumSgprs: 18
; NumVgprs: 75
; ScratchSize: 0
; MemoryBound: 0
; FloatMode: 240
; IeeeMode: 1
; LDSByteSize: 0 bytes/workgroup (compile time only)
; SGPRBlocks: 0
; VGPRBlocks: 9
; NumSGPRsForWavesPerEU: 18
; NumVGPRsForWavesPerEU: 75
; Occupancy: 12
; WaveLimiterHint : 1
; COMPUTE_PGM_RSRC2:SCRATCH_EN: 0
; COMPUTE_PGM_RSRC2:USER_SGPR: 6
; COMPUTE_PGM_RSRC2:TRAP_HANDLER: 0
; COMPUTE_PGM_RSRC2:TGID_X_EN: 1
; COMPUTE_PGM_RSRC2:TGID_Y_EN: 0
; COMPUTE_PGM_RSRC2:TGID_Z_EN: 0
; COMPUTE_PGM_RSRC2:TIDIG_COMP_CNT: 0
	.section	.text._ZN9rocsparseL19gebsrmvn_3xn_kernelILj128ELj7ELj32EdEEvi20rocsparse_direction_NS_24const_host_device_scalarIT2_EEPKiS6_PKS3_S8_S4_PS3_21rocsparse_index_base_b,"axG",@progbits,_ZN9rocsparseL19gebsrmvn_3xn_kernelILj128ELj7ELj32EdEEvi20rocsparse_direction_NS_24const_host_device_scalarIT2_EEPKiS6_PKS3_S8_S4_PS3_21rocsparse_index_base_b,comdat
	.globl	_ZN9rocsparseL19gebsrmvn_3xn_kernelILj128ELj7ELj32EdEEvi20rocsparse_direction_NS_24const_host_device_scalarIT2_EEPKiS6_PKS3_S8_S4_PS3_21rocsparse_index_base_b ; -- Begin function _ZN9rocsparseL19gebsrmvn_3xn_kernelILj128ELj7ELj32EdEEvi20rocsparse_direction_NS_24const_host_device_scalarIT2_EEPKiS6_PKS3_S8_S4_PS3_21rocsparse_index_base_b
	.p2align	8
	.type	_ZN9rocsparseL19gebsrmvn_3xn_kernelILj128ELj7ELj32EdEEvi20rocsparse_direction_NS_24const_host_device_scalarIT2_EEPKiS6_PKS3_S8_S4_PS3_21rocsparse_index_base_b,@function
_ZN9rocsparseL19gebsrmvn_3xn_kernelILj128ELj7ELj32EdEEvi20rocsparse_direction_NS_24const_host_device_scalarIT2_EEPKiS6_PKS3_S8_S4_PS3_21rocsparse_index_base_b: ; @_ZN9rocsparseL19gebsrmvn_3xn_kernelILj128ELj7ELj32EdEEvi20rocsparse_direction_NS_24const_host_device_scalarIT2_EEPKiS6_PKS3_S8_S4_PS3_21rocsparse_index_base_b
; %bb.0:
	s_clause 0x2
	s_load_dwordx2 s[2:3], s[4:5], 0x40
	s_load_dwordx2 s[8:9], s[4:5], 0x8
	;; [unrolled: 1-line block ×3, first 2 shown]
	s_waitcnt lgkmcnt(0)
	s_bitcmp1_b32 s3, 0
	v_mov_b32_e32 v1, s8
	v_mov_b32_e32 v2, s9
	s_cselect_b32 s3, -1, 0
	s_and_b32 vcc_lo, exec_lo, s3
	s_xor_b32 s3, s3, -1
	s_cbranch_vccnz .LBB65_2
; %bb.1:
	v_mov_b32_e32 v1, s8
	v_mov_b32_e32 v2, s9
	flat_load_dwordx2 v[1:2], v[1:2]
.LBB65_2:
	v_mov_b32_e32 v4, s1
	v_mov_b32_e32 v3, s0
	s_andn2_b32 vcc_lo, exec_lo, s3
	s_cbranch_vccnz .LBB65_4
; %bb.3:
	v_mov_b32_e32 v4, s1
	v_mov_b32_e32 v3, s0
	flat_load_dwordx2 v[3:4], v[3:4]
.LBB65_4:
	s_waitcnt vmcnt(0) lgkmcnt(0)
	v_cmp_neq_f64_e32 vcc_lo, 0, v[1:2]
	v_cmp_neq_f64_e64 s0, 1.0, v[3:4]
	s_or_b32 s0, vcc_lo, s0
	s_and_saveexec_b32 s1, s0
	s_cbranch_execz .LBB65_23
; %bb.5:
	s_load_dwordx2 s[0:1], s[4:5], 0x0
	v_lshrrev_b32_e32 v5, 5, v0
	v_lshl_or_b32 v5, s6, 2, v5
	s_waitcnt lgkmcnt(0)
	v_cmp_gt_i32_e32 vcc_lo, s0, v5
	s_and_b32 exec_lo, exec_lo, vcc_lo
	s_cbranch_execz .LBB65_23
; %bb.6:
	s_load_dwordx8 s[8:15], s[4:5], 0x10
	v_ashrrev_i32_e32 v6, 31, v5
	v_and_b32_e32 v0, 31, v0
	s_cmp_lg_u32 s1, 0
	v_lshlrev_b64 v[6:7], 2, v[5:6]
	s_waitcnt lgkmcnt(0)
	v_add_co_u32 v6, vcc_lo, s8, v6
	v_add_co_ci_u32_e64 v7, null, s9, v7, vcc_lo
	global_load_dwordx2 v[6:7], v[6:7], off
	s_waitcnt vmcnt(0)
	v_subrev_nc_u32_e32 v6, s2, v6
	v_subrev_nc_u32_e32 v20, s2, v7
	v_add_nc_u32_e32 v6, v6, v0
	v_cmp_lt_i32_e64 s0, v6, v20
	s_cbranch_scc0 .LBB65_12
; %bb.7:
	v_mov_b32_e32 v10, 0
	v_mov_b32_e32 v8, 0
	;; [unrolled: 1-line block ×6, first 2 shown]
	s_and_saveexec_b32 s1, s0
	s_cbranch_execz .LBB65_11
; %bb.8:
	v_mad_u64_u32 v[14:15], null, v6, 21, 20
	v_mov_b32_e32 v10, 0
	v_mov_b32_e32 v8, 0
	;; [unrolled: 1-line block ×8, first 2 shown]
	s_mov_b32 s3, 0
.LBB65_9:                               ; =>This Inner Loop Header: Depth=1
	v_ashrrev_i32_e32 v19, 31, v18
	v_mov_b32_e32 v22, v17
	v_lshlrev_b64 v[15:16], 2, v[18:19]
	v_add_nc_u32_e32 v18, 32, v18
	v_add_co_u32 v15, vcc_lo, s10, v15
	v_add_co_ci_u32_e64 v16, null, s11, v16, vcc_lo
	global_load_dword v7, v[15:16], off
	v_subrev_nc_u32_e32 v16, 20, v14
	v_mov_b32_e32 v15, v17
	v_lshlrev_b64 v[23:24], 3, v[16:17]
	v_subrev_nc_u32_e32 v16, 19, v14
	v_lshlrev_b64 v[25:26], 3, v[14:15]
	v_lshlrev_b64 v[27:28], 3, v[16:17]
	v_subrev_nc_u32_e32 v16, 18, v14
	v_add_co_u32 v23, vcc_lo, s12, v23
	v_add_co_ci_u32_e64 v24, null, s13, v24, vcc_lo
	v_lshlrev_b64 v[29:30], 3, v[16:17]
	v_subrev_nc_u32_e32 v16, 17, v14
	v_add_co_u32 v25, vcc_lo, s12, v25
	v_add_co_ci_u32_e64 v26, null, s13, v26, vcc_lo
	v_lshlrev_b64 v[15:16], 3, v[16:17]
	v_add_co_u32 v27, vcc_lo, s12, v27
	v_add_co_ci_u32_e64 v28, null, s13, v28, vcc_lo
	v_add_co_u32 v29, vcc_lo, s12, v29
	v_add_co_ci_u32_e64 v30, null, s13, v30, vcc_lo
	;; [unrolled: 2-line block ×3, first 2 shown]
	s_clause 0x3
	global_load_dwordx2 v[23:24], v[23:24], off
	global_load_dwordx2 v[27:28], v[27:28], off
	;; [unrolled: 1-line block ×4, first 2 shown]
	s_waitcnt vmcnt(4)
	v_subrev_nc_u32_e32 v7, s2, v7
	v_mul_lo_u32 v21, v7, 7
	v_lshlrev_b64 v[33:34], 3, v[21:22]
	v_add_nc_u32_e32 v16, 1, v21
	v_lshlrev_b64 v[35:36], 3, v[16:17]
	v_add_co_u32 v33, vcc_lo, s14, v33
	v_add_co_ci_u32_e64 v34, null, s15, v34, vcc_lo
	v_add_nc_u32_e32 v16, -16, v14
	v_add_co_u32 v35, vcc_lo, s14, v35
	global_load_dwordx2 v[33:34], v[33:34], off
	v_add_co_ci_u32_e64 v36, null, s15, v36, vcc_lo
	v_lshlrev_b64 v[37:38], 3, v[16:17]
	v_add_nc_u32_e32 v16, -15, v14
	global_load_dwordx2 v[35:36], v[35:36], off
	v_lshlrev_b64 v[39:40], 3, v[16:17]
	v_add_nc_u32_e32 v16, -14, v14
	v_add_co_u32 v37, vcc_lo, s12, v37
	v_add_co_ci_u32_e64 v38, null, s13, v38, vcc_lo
	v_add_co_u32 v39, vcc_lo, s12, v39
	v_lshlrev_b64 v[41:42], 3, v[16:17]
	v_add_nc_u32_e32 v16, 2, v21
	v_add_co_ci_u32_e64 v40, null, s13, v40, vcc_lo
	global_load_dwordx2 v[37:38], v[37:38], off
	v_lshlrev_b64 v[43:44], 3, v[16:17]
	v_add_nc_u32_e32 v16, -13, v14
	global_load_dwordx2 v[39:40], v[39:40], off
	v_add_co_u32 v41, vcc_lo, s12, v41
	v_add_co_ci_u32_e64 v42, null, s13, v42, vcc_lo
	v_lshlrev_b64 v[45:46], 3, v[16:17]
	v_add_nc_u32_e32 v16, -12, v14
	v_add_co_u32 v43, vcc_lo, s14, v43
	v_add_co_ci_u32_e64 v44, null, s15, v44, vcc_lo
	v_lshlrev_b64 v[47:48], 3, v[16:17]
	v_add_nc_u32_e32 v16, -11, v14
	v_add_co_u32 v45, vcc_lo, s12, v45
	v_add_co_ci_u32_e64 v46, null, s13, v46, vcc_lo
	v_add_co_u32 v47, vcc_lo, s12, v47
	v_lshlrev_b64 v[49:50], 3, v[16:17]
	v_add_nc_u32_e32 v16, 3, v21
	v_add_co_ci_u32_e64 v48, null, s13, v48, vcc_lo
	global_load_dwordx2 v[41:42], v[41:42], off
	global_load_dwordx2 v[43:44], v[43:44], off
	v_lshlrev_b64 v[51:52], 3, v[16:17]
	v_add_nc_u32_e32 v16, -10, v14
	s_clause 0x1
	global_load_dwordx2 v[45:46], v[45:46], off
	global_load_dwordx2 v[47:48], v[47:48], off
	v_add_co_u32 v49, vcc_lo, s12, v49
	v_lshlrev_b64 v[53:54], 3, v[16:17]
	v_add_nc_u32_e32 v16, -9, v14
	v_add_co_ci_u32_e64 v50, null, s13, v50, vcc_lo
	v_add_co_u32 v51, vcc_lo, s14, v51
	v_lshlrev_b64 v[55:56], 3, v[16:17]
	v_add_nc_u32_e32 v16, -8, v14
	v_add_co_ci_u32_e64 v52, null, s15, v52, vcc_lo
	v_add_co_u32 v53, vcc_lo, s12, v53
	v_add_co_ci_u32_e64 v54, null, s13, v54, vcc_lo
	v_add_co_u32 v55, vcc_lo, s12, v55
	v_lshlrev_b64 v[57:58], 3, v[16:17]
	v_add_nc_u32_e32 v16, 4, v21
	v_add_co_ci_u32_e64 v56, null, s13, v56, vcc_lo
	global_load_dwordx2 v[49:50], v[49:50], off
	global_load_dwordx2 v[51:52], v[51:52], off
	v_lshlrev_b64 v[59:60], 3, v[16:17]
	v_add_nc_u32_e32 v16, -7, v14
	s_clause 0x1
	global_load_dwordx2 v[53:54], v[53:54], off
	global_load_dwordx2 v[55:56], v[55:56], off
	v_add_co_u32 v57, vcc_lo, s12, v57
	v_lshlrev_b64 v[61:62], 3, v[16:17]
	v_add_nc_u32_e32 v16, -6, v14
	v_add_co_ci_u32_e64 v58, null, s13, v58, vcc_lo
	v_add_co_u32 v59, vcc_lo, s14, v59
	v_lshlrev_b64 v[63:64], 3, v[16:17]
	v_add_nc_u32_e32 v16, -5, v14
	v_add_co_ci_u32_e64 v60, null, s15, v60, vcc_lo
	v_add_co_u32 v61, vcc_lo, s12, v61
	v_add_co_ci_u32_e64 v62, null, s13, v62, vcc_lo
	v_add_co_u32 v63, vcc_lo, s12, v63
	v_lshlrev_b64 v[65:66], 3, v[16:17]
	v_add_nc_u32_e32 v16, 5, v21
	v_add_co_ci_u32_e64 v64, null, s13, v64, vcc_lo
	global_load_dwordx2 v[57:58], v[57:58], off
	global_load_dwordx2 v[59:60], v[59:60], off
	s_clause 0x1
	global_load_dwordx2 v[61:62], v[61:62], off
	global_load_dwordx2 v[63:64], v[63:64], off
	v_lshlrev_b64 v[67:68], 3, v[16:17]
	v_add_nc_u32_e32 v16, -4, v14
	v_add_co_u32 v65, vcc_lo, s12, v65
	v_add_co_ci_u32_e64 v66, null, s13, v66, vcc_lo
	v_lshlrev_b64 v[69:70], 3, v[16:17]
	v_add_nc_u32_e32 v16, -3, v14
	v_add_co_u32 v67, vcc_lo, s14, v67
	v_add_co_ci_u32_e64 v68, null, s15, v68, vcc_lo
	;; [unrolled: 4-line block ×3, first 2 shown]
	v_add_co_u32 v15, vcc_lo, s12, v71
	v_lshlrev_b64 v[73:74], 3, v[16:17]
	v_add_co_ci_u32_e64 v16, null, s13, v72, vcc_lo
	global_load_dwordx2 v[65:66], v[65:66], off
	global_load_dwordx2 v[67:68], v[67:68], off
	s_clause 0x1
	global_load_dwordx2 v[69:70], v[69:70], off
	global_load_dwordx2 v[71:72], v[15:16], off
	v_add_nc_u32_e32 v16, 6, v21
	v_add_co_u32 v73, vcc_lo, s12, v73
	v_add_co_ci_u32_e64 v74, null, s13, v74, vcc_lo
	v_lshlrev_b64 v[21:22], 3, v[16:17]
	v_add_nc_u32_e32 v16, -1, v14
	v_add_nc_u32_e32 v14, 0x2a0, v14
	v_lshlrev_b64 v[15:16], 3, v[16:17]
	v_add_co_u32 v21, vcc_lo, s14, v21
	v_add_co_ci_u32_e64 v22, null, s15, v22, vcc_lo
	v_add_co_u32 v15, vcc_lo, s12, v15
	v_add_co_ci_u32_e64 v16, null, s13, v16, vcc_lo
	s_clause 0x1
	global_load_dwordx2 v[25:26], v[25:26], off
	global_load_dwordx2 v[73:74], v[73:74], off
	;; [unrolled: 1-line block ×4, first 2 shown]
	v_cmp_ge_i32_e32 vcc_lo, v18, v20
	s_or_b32 s3, vcc_lo, s3
	s_waitcnt vmcnt(23)
	v_fma_f64 v[10:11], v[23:24], v[33:34], v[10:11]
	v_fma_f64 v[12:13], v[27:28], v[33:34], v[12:13]
	;; [unrolled: 1-line block ×3, first 2 shown]
	s_waitcnt vmcnt(22)
	v_fma_f64 v[9:10], v[31:32], v[35:36], v[10:11]
	s_waitcnt vmcnt(21)
	v_fma_f64 v[11:12], v[37:38], v[35:36], v[12:13]
	;; [unrolled: 2-line block ×17, first 2 shown]
	v_fma_f64 v[8:9], v[25:26], v[21:22], v[7:8]
	s_andn2_b32 exec_lo, exec_lo, s3
	s_cbranch_execnz .LBB65_9
; %bb.10:
	s_or_b32 exec_lo, exec_lo, s3
.LBB65_11:
	s_or_b32 exec_lo, exec_lo, s1
	s_cbranch_execz .LBB65_13
	s_branch .LBB65_18
.LBB65_12:
                                        ; implicit-def: $vgpr10_vgpr11
                                        ; implicit-def: $vgpr8_vgpr9
                                        ; implicit-def: $vgpr12_vgpr13
.LBB65_13:
	v_mov_b32_e32 v10, 0
	v_mov_b32_e32 v8, 0
	;; [unrolled: 1-line block ×6, first 2 shown]
	s_and_saveexec_b32 s1, s0
	s_cbranch_execz .LBB65_17
; %bb.14:
	v_mad_u64_u32 v[14:15], null, v6, 21, 20
	v_mov_b32_e32 v10, 0
	v_mov_b32_e32 v8, 0
	;; [unrolled: 1-line block ×7, first 2 shown]
	s_mov_b32 s0, 0
.LBB65_15:                              ; =>This Inner Loop Header: Depth=1
	v_ashrrev_i32_e32 v7, 31, v6
	v_subrev_nc_u32_e32 v16, 20, v14
	v_add_nc_u32_e32 v18, -13, v14
	v_mov_b32_e32 v19, v17
	v_add_nc_u32_e32 v21, -6, v14
	v_lshlrev_b64 v[26:27], 2, v[6:7]
	v_mov_b32_e32 v22, v17
	v_lshlrev_b64 v[24:25], 3, v[16:17]
	v_lshlrev_b64 v[18:19], 3, v[18:19]
	v_mov_b32_e32 v15, v17
	v_subrev_nc_u32_e32 v16, 19, v14
	v_add_co_u32 v26, vcc_lo, s10, v26
	v_add_co_ci_u32_e64 v27, null, s11, v27, vcc_lo
	v_lshlrev_b64 v[21:22], 3, v[21:22]
	v_add_co_u32 v24, vcc_lo, s12, v24
	global_load_dword v7, v[26:27], off
	v_add_co_ci_u32_e64 v25, null, s13, v25, vcc_lo
	v_add_co_u32 v18, vcc_lo, s12, v18
	v_lshlrev_b64 v[28:29], 3, v[14:15]
	v_add_co_ci_u32_e64 v19, null, s13, v19, vcc_lo
	v_add_co_u32 v30, vcc_lo, s12, v21
	v_lshlrev_b64 v[15:16], 3, v[16:17]
	v_add_co_ci_u32_e64 v31, null, s13, v22, vcc_lo
	v_add_co_u32 v28, vcc_lo, s12, v28
	v_add_co_ci_u32_e64 v29, null, s13, v29, vcc_lo
	v_add_co_u32 v26, vcc_lo, s12, v15
	v_add_co_ci_u32_e64 v27, null, s13, v16, vcc_lo
	v_mov_b32_e32 v23, v17
	v_add_nc_u32_e32 v6, 32, v6
	s_waitcnt vmcnt(0)
	v_subrev_nc_u32_e32 v7, s2, v7
	v_mul_lo_u32 v22, v7, 7
	v_add_nc_u32_e32 v16, 1, v22
	v_lshlrev_b64 v[32:33], 3, v[22:23]
	v_lshlrev_b64 v[34:35], 3, v[16:17]
	v_add_nc_u32_e32 v16, -12, v14
	v_add_co_u32 v32, vcc_lo, s14, v32
	v_add_co_ci_u32_e64 v33, null, s15, v33, vcc_lo
	v_lshlrev_b64 v[36:37], 3, v[16:17]
	v_add_nc_u32_e32 v16, -5, v14
	v_add_co_u32 v34, vcc_lo, s14, v34
	v_add_co_ci_u32_e64 v35, null, s15, v35, vcc_lo
	v_lshlrev_b64 v[38:39], 3, v[16:17]
	v_subrev_nc_u32_e32 v16, 18, v14
	v_add_co_u32 v36, vcc_lo, s12, v36
	v_add_co_ci_u32_e64 v37, null, s13, v37, vcc_lo
	v_lshlrev_b64 v[40:41], 3, v[16:17]
	v_add_nc_u32_e32 v16, 2, v22
	v_add_co_u32 v38, vcc_lo, s12, v38
	v_add_co_ci_u32_e64 v39, null, s13, v39, vcc_lo
	v_lshlrev_b64 v[42:43], 3, v[16:17]
	v_add_nc_u32_e32 v16, -11, v14
	v_add_co_u32 v40, vcc_lo, s12, v40
	v_add_co_ci_u32_e64 v41, null, s13, v41, vcc_lo
	v_lshlrev_b64 v[44:45], 3, v[16:17]
	v_add_nc_u32_e32 v16, -4, v14
	v_add_co_u32 v42, vcc_lo, s14, v42
	v_add_co_ci_u32_e64 v43, null, s15, v43, vcc_lo
	v_lshlrev_b64 v[46:47], 3, v[16:17]
	v_subrev_nc_u32_e32 v16, 17, v14
	v_add_co_u32 v44, vcc_lo, s12, v44
	v_add_co_ci_u32_e64 v45, null, s13, v45, vcc_lo
	v_lshlrev_b64 v[48:49], 3, v[16:17]
	v_add_nc_u32_e32 v16, 3, v22
	v_add_co_u32 v46, vcc_lo, s12, v46
	v_add_co_ci_u32_e64 v47, null, s13, v47, vcc_lo
	v_lshlrev_b64 v[50:51], 3, v[16:17]
	v_add_nc_u32_e32 v16, -10, v14
	v_add_co_u32 v48, vcc_lo, s12, v48
	v_add_co_ci_u32_e64 v49, null, s13, v49, vcc_lo
	v_lshlrev_b64 v[52:53], 3, v[16:17]
	v_add_nc_u32_e32 v16, -3, v14
	;; [unrolled: 4-line block ×3, first 2 shown]
	v_add_co_u32 v52, vcc_lo, s12, v52
	v_add_co_ci_u32_e64 v53, null, s13, v53, vcc_lo
	v_lshlrev_b64 v[56:57], 3, v[16:17]
	v_add_nc_u32_e32 v16, 4, v22
	v_add_co_u32 v54, vcc_lo, s12, v54
	v_add_co_ci_u32_e64 v55, null, s13, v55, vcc_lo
	v_lshlrev_b64 v[58:59], 3, v[16:17]
	v_add_nc_u32_e32 v16, -9, v14
	v_add_co_u32 v56, vcc_lo, s12, v56
	v_add_co_ci_u32_e64 v57, null, s13, v57, vcc_lo
	v_lshlrev_b64 v[60:61], 3, v[16:17]
	v_add_nc_u32_e32 v16, -2, v14
	;; [unrolled: 4-line block ×3, first 2 shown]
	v_add_co_u32 v60, vcc_lo, s12, v60
	v_add_co_ci_u32_e64 v61, null, s13, v61, vcc_lo
	v_lshlrev_b64 v[15:16], 3, v[16:17]
	v_add_co_u32 v62, vcc_lo, s12, v62
	v_add_co_ci_u32_e64 v63, null, s13, v63, vcc_lo
	v_add_co_u32 v64, vcc_lo, s12, v15
	v_add_co_ci_u32_e64 v65, null, s13, v16, vcc_lo
	v_add_nc_u32_e32 v16, 5, v22
	v_lshlrev_b64 v[15:16], 3, v[16:17]
	v_add_co_u32 v66, vcc_lo, s14, v15
	v_add_co_ci_u32_e64 v67, null, s15, v16, vcc_lo
	global_load_dwordx2 v[15:16], v[24:25], off
	global_load_dwordx2 v[23:24], v[32:33], off
	s_clause 0x2
	global_load_dwordx2 v[18:19], v[18:19], off
	global_load_dwordx2 v[30:31], v[30:31], off
	;; [unrolled: 1-line block ×4, first 2 shown]
	s_waitcnt vmcnt(4)
	v_fma_f64 v[10:11], v[15:16], v[23:24], v[10:11]
	v_add_nc_u32_e32 v16, -8, v14
	s_waitcnt vmcnt(3)
	v_fma_f64 v[12:13], v[18:19], v[23:24], v[12:13]
	s_waitcnt vmcnt(2)
	v_fma_f64 v[7:8], v[30:31], v[23:24], v[8:9]
	v_lshlrev_b64 v[18:19], 3, v[16:17]
	v_add_nc_u32_e32 v16, -1, v14
	v_lshlrev_b64 v[23:24], 3, v[16:17]
	v_add_nc_u32_e32 v16, -14, v14
	v_add_co_u32 v18, vcc_lo, s12, v18
	v_add_co_ci_u32_e64 v19, null, s13, v19, vcc_lo
	v_lshlrev_b64 v[30:31], 3, v[16:17]
	v_add_nc_u32_e32 v16, 6, v22
	v_add_co_u32 v21, vcc_lo, s12, v23
	v_add_co_ci_u32_e64 v22, null, s13, v24, vcc_lo
	v_lshlrev_b64 v[15:16], 3, v[16:17]
	v_add_co_u32 v23, vcc_lo, s12, v30
	v_add_co_ci_u32_e64 v24, null, s13, v31, vcc_lo
	s_waitcnt vmcnt(0)
	v_fma_f64 v[9:10], v[25:26], v[32:33], v[10:11]
	v_add_co_u32 v30, vcc_lo, s14, v15
	v_add_co_ci_u32_e64 v31, null, s15, v16, vcc_lo
	v_add_nc_u32_e32 v16, -7, v14
	v_add_nc_u32_e32 v14, 0x2a0, v14
	v_lshlrev_b64 v[15:16], 3, v[16:17]
	v_add_co_u32 v15, vcc_lo, s12, v15
	v_add_co_ci_u32_e64 v16, null, s13, v16, vcc_lo
	s_clause 0x2
	global_load_dwordx2 v[25:26], v[36:37], off
	global_load_dwordx2 v[34:35], v[38:39], off
	global_load_dwordx2 v[36:37], v[40:41], off
	global_load_dwordx2 v[38:39], v[42:43], off
	s_clause 0x2
	global_load_dwordx2 v[40:41], v[44:45], off
	global_load_dwordx2 v[42:43], v[46:47], off
	global_load_dwordx2 v[44:45], v[48:49], off
	global_load_dwordx2 v[46:47], v[50:51], off
	;; [unrolled: 5-line block ×5, first 2 shown]
	global_load_dwordx2 v[29:30], v[30:31], off
	global_load_dwordx2 v[15:16], v[15:16], off
	v_cmp_ge_i32_e32 vcc_lo, v6, v20
	s_or_b32 s0, vcc_lo, s0
	s_waitcnt vmcnt(21)
	v_fma_f64 v[11:12], v[25:26], v[32:33], v[12:13]
	s_waitcnt vmcnt(20)
	v_fma_f64 v[7:8], v[34:35], v[32:33], v[7:8]
	;; [unrolled: 2-line block ×16, first 2 shown]
	v_fma_f64 v[8:9], v[27:28], v[29:30], v[7:8]
	s_andn2_b32 exec_lo, exec_lo, s0
	s_cbranch_execnz .LBB65_15
; %bb.16:
	s_or_b32 exec_lo, exec_lo, s0
.LBB65_17:
	s_or_b32 exec_lo, exec_lo, s1
.LBB65_18:
	v_mbcnt_lo_u32_b32 v18, -1, 0
	v_xor_b32_e32 v6, 16, v18
	v_cmp_gt_i32_e32 vcc_lo, 32, v6
	v_cndmask_b32_e32 v6, v18, v6, vcc_lo
	v_lshlrev_b32_e32 v17, 2, v6
	ds_bpermute_b32 v6, v17, v10
	ds_bpermute_b32 v7, v17, v11
	;; [unrolled: 1-line block ×6, first 2 shown]
	s_waitcnt lgkmcnt(4)
	v_add_f64 v[6:7], v[10:11], v[6:7]
	s_waitcnt lgkmcnt(2)
	v_add_f64 v[10:11], v[12:13], v[14:15]
	v_xor_b32_e32 v12, 8, v18
	s_waitcnt lgkmcnt(0)
	v_add_f64 v[8:9], v[8:9], v[16:17]
	v_cmp_gt_i32_e32 vcc_lo, 32, v12
	v_cndmask_b32_e32 v12, v18, v12, vcc_lo
	v_lshlrev_b32_e32 v17, 2, v12
	ds_bpermute_b32 v12, v17, v6
	ds_bpermute_b32 v13, v17, v7
	;; [unrolled: 1-line block ×6, first 2 shown]
	s_waitcnt lgkmcnt(4)
	v_add_f64 v[6:7], v[6:7], v[12:13]
	v_xor_b32_e32 v12, 4, v18
	s_waitcnt lgkmcnt(2)
	v_add_f64 v[10:11], v[10:11], v[14:15]
	s_waitcnt lgkmcnt(0)
	v_add_f64 v[8:9], v[8:9], v[16:17]
	v_cmp_gt_i32_e32 vcc_lo, 32, v12
	v_cndmask_b32_e32 v12, v18, v12, vcc_lo
	v_lshlrev_b32_e32 v17, 2, v12
	ds_bpermute_b32 v12, v17, v6
	ds_bpermute_b32 v13, v17, v7
	;; [unrolled: 1-line block ×6, first 2 shown]
	s_waitcnt lgkmcnt(4)
	v_add_f64 v[6:7], v[6:7], v[12:13]
	s_waitcnt lgkmcnt(2)
	v_add_f64 v[10:11], v[10:11], v[14:15]
	s_waitcnt lgkmcnt(0)
	v_add_f64 v[12:13], v[8:9], v[16:17]
	v_xor_b32_e32 v8, 2, v18
	v_cmp_gt_i32_e32 vcc_lo, 32, v8
	v_cndmask_b32_e32 v8, v18, v8, vcc_lo
	v_lshlrev_b32_e32 v17, 2, v8
	ds_bpermute_b32 v8, v17, v6
	ds_bpermute_b32 v9, v17, v7
	;; [unrolled: 1-line block ×6, first 2 shown]
	s_waitcnt lgkmcnt(4)
	v_add_f64 v[8:9], v[6:7], v[8:9]
	s_waitcnt lgkmcnt(2)
	v_add_f64 v[6:7], v[10:11], v[14:15]
	v_xor_b32_e32 v10, 1, v18
	s_waitcnt lgkmcnt(0)
	v_add_f64 v[12:13], v[12:13], v[16:17]
	v_cmp_gt_i32_e32 vcc_lo, 32, v10
	v_cndmask_b32_e32 v10, v18, v10, vcc_lo
	v_cmp_eq_u32_e32 vcc_lo, 31, v0
	v_lshlrev_b32_e32 v15, 2, v10
	ds_bpermute_b32 v10, v15, v8
	ds_bpermute_b32 v11, v15, v9
	;; [unrolled: 1-line block ×6, first 2 shown]
	s_and_b32 exec_lo, exec_lo, vcc_lo
	s_cbranch_execz .LBB65_23
; %bb.19:
	s_waitcnt lgkmcnt(4)
	v_add_f64 v[10:11], v[8:9], v[10:11]
	s_waitcnt lgkmcnt(2)
	v_add_f64 v[8:9], v[6:7], v[16:17]
	;; [unrolled: 2-line block ×3, first 2 shown]
	s_load_dwordx2 s[0:1], s[4:5], 0x38
	s_mov_b32 s2, exec_lo
	v_cmpx_eq_f64_e32 0, v[3:4]
	s_xor_b32 s2, exec_lo, s2
	s_cbranch_execz .LBB65_21
; %bb.20:
	v_lshl_add_u32 v0, v5, 1, v5
	v_mul_f64 v[10:11], v[1:2], v[10:11]
	v_mul_f64 v[12:13], v[1:2], v[8:9]
	;; [unrolled: 1-line block ×3, first 2 shown]
                                        ; implicit-def: $vgpr5
                                        ; implicit-def: $vgpr8_vgpr9
                                        ; implicit-def: $vgpr6_vgpr7
	v_ashrrev_i32_e32 v1, 31, v0
	v_lshlrev_b64 v[0:1], 3, v[0:1]
	s_waitcnt lgkmcnt(0)
	v_add_co_u32 v0, vcc_lo, s0, v0
	v_add_co_ci_u32_e64 v1, null, s1, v1, vcc_lo
	global_store_dwordx4 v[0:1], v[10:13], off
	global_store_dwordx2 v[0:1], v[2:3], off offset:16
                                        ; implicit-def: $vgpr1_vgpr2
                                        ; implicit-def: $vgpr10_vgpr11
                                        ; implicit-def: $vgpr3_vgpr4
.LBB65_21:
	s_andn2_saveexec_b32 s2, s2
	s_cbranch_execz .LBB65_23
; %bb.22:
	v_lshl_add_u32 v12, v5, 1, v5
	v_mul_f64 v[10:11], v[1:2], v[10:11]
	v_mul_f64 v[8:9], v[1:2], v[8:9]
	;; [unrolled: 1-line block ×3, first 2 shown]
	v_ashrrev_i32_e32 v13, 31, v12
	v_lshlrev_b64 v[12:13], 3, v[12:13]
	s_waitcnt lgkmcnt(0)
	v_add_co_u32 v16, vcc_lo, s0, v12
	v_add_co_ci_u32_e64 v17, null, s1, v13, vcc_lo
	s_clause 0x1
	global_load_dwordx4 v[12:15], v[16:17], off
	global_load_dwordx2 v[18:19], v[16:17], off offset:16
	s_waitcnt vmcnt(1)
	v_fma_f64 v[5:6], v[3:4], v[12:13], v[10:11]
	v_fma_f64 v[7:8], v[3:4], v[14:15], v[8:9]
	s_waitcnt vmcnt(0)
	v_fma_f64 v[0:1], v[3:4], v[18:19], v[0:1]
	global_store_dwordx4 v[16:17], v[5:8], off
	global_store_dwordx2 v[16:17], v[0:1], off offset:16
.LBB65_23:
	s_endpgm
	.section	.rodata,"a",@progbits
	.p2align	6, 0x0
	.amdhsa_kernel _ZN9rocsparseL19gebsrmvn_3xn_kernelILj128ELj7ELj32EdEEvi20rocsparse_direction_NS_24const_host_device_scalarIT2_EEPKiS6_PKS3_S8_S4_PS3_21rocsparse_index_base_b
		.amdhsa_group_segment_fixed_size 0
		.amdhsa_private_segment_fixed_size 0
		.amdhsa_kernarg_size 72
		.amdhsa_user_sgpr_count 6
		.amdhsa_user_sgpr_private_segment_buffer 1
		.amdhsa_user_sgpr_dispatch_ptr 0
		.amdhsa_user_sgpr_queue_ptr 0
		.amdhsa_user_sgpr_kernarg_segment_ptr 1
		.amdhsa_user_sgpr_dispatch_id 0
		.amdhsa_user_sgpr_flat_scratch_init 0
		.amdhsa_user_sgpr_private_segment_size 0
		.amdhsa_wavefront_size32 1
		.amdhsa_uses_dynamic_stack 0
		.amdhsa_system_sgpr_private_segment_wavefront_offset 0
		.amdhsa_system_sgpr_workgroup_id_x 1
		.amdhsa_system_sgpr_workgroup_id_y 0
		.amdhsa_system_sgpr_workgroup_id_z 0
		.amdhsa_system_sgpr_workgroup_info 0
		.amdhsa_system_vgpr_workitem_id 0
		.amdhsa_next_free_vgpr 75
		.amdhsa_next_free_sgpr 16
		.amdhsa_reserve_vcc 1
		.amdhsa_reserve_flat_scratch 0
		.amdhsa_float_round_mode_32 0
		.amdhsa_float_round_mode_16_64 0
		.amdhsa_float_denorm_mode_32 3
		.amdhsa_float_denorm_mode_16_64 3
		.amdhsa_dx10_clamp 1
		.amdhsa_ieee_mode 1
		.amdhsa_fp16_overflow 0
		.amdhsa_workgroup_processor_mode 1
		.amdhsa_memory_ordered 1
		.amdhsa_forward_progress 1
		.amdhsa_shared_vgpr_count 0
		.amdhsa_exception_fp_ieee_invalid_op 0
		.amdhsa_exception_fp_denorm_src 0
		.amdhsa_exception_fp_ieee_div_zero 0
		.amdhsa_exception_fp_ieee_overflow 0
		.amdhsa_exception_fp_ieee_underflow 0
		.amdhsa_exception_fp_ieee_inexact 0
		.amdhsa_exception_int_div_zero 0
	.end_amdhsa_kernel
	.section	.text._ZN9rocsparseL19gebsrmvn_3xn_kernelILj128ELj7ELj32EdEEvi20rocsparse_direction_NS_24const_host_device_scalarIT2_EEPKiS6_PKS3_S8_S4_PS3_21rocsparse_index_base_b,"axG",@progbits,_ZN9rocsparseL19gebsrmvn_3xn_kernelILj128ELj7ELj32EdEEvi20rocsparse_direction_NS_24const_host_device_scalarIT2_EEPKiS6_PKS3_S8_S4_PS3_21rocsparse_index_base_b,comdat
.Lfunc_end65:
	.size	_ZN9rocsparseL19gebsrmvn_3xn_kernelILj128ELj7ELj32EdEEvi20rocsparse_direction_NS_24const_host_device_scalarIT2_EEPKiS6_PKS3_S8_S4_PS3_21rocsparse_index_base_b, .Lfunc_end65-_ZN9rocsparseL19gebsrmvn_3xn_kernelILj128ELj7ELj32EdEEvi20rocsparse_direction_NS_24const_host_device_scalarIT2_EEPKiS6_PKS3_S8_S4_PS3_21rocsparse_index_base_b
                                        ; -- End function
	.set _ZN9rocsparseL19gebsrmvn_3xn_kernelILj128ELj7ELj32EdEEvi20rocsparse_direction_NS_24const_host_device_scalarIT2_EEPKiS6_PKS3_S8_S4_PS3_21rocsparse_index_base_b.num_vgpr, 75
	.set _ZN9rocsparseL19gebsrmvn_3xn_kernelILj128ELj7ELj32EdEEvi20rocsparse_direction_NS_24const_host_device_scalarIT2_EEPKiS6_PKS3_S8_S4_PS3_21rocsparse_index_base_b.num_agpr, 0
	.set _ZN9rocsparseL19gebsrmvn_3xn_kernelILj128ELj7ELj32EdEEvi20rocsparse_direction_NS_24const_host_device_scalarIT2_EEPKiS6_PKS3_S8_S4_PS3_21rocsparse_index_base_b.numbered_sgpr, 16
	.set _ZN9rocsparseL19gebsrmvn_3xn_kernelILj128ELj7ELj32EdEEvi20rocsparse_direction_NS_24const_host_device_scalarIT2_EEPKiS6_PKS3_S8_S4_PS3_21rocsparse_index_base_b.num_named_barrier, 0
	.set _ZN9rocsparseL19gebsrmvn_3xn_kernelILj128ELj7ELj32EdEEvi20rocsparse_direction_NS_24const_host_device_scalarIT2_EEPKiS6_PKS3_S8_S4_PS3_21rocsparse_index_base_b.private_seg_size, 0
	.set _ZN9rocsparseL19gebsrmvn_3xn_kernelILj128ELj7ELj32EdEEvi20rocsparse_direction_NS_24const_host_device_scalarIT2_EEPKiS6_PKS3_S8_S4_PS3_21rocsparse_index_base_b.uses_vcc, 1
	.set _ZN9rocsparseL19gebsrmvn_3xn_kernelILj128ELj7ELj32EdEEvi20rocsparse_direction_NS_24const_host_device_scalarIT2_EEPKiS6_PKS3_S8_S4_PS3_21rocsparse_index_base_b.uses_flat_scratch, 0
	.set _ZN9rocsparseL19gebsrmvn_3xn_kernelILj128ELj7ELj32EdEEvi20rocsparse_direction_NS_24const_host_device_scalarIT2_EEPKiS6_PKS3_S8_S4_PS3_21rocsparse_index_base_b.has_dyn_sized_stack, 0
	.set _ZN9rocsparseL19gebsrmvn_3xn_kernelILj128ELj7ELj32EdEEvi20rocsparse_direction_NS_24const_host_device_scalarIT2_EEPKiS6_PKS3_S8_S4_PS3_21rocsparse_index_base_b.has_recursion, 0
	.set _ZN9rocsparseL19gebsrmvn_3xn_kernelILj128ELj7ELj32EdEEvi20rocsparse_direction_NS_24const_host_device_scalarIT2_EEPKiS6_PKS3_S8_S4_PS3_21rocsparse_index_base_b.has_indirect_call, 0
	.section	.AMDGPU.csdata,"",@progbits
; Kernel info:
; codeLenInByte = 3916
; TotalNumSgprs: 18
; NumVgprs: 75
; ScratchSize: 0
; MemoryBound: 0
; FloatMode: 240
; IeeeMode: 1
; LDSByteSize: 0 bytes/workgroup (compile time only)
; SGPRBlocks: 0
; VGPRBlocks: 9
; NumSGPRsForWavesPerEU: 18
; NumVGPRsForWavesPerEU: 75
; Occupancy: 12
; WaveLimiterHint : 1
; COMPUTE_PGM_RSRC2:SCRATCH_EN: 0
; COMPUTE_PGM_RSRC2:USER_SGPR: 6
; COMPUTE_PGM_RSRC2:TRAP_HANDLER: 0
; COMPUTE_PGM_RSRC2:TGID_X_EN: 1
; COMPUTE_PGM_RSRC2:TGID_Y_EN: 0
; COMPUTE_PGM_RSRC2:TGID_Z_EN: 0
; COMPUTE_PGM_RSRC2:TIDIG_COMP_CNT: 0
	.section	.text._ZN9rocsparseL19gebsrmvn_3xn_kernelILj128ELj7ELj64EdEEvi20rocsparse_direction_NS_24const_host_device_scalarIT2_EEPKiS6_PKS3_S8_S4_PS3_21rocsparse_index_base_b,"axG",@progbits,_ZN9rocsparseL19gebsrmvn_3xn_kernelILj128ELj7ELj64EdEEvi20rocsparse_direction_NS_24const_host_device_scalarIT2_EEPKiS6_PKS3_S8_S4_PS3_21rocsparse_index_base_b,comdat
	.globl	_ZN9rocsparseL19gebsrmvn_3xn_kernelILj128ELj7ELj64EdEEvi20rocsparse_direction_NS_24const_host_device_scalarIT2_EEPKiS6_PKS3_S8_S4_PS3_21rocsparse_index_base_b ; -- Begin function _ZN9rocsparseL19gebsrmvn_3xn_kernelILj128ELj7ELj64EdEEvi20rocsparse_direction_NS_24const_host_device_scalarIT2_EEPKiS6_PKS3_S8_S4_PS3_21rocsparse_index_base_b
	.p2align	8
	.type	_ZN9rocsparseL19gebsrmvn_3xn_kernelILj128ELj7ELj64EdEEvi20rocsparse_direction_NS_24const_host_device_scalarIT2_EEPKiS6_PKS3_S8_S4_PS3_21rocsparse_index_base_b,@function
_ZN9rocsparseL19gebsrmvn_3xn_kernelILj128ELj7ELj64EdEEvi20rocsparse_direction_NS_24const_host_device_scalarIT2_EEPKiS6_PKS3_S8_S4_PS3_21rocsparse_index_base_b: ; @_ZN9rocsparseL19gebsrmvn_3xn_kernelILj128ELj7ELj64EdEEvi20rocsparse_direction_NS_24const_host_device_scalarIT2_EEPKiS6_PKS3_S8_S4_PS3_21rocsparse_index_base_b
; %bb.0:
	s_clause 0x2
	s_load_dwordx2 s[2:3], s[4:5], 0x40
	s_load_dwordx2 s[8:9], s[4:5], 0x8
	;; [unrolled: 1-line block ×3, first 2 shown]
	s_waitcnt lgkmcnt(0)
	s_bitcmp1_b32 s3, 0
	v_mov_b32_e32 v1, s8
	v_mov_b32_e32 v2, s9
	s_cselect_b32 s3, -1, 0
	s_and_b32 vcc_lo, exec_lo, s3
	s_xor_b32 s3, s3, -1
	s_cbranch_vccnz .LBB66_2
; %bb.1:
	v_mov_b32_e32 v1, s8
	v_mov_b32_e32 v2, s9
	flat_load_dwordx2 v[1:2], v[1:2]
.LBB66_2:
	v_mov_b32_e32 v4, s1
	v_mov_b32_e32 v3, s0
	s_andn2_b32 vcc_lo, exec_lo, s3
	s_cbranch_vccnz .LBB66_4
; %bb.3:
	v_mov_b32_e32 v4, s1
	v_mov_b32_e32 v3, s0
	flat_load_dwordx2 v[3:4], v[3:4]
.LBB66_4:
	s_waitcnt vmcnt(0) lgkmcnt(0)
	v_cmp_neq_f64_e32 vcc_lo, 0, v[1:2]
	v_cmp_neq_f64_e64 s0, 1.0, v[3:4]
	s_or_b32 s0, vcc_lo, s0
	s_and_saveexec_b32 s1, s0
	s_cbranch_execz .LBB66_23
; %bb.5:
	s_load_dwordx2 s[0:1], s[4:5], 0x0
	v_lshrrev_b32_e32 v5, 6, v0
	v_lshl_or_b32 v5, s6, 1, v5
	s_waitcnt lgkmcnt(0)
	v_cmp_gt_i32_e32 vcc_lo, s0, v5
	s_and_b32 exec_lo, exec_lo, vcc_lo
	s_cbranch_execz .LBB66_23
; %bb.6:
	s_load_dwordx8 s[8:15], s[4:5], 0x10
	v_ashrrev_i32_e32 v6, 31, v5
	v_and_b32_e32 v0, 63, v0
	s_cmp_lg_u32 s1, 0
	v_lshlrev_b64 v[6:7], 2, v[5:6]
	s_waitcnt lgkmcnt(0)
	v_add_co_u32 v6, vcc_lo, s8, v6
	v_add_co_ci_u32_e64 v7, null, s9, v7, vcc_lo
	global_load_dwordx2 v[6:7], v[6:7], off
	s_waitcnt vmcnt(0)
	v_subrev_nc_u32_e32 v6, s2, v6
	v_subrev_nc_u32_e32 v20, s2, v7
	v_add_nc_u32_e32 v6, v6, v0
	v_cmp_lt_i32_e64 s0, v6, v20
	s_cbranch_scc0 .LBB66_12
; %bb.7:
	v_mov_b32_e32 v10, 0
	v_mov_b32_e32 v8, 0
	v_mov_b32_e32 v12, 0
	v_mov_b32_e32 v11, 0
	v_mov_b32_e32 v9, 0
	v_mov_b32_e32 v13, 0
	s_and_saveexec_b32 s1, s0
	s_cbranch_execz .LBB66_11
; %bb.8:
	v_mad_u64_u32 v[14:15], null, v6, 21, 20
	v_mov_b32_e32 v10, 0
	v_mov_b32_e32 v8, 0
	;; [unrolled: 1-line block ×8, first 2 shown]
	s_mov_b32 s3, 0
.LBB66_9:                               ; =>This Inner Loop Header: Depth=1
	v_ashrrev_i32_e32 v19, 31, v18
	v_mov_b32_e32 v22, v17
	v_lshlrev_b64 v[15:16], 2, v[18:19]
	v_add_nc_u32_e32 v18, 64, v18
	v_add_co_u32 v15, vcc_lo, s10, v15
	v_add_co_ci_u32_e64 v16, null, s11, v16, vcc_lo
	global_load_dword v7, v[15:16], off
	v_subrev_nc_u32_e32 v16, 20, v14
	v_mov_b32_e32 v15, v17
	v_lshlrev_b64 v[23:24], 3, v[16:17]
	v_subrev_nc_u32_e32 v16, 19, v14
	v_lshlrev_b64 v[25:26], 3, v[14:15]
	v_lshlrev_b64 v[27:28], 3, v[16:17]
	v_subrev_nc_u32_e32 v16, 18, v14
	v_add_co_u32 v23, vcc_lo, s12, v23
	v_add_co_ci_u32_e64 v24, null, s13, v24, vcc_lo
	v_lshlrev_b64 v[29:30], 3, v[16:17]
	v_subrev_nc_u32_e32 v16, 17, v14
	v_add_co_u32 v25, vcc_lo, s12, v25
	v_add_co_ci_u32_e64 v26, null, s13, v26, vcc_lo
	v_lshlrev_b64 v[15:16], 3, v[16:17]
	v_add_co_u32 v27, vcc_lo, s12, v27
	v_add_co_ci_u32_e64 v28, null, s13, v28, vcc_lo
	v_add_co_u32 v29, vcc_lo, s12, v29
	v_add_co_ci_u32_e64 v30, null, s13, v30, vcc_lo
	;; [unrolled: 2-line block ×3, first 2 shown]
	s_clause 0x3
	global_load_dwordx2 v[23:24], v[23:24], off
	global_load_dwordx2 v[27:28], v[27:28], off
	;; [unrolled: 1-line block ×4, first 2 shown]
	s_waitcnt vmcnt(4)
	v_subrev_nc_u32_e32 v7, s2, v7
	v_mul_lo_u32 v21, v7, 7
	v_lshlrev_b64 v[33:34], 3, v[21:22]
	v_add_nc_u32_e32 v16, 1, v21
	v_lshlrev_b64 v[35:36], 3, v[16:17]
	v_add_co_u32 v33, vcc_lo, s14, v33
	v_add_co_ci_u32_e64 v34, null, s15, v34, vcc_lo
	v_add_nc_u32_e32 v16, -16, v14
	v_add_co_u32 v35, vcc_lo, s14, v35
	global_load_dwordx2 v[33:34], v[33:34], off
	v_add_co_ci_u32_e64 v36, null, s15, v36, vcc_lo
	v_lshlrev_b64 v[37:38], 3, v[16:17]
	v_add_nc_u32_e32 v16, -15, v14
	global_load_dwordx2 v[35:36], v[35:36], off
	v_lshlrev_b64 v[39:40], 3, v[16:17]
	v_add_nc_u32_e32 v16, -14, v14
	v_add_co_u32 v37, vcc_lo, s12, v37
	v_add_co_ci_u32_e64 v38, null, s13, v38, vcc_lo
	v_add_co_u32 v39, vcc_lo, s12, v39
	v_lshlrev_b64 v[41:42], 3, v[16:17]
	v_add_nc_u32_e32 v16, 2, v21
	v_add_co_ci_u32_e64 v40, null, s13, v40, vcc_lo
	global_load_dwordx2 v[37:38], v[37:38], off
	v_lshlrev_b64 v[43:44], 3, v[16:17]
	v_add_nc_u32_e32 v16, -13, v14
	global_load_dwordx2 v[39:40], v[39:40], off
	v_add_co_u32 v41, vcc_lo, s12, v41
	v_add_co_ci_u32_e64 v42, null, s13, v42, vcc_lo
	v_lshlrev_b64 v[45:46], 3, v[16:17]
	v_add_nc_u32_e32 v16, -12, v14
	v_add_co_u32 v43, vcc_lo, s14, v43
	v_add_co_ci_u32_e64 v44, null, s15, v44, vcc_lo
	v_lshlrev_b64 v[47:48], 3, v[16:17]
	v_add_nc_u32_e32 v16, -11, v14
	v_add_co_u32 v45, vcc_lo, s12, v45
	v_add_co_ci_u32_e64 v46, null, s13, v46, vcc_lo
	v_add_co_u32 v47, vcc_lo, s12, v47
	v_lshlrev_b64 v[49:50], 3, v[16:17]
	v_add_nc_u32_e32 v16, 3, v21
	v_add_co_ci_u32_e64 v48, null, s13, v48, vcc_lo
	global_load_dwordx2 v[41:42], v[41:42], off
	global_load_dwordx2 v[43:44], v[43:44], off
	v_lshlrev_b64 v[51:52], 3, v[16:17]
	v_add_nc_u32_e32 v16, -10, v14
	s_clause 0x1
	global_load_dwordx2 v[45:46], v[45:46], off
	global_load_dwordx2 v[47:48], v[47:48], off
	v_add_co_u32 v49, vcc_lo, s12, v49
	v_lshlrev_b64 v[53:54], 3, v[16:17]
	v_add_nc_u32_e32 v16, -9, v14
	v_add_co_ci_u32_e64 v50, null, s13, v50, vcc_lo
	v_add_co_u32 v51, vcc_lo, s14, v51
	v_lshlrev_b64 v[55:56], 3, v[16:17]
	v_add_nc_u32_e32 v16, -8, v14
	v_add_co_ci_u32_e64 v52, null, s15, v52, vcc_lo
	v_add_co_u32 v53, vcc_lo, s12, v53
	v_add_co_ci_u32_e64 v54, null, s13, v54, vcc_lo
	v_add_co_u32 v55, vcc_lo, s12, v55
	v_lshlrev_b64 v[57:58], 3, v[16:17]
	v_add_nc_u32_e32 v16, 4, v21
	v_add_co_ci_u32_e64 v56, null, s13, v56, vcc_lo
	global_load_dwordx2 v[49:50], v[49:50], off
	global_load_dwordx2 v[51:52], v[51:52], off
	v_lshlrev_b64 v[59:60], 3, v[16:17]
	v_add_nc_u32_e32 v16, -7, v14
	s_clause 0x1
	global_load_dwordx2 v[53:54], v[53:54], off
	global_load_dwordx2 v[55:56], v[55:56], off
	v_add_co_u32 v57, vcc_lo, s12, v57
	v_lshlrev_b64 v[61:62], 3, v[16:17]
	v_add_nc_u32_e32 v16, -6, v14
	v_add_co_ci_u32_e64 v58, null, s13, v58, vcc_lo
	v_add_co_u32 v59, vcc_lo, s14, v59
	v_lshlrev_b64 v[63:64], 3, v[16:17]
	v_add_nc_u32_e32 v16, -5, v14
	v_add_co_ci_u32_e64 v60, null, s15, v60, vcc_lo
	v_add_co_u32 v61, vcc_lo, s12, v61
	v_add_co_ci_u32_e64 v62, null, s13, v62, vcc_lo
	v_add_co_u32 v63, vcc_lo, s12, v63
	v_lshlrev_b64 v[65:66], 3, v[16:17]
	v_add_nc_u32_e32 v16, 5, v21
	v_add_co_ci_u32_e64 v64, null, s13, v64, vcc_lo
	global_load_dwordx2 v[57:58], v[57:58], off
	global_load_dwordx2 v[59:60], v[59:60], off
	s_clause 0x1
	global_load_dwordx2 v[61:62], v[61:62], off
	global_load_dwordx2 v[63:64], v[63:64], off
	v_lshlrev_b64 v[67:68], 3, v[16:17]
	v_add_nc_u32_e32 v16, -4, v14
	v_add_co_u32 v65, vcc_lo, s12, v65
	v_add_co_ci_u32_e64 v66, null, s13, v66, vcc_lo
	v_lshlrev_b64 v[69:70], 3, v[16:17]
	v_add_nc_u32_e32 v16, -3, v14
	v_add_co_u32 v67, vcc_lo, s14, v67
	v_add_co_ci_u32_e64 v68, null, s15, v68, vcc_lo
	v_lshlrev_b64 v[71:72], 3, v[16:17]
	v_add_nc_u32_e32 v16, -2, v14
	v_add_co_u32 v69, vcc_lo, s12, v69
	v_add_co_ci_u32_e64 v70, null, s13, v70, vcc_lo
	v_add_co_u32 v15, vcc_lo, s12, v71
	v_lshlrev_b64 v[73:74], 3, v[16:17]
	v_add_co_ci_u32_e64 v16, null, s13, v72, vcc_lo
	global_load_dwordx2 v[65:66], v[65:66], off
	global_load_dwordx2 v[67:68], v[67:68], off
	s_clause 0x1
	global_load_dwordx2 v[69:70], v[69:70], off
	global_load_dwordx2 v[71:72], v[15:16], off
	v_add_nc_u32_e32 v16, 6, v21
	v_add_co_u32 v73, vcc_lo, s12, v73
	v_add_co_ci_u32_e64 v74, null, s13, v74, vcc_lo
	v_lshlrev_b64 v[21:22], 3, v[16:17]
	v_add_nc_u32_e32 v16, -1, v14
	v_add_nc_u32_e32 v14, 0x540, v14
	v_lshlrev_b64 v[15:16], 3, v[16:17]
	v_add_co_u32 v21, vcc_lo, s14, v21
	v_add_co_ci_u32_e64 v22, null, s15, v22, vcc_lo
	v_add_co_u32 v15, vcc_lo, s12, v15
	v_add_co_ci_u32_e64 v16, null, s13, v16, vcc_lo
	s_clause 0x1
	global_load_dwordx2 v[25:26], v[25:26], off
	global_load_dwordx2 v[73:74], v[73:74], off
	;; [unrolled: 1-line block ×4, first 2 shown]
	v_cmp_ge_i32_e32 vcc_lo, v18, v20
	s_or_b32 s3, vcc_lo, s3
	s_waitcnt vmcnt(23)
	v_fma_f64 v[10:11], v[23:24], v[33:34], v[10:11]
	v_fma_f64 v[12:13], v[27:28], v[33:34], v[12:13]
	;; [unrolled: 1-line block ×3, first 2 shown]
	s_waitcnt vmcnt(22)
	v_fma_f64 v[9:10], v[31:32], v[35:36], v[10:11]
	s_waitcnt vmcnt(21)
	v_fma_f64 v[11:12], v[37:38], v[35:36], v[12:13]
	;; [unrolled: 2-line block ×17, first 2 shown]
	v_fma_f64 v[8:9], v[25:26], v[21:22], v[7:8]
	s_andn2_b32 exec_lo, exec_lo, s3
	s_cbranch_execnz .LBB66_9
; %bb.10:
	s_or_b32 exec_lo, exec_lo, s3
.LBB66_11:
	s_or_b32 exec_lo, exec_lo, s1
	s_cbranch_execz .LBB66_13
	s_branch .LBB66_18
.LBB66_12:
                                        ; implicit-def: $vgpr10_vgpr11
                                        ; implicit-def: $vgpr8_vgpr9
                                        ; implicit-def: $vgpr12_vgpr13
.LBB66_13:
	v_mov_b32_e32 v10, 0
	v_mov_b32_e32 v8, 0
	;; [unrolled: 1-line block ×6, first 2 shown]
	s_and_saveexec_b32 s1, s0
	s_cbranch_execz .LBB66_17
; %bb.14:
	v_mad_u64_u32 v[14:15], null, v6, 21, 20
	v_mov_b32_e32 v10, 0
	v_mov_b32_e32 v8, 0
	;; [unrolled: 1-line block ×7, first 2 shown]
	s_mov_b32 s0, 0
.LBB66_15:                              ; =>This Inner Loop Header: Depth=1
	v_ashrrev_i32_e32 v7, 31, v6
	v_subrev_nc_u32_e32 v16, 20, v14
	v_add_nc_u32_e32 v18, -13, v14
	v_mov_b32_e32 v19, v17
	v_add_nc_u32_e32 v21, -6, v14
	v_lshlrev_b64 v[26:27], 2, v[6:7]
	v_mov_b32_e32 v22, v17
	v_lshlrev_b64 v[24:25], 3, v[16:17]
	v_lshlrev_b64 v[18:19], 3, v[18:19]
	v_mov_b32_e32 v15, v17
	v_subrev_nc_u32_e32 v16, 19, v14
	v_add_co_u32 v26, vcc_lo, s10, v26
	v_add_co_ci_u32_e64 v27, null, s11, v27, vcc_lo
	v_lshlrev_b64 v[21:22], 3, v[21:22]
	v_add_co_u32 v24, vcc_lo, s12, v24
	global_load_dword v7, v[26:27], off
	v_add_co_ci_u32_e64 v25, null, s13, v25, vcc_lo
	v_add_co_u32 v18, vcc_lo, s12, v18
	v_lshlrev_b64 v[28:29], 3, v[14:15]
	v_add_co_ci_u32_e64 v19, null, s13, v19, vcc_lo
	v_add_co_u32 v30, vcc_lo, s12, v21
	v_lshlrev_b64 v[15:16], 3, v[16:17]
	v_add_co_ci_u32_e64 v31, null, s13, v22, vcc_lo
	v_add_co_u32 v28, vcc_lo, s12, v28
	v_add_co_ci_u32_e64 v29, null, s13, v29, vcc_lo
	v_add_co_u32 v26, vcc_lo, s12, v15
	v_add_co_ci_u32_e64 v27, null, s13, v16, vcc_lo
	v_mov_b32_e32 v23, v17
	v_add_nc_u32_e32 v6, 64, v6
	s_waitcnt vmcnt(0)
	v_subrev_nc_u32_e32 v7, s2, v7
	v_mul_lo_u32 v22, v7, 7
	v_add_nc_u32_e32 v16, 1, v22
	v_lshlrev_b64 v[32:33], 3, v[22:23]
	v_lshlrev_b64 v[34:35], 3, v[16:17]
	v_add_nc_u32_e32 v16, -12, v14
	v_add_co_u32 v32, vcc_lo, s14, v32
	v_add_co_ci_u32_e64 v33, null, s15, v33, vcc_lo
	v_lshlrev_b64 v[36:37], 3, v[16:17]
	v_add_nc_u32_e32 v16, -5, v14
	v_add_co_u32 v34, vcc_lo, s14, v34
	v_add_co_ci_u32_e64 v35, null, s15, v35, vcc_lo
	v_lshlrev_b64 v[38:39], 3, v[16:17]
	v_subrev_nc_u32_e32 v16, 18, v14
	v_add_co_u32 v36, vcc_lo, s12, v36
	v_add_co_ci_u32_e64 v37, null, s13, v37, vcc_lo
	v_lshlrev_b64 v[40:41], 3, v[16:17]
	v_add_nc_u32_e32 v16, 2, v22
	v_add_co_u32 v38, vcc_lo, s12, v38
	v_add_co_ci_u32_e64 v39, null, s13, v39, vcc_lo
	v_lshlrev_b64 v[42:43], 3, v[16:17]
	v_add_nc_u32_e32 v16, -11, v14
	v_add_co_u32 v40, vcc_lo, s12, v40
	v_add_co_ci_u32_e64 v41, null, s13, v41, vcc_lo
	v_lshlrev_b64 v[44:45], 3, v[16:17]
	v_add_nc_u32_e32 v16, -4, v14
	v_add_co_u32 v42, vcc_lo, s14, v42
	v_add_co_ci_u32_e64 v43, null, s15, v43, vcc_lo
	v_lshlrev_b64 v[46:47], 3, v[16:17]
	v_subrev_nc_u32_e32 v16, 17, v14
	v_add_co_u32 v44, vcc_lo, s12, v44
	v_add_co_ci_u32_e64 v45, null, s13, v45, vcc_lo
	v_lshlrev_b64 v[48:49], 3, v[16:17]
	v_add_nc_u32_e32 v16, 3, v22
	v_add_co_u32 v46, vcc_lo, s12, v46
	v_add_co_ci_u32_e64 v47, null, s13, v47, vcc_lo
	v_lshlrev_b64 v[50:51], 3, v[16:17]
	v_add_nc_u32_e32 v16, -10, v14
	v_add_co_u32 v48, vcc_lo, s12, v48
	v_add_co_ci_u32_e64 v49, null, s13, v49, vcc_lo
	v_lshlrev_b64 v[52:53], 3, v[16:17]
	v_add_nc_u32_e32 v16, -3, v14
	;; [unrolled: 4-line block ×3, first 2 shown]
	v_add_co_u32 v52, vcc_lo, s12, v52
	v_add_co_ci_u32_e64 v53, null, s13, v53, vcc_lo
	v_lshlrev_b64 v[56:57], 3, v[16:17]
	v_add_nc_u32_e32 v16, 4, v22
	v_add_co_u32 v54, vcc_lo, s12, v54
	v_add_co_ci_u32_e64 v55, null, s13, v55, vcc_lo
	v_lshlrev_b64 v[58:59], 3, v[16:17]
	v_add_nc_u32_e32 v16, -9, v14
	v_add_co_u32 v56, vcc_lo, s12, v56
	v_add_co_ci_u32_e64 v57, null, s13, v57, vcc_lo
	v_lshlrev_b64 v[60:61], 3, v[16:17]
	v_add_nc_u32_e32 v16, -2, v14
	;; [unrolled: 4-line block ×3, first 2 shown]
	v_add_co_u32 v60, vcc_lo, s12, v60
	v_add_co_ci_u32_e64 v61, null, s13, v61, vcc_lo
	v_lshlrev_b64 v[15:16], 3, v[16:17]
	v_add_co_u32 v62, vcc_lo, s12, v62
	v_add_co_ci_u32_e64 v63, null, s13, v63, vcc_lo
	v_add_co_u32 v64, vcc_lo, s12, v15
	v_add_co_ci_u32_e64 v65, null, s13, v16, vcc_lo
	v_add_nc_u32_e32 v16, 5, v22
	v_lshlrev_b64 v[15:16], 3, v[16:17]
	v_add_co_u32 v66, vcc_lo, s14, v15
	v_add_co_ci_u32_e64 v67, null, s15, v16, vcc_lo
	global_load_dwordx2 v[15:16], v[24:25], off
	global_load_dwordx2 v[23:24], v[32:33], off
	s_clause 0x2
	global_load_dwordx2 v[18:19], v[18:19], off
	global_load_dwordx2 v[30:31], v[30:31], off
	;; [unrolled: 1-line block ×4, first 2 shown]
	s_waitcnt vmcnt(4)
	v_fma_f64 v[10:11], v[15:16], v[23:24], v[10:11]
	v_add_nc_u32_e32 v16, -8, v14
	s_waitcnt vmcnt(3)
	v_fma_f64 v[12:13], v[18:19], v[23:24], v[12:13]
	s_waitcnt vmcnt(2)
	v_fma_f64 v[7:8], v[30:31], v[23:24], v[8:9]
	v_lshlrev_b64 v[18:19], 3, v[16:17]
	v_add_nc_u32_e32 v16, -1, v14
	v_lshlrev_b64 v[23:24], 3, v[16:17]
	v_add_nc_u32_e32 v16, -14, v14
	v_add_co_u32 v18, vcc_lo, s12, v18
	v_add_co_ci_u32_e64 v19, null, s13, v19, vcc_lo
	v_lshlrev_b64 v[30:31], 3, v[16:17]
	v_add_nc_u32_e32 v16, 6, v22
	v_add_co_u32 v21, vcc_lo, s12, v23
	v_add_co_ci_u32_e64 v22, null, s13, v24, vcc_lo
	v_lshlrev_b64 v[15:16], 3, v[16:17]
	v_add_co_u32 v23, vcc_lo, s12, v30
	v_add_co_ci_u32_e64 v24, null, s13, v31, vcc_lo
	s_waitcnt vmcnt(0)
	v_fma_f64 v[9:10], v[25:26], v[32:33], v[10:11]
	v_add_co_u32 v30, vcc_lo, s14, v15
	v_add_co_ci_u32_e64 v31, null, s15, v16, vcc_lo
	v_add_nc_u32_e32 v16, -7, v14
	v_add_nc_u32_e32 v14, 0x540, v14
	v_lshlrev_b64 v[15:16], 3, v[16:17]
	v_add_co_u32 v15, vcc_lo, s12, v15
	v_add_co_ci_u32_e64 v16, null, s13, v16, vcc_lo
	s_clause 0x2
	global_load_dwordx2 v[25:26], v[36:37], off
	global_load_dwordx2 v[34:35], v[38:39], off
	global_load_dwordx2 v[36:37], v[40:41], off
	global_load_dwordx2 v[38:39], v[42:43], off
	s_clause 0x2
	global_load_dwordx2 v[40:41], v[44:45], off
	global_load_dwordx2 v[42:43], v[46:47], off
	global_load_dwordx2 v[44:45], v[48:49], off
	global_load_dwordx2 v[46:47], v[50:51], off
	;; [unrolled: 5-line block ×5, first 2 shown]
	global_load_dwordx2 v[29:30], v[30:31], off
	global_load_dwordx2 v[15:16], v[15:16], off
	v_cmp_ge_i32_e32 vcc_lo, v6, v20
	s_or_b32 s0, vcc_lo, s0
	s_waitcnt vmcnt(21)
	v_fma_f64 v[11:12], v[25:26], v[32:33], v[12:13]
	s_waitcnt vmcnt(20)
	v_fma_f64 v[7:8], v[34:35], v[32:33], v[7:8]
	;; [unrolled: 2-line block ×16, first 2 shown]
	v_fma_f64 v[8:9], v[27:28], v[29:30], v[7:8]
	s_andn2_b32 exec_lo, exec_lo, s0
	s_cbranch_execnz .LBB66_15
; %bb.16:
	s_or_b32 exec_lo, exec_lo, s0
.LBB66_17:
	s_or_b32 exec_lo, exec_lo, s1
.LBB66_18:
	v_mbcnt_lo_u32_b32 v18, -1, 0
	v_or_b32_e32 v6, 32, v18
	v_cmp_gt_i32_e32 vcc_lo, 32, v6
	v_cndmask_b32_e32 v6, v18, v6, vcc_lo
	v_lshlrev_b32_e32 v17, 2, v6
	ds_bpermute_b32 v6, v17, v10
	ds_bpermute_b32 v7, v17, v11
	;; [unrolled: 1-line block ×6, first 2 shown]
	s_waitcnt lgkmcnt(4)
	v_add_f64 v[6:7], v[10:11], v[6:7]
	s_waitcnt lgkmcnt(2)
	v_add_f64 v[10:11], v[12:13], v[14:15]
	v_xor_b32_e32 v12, 16, v18
	s_waitcnt lgkmcnt(0)
	v_add_f64 v[8:9], v[8:9], v[16:17]
	v_cmp_gt_i32_e32 vcc_lo, 32, v12
	v_cndmask_b32_e32 v12, v18, v12, vcc_lo
	v_lshlrev_b32_e32 v17, 2, v12
	ds_bpermute_b32 v12, v17, v6
	ds_bpermute_b32 v13, v17, v7
	;; [unrolled: 1-line block ×6, first 2 shown]
	s_waitcnt lgkmcnt(4)
	v_add_f64 v[6:7], v[6:7], v[12:13]
	v_xor_b32_e32 v12, 8, v18
	s_waitcnt lgkmcnt(2)
	v_add_f64 v[10:11], v[10:11], v[14:15]
	s_waitcnt lgkmcnt(0)
	v_add_f64 v[8:9], v[8:9], v[16:17]
	v_cmp_gt_i32_e32 vcc_lo, 32, v12
	v_cndmask_b32_e32 v12, v18, v12, vcc_lo
	v_lshlrev_b32_e32 v17, 2, v12
	ds_bpermute_b32 v12, v17, v6
	ds_bpermute_b32 v13, v17, v7
	;; [unrolled: 1-line block ×6, first 2 shown]
	s_waitcnt lgkmcnt(4)
	v_add_f64 v[6:7], v[6:7], v[12:13]
	v_xor_b32_e32 v12, 4, v18
	s_waitcnt lgkmcnt(2)
	v_add_f64 v[10:11], v[10:11], v[14:15]
	s_waitcnt lgkmcnt(0)
	v_add_f64 v[8:9], v[8:9], v[16:17]
	v_cmp_gt_i32_e32 vcc_lo, 32, v12
	v_cndmask_b32_e32 v12, v18, v12, vcc_lo
	v_lshlrev_b32_e32 v17, 2, v12
	ds_bpermute_b32 v12, v17, v6
	ds_bpermute_b32 v13, v17, v7
	;; [unrolled: 1-line block ×6, first 2 shown]
	s_waitcnt lgkmcnt(4)
	v_add_f64 v[6:7], v[6:7], v[12:13]
	s_waitcnt lgkmcnt(2)
	v_add_f64 v[10:11], v[10:11], v[14:15]
	;; [unrolled: 2-line block ×3, first 2 shown]
	v_xor_b32_e32 v8, 2, v18
	v_cmp_gt_i32_e32 vcc_lo, 32, v8
	v_cndmask_b32_e32 v8, v18, v8, vcc_lo
	v_lshlrev_b32_e32 v17, 2, v8
	ds_bpermute_b32 v8, v17, v6
	ds_bpermute_b32 v9, v17, v7
	;; [unrolled: 1-line block ×6, first 2 shown]
	s_waitcnt lgkmcnt(4)
	v_add_f64 v[8:9], v[6:7], v[8:9]
	s_waitcnt lgkmcnt(2)
	v_add_f64 v[6:7], v[10:11], v[14:15]
	v_xor_b32_e32 v10, 1, v18
	s_waitcnt lgkmcnt(0)
	v_add_f64 v[12:13], v[12:13], v[16:17]
	v_cmp_gt_i32_e32 vcc_lo, 32, v10
	v_cndmask_b32_e32 v10, v18, v10, vcc_lo
	v_cmp_eq_u32_e32 vcc_lo, 63, v0
	v_lshlrev_b32_e32 v15, 2, v10
	ds_bpermute_b32 v10, v15, v8
	ds_bpermute_b32 v11, v15, v9
	;; [unrolled: 1-line block ×6, first 2 shown]
	s_and_b32 exec_lo, exec_lo, vcc_lo
	s_cbranch_execz .LBB66_23
; %bb.19:
	s_waitcnt lgkmcnt(4)
	v_add_f64 v[10:11], v[8:9], v[10:11]
	s_waitcnt lgkmcnt(2)
	v_add_f64 v[8:9], v[6:7], v[16:17]
	;; [unrolled: 2-line block ×3, first 2 shown]
	s_load_dwordx2 s[0:1], s[4:5], 0x38
	s_mov_b32 s2, exec_lo
	v_cmpx_eq_f64_e32 0, v[3:4]
	s_xor_b32 s2, exec_lo, s2
	s_cbranch_execz .LBB66_21
; %bb.20:
	v_lshl_add_u32 v0, v5, 1, v5
	v_mul_f64 v[10:11], v[1:2], v[10:11]
	v_mul_f64 v[12:13], v[1:2], v[8:9]
	;; [unrolled: 1-line block ×3, first 2 shown]
                                        ; implicit-def: $vgpr5
                                        ; implicit-def: $vgpr8_vgpr9
                                        ; implicit-def: $vgpr6_vgpr7
	v_ashrrev_i32_e32 v1, 31, v0
	v_lshlrev_b64 v[0:1], 3, v[0:1]
	s_waitcnt lgkmcnt(0)
	v_add_co_u32 v0, vcc_lo, s0, v0
	v_add_co_ci_u32_e64 v1, null, s1, v1, vcc_lo
	global_store_dwordx4 v[0:1], v[10:13], off
	global_store_dwordx2 v[0:1], v[2:3], off offset:16
                                        ; implicit-def: $vgpr1_vgpr2
                                        ; implicit-def: $vgpr10_vgpr11
                                        ; implicit-def: $vgpr3_vgpr4
.LBB66_21:
	s_andn2_saveexec_b32 s2, s2
	s_cbranch_execz .LBB66_23
; %bb.22:
	v_lshl_add_u32 v12, v5, 1, v5
	v_mul_f64 v[10:11], v[1:2], v[10:11]
	v_mul_f64 v[8:9], v[1:2], v[8:9]
	;; [unrolled: 1-line block ×3, first 2 shown]
	v_ashrrev_i32_e32 v13, 31, v12
	v_lshlrev_b64 v[12:13], 3, v[12:13]
	s_waitcnt lgkmcnt(0)
	v_add_co_u32 v16, vcc_lo, s0, v12
	v_add_co_ci_u32_e64 v17, null, s1, v13, vcc_lo
	s_clause 0x1
	global_load_dwordx4 v[12:15], v[16:17], off
	global_load_dwordx2 v[18:19], v[16:17], off offset:16
	s_waitcnt vmcnt(1)
	v_fma_f64 v[5:6], v[3:4], v[12:13], v[10:11]
	v_fma_f64 v[7:8], v[3:4], v[14:15], v[8:9]
	s_waitcnt vmcnt(0)
	v_fma_f64 v[0:1], v[3:4], v[18:19], v[0:1]
	global_store_dwordx4 v[16:17], v[5:8], off
	global_store_dwordx2 v[16:17], v[0:1], off offset:16
.LBB66_23:
	s_endpgm
	.section	.rodata,"a",@progbits
	.p2align	6, 0x0
	.amdhsa_kernel _ZN9rocsparseL19gebsrmvn_3xn_kernelILj128ELj7ELj64EdEEvi20rocsparse_direction_NS_24const_host_device_scalarIT2_EEPKiS6_PKS3_S8_S4_PS3_21rocsparse_index_base_b
		.amdhsa_group_segment_fixed_size 0
		.amdhsa_private_segment_fixed_size 0
		.amdhsa_kernarg_size 72
		.amdhsa_user_sgpr_count 6
		.amdhsa_user_sgpr_private_segment_buffer 1
		.amdhsa_user_sgpr_dispatch_ptr 0
		.amdhsa_user_sgpr_queue_ptr 0
		.amdhsa_user_sgpr_kernarg_segment_ptr 1
		.amdhsa_user_sgpr_dispatch_id 0
		.amdhsa_user_sgpr_flat_scratch_init 0
		.amdhsa_user_sgpr_private_segment_size 0
		.amdhsa_wavefront_size32 1
		.amdhsa_uses_dynamic_stack 0
		.amdhsa_system_sgpr_private_segment_wavefront_offset 0
		.amdhsa_system_sgpr_workgroup_id_x 1
		.amdhsa_system_sgpr_workgroup_id_y 0
		.amdhsa_system_sgpr_workgroup_id_z 0
		.amdhsa_system_sgpr_workgroup_info 0
		.amdhsa_system_vgpr_workitem_id 0
		.amdhsa_next_free_vgpr 75
		.amdhsa_next_free_sgpr 16
		.amdhsa_reserve_vcc 1
		.amdhsa_reserve_flat_scratch 0
		.amdhsa_float_round_mode_32 0
		.amdhsa_float_round_mode_16_64 0
		.amdhsa_float_denorm_mode_32 3
		.amdhsa_float_denorm_mode_16_64 3
		.amdhsa_dx10_clamp 1
		.amdhsa_ieee_mode 1
		.amdhsa_fp16_overflow 0
		.amdhsa_workgroup_processor_mode 1
		.amdhsa_memory_ordered 1
		.amdhsa_forward_progress 1
		.amdhsa_shared_vgpr_count 0
		.amdhsa_exception_fp_ieee_invalid_op 0
		.amdhsa_exception_fp_denorm_src 0
		.amdhsa_exception_fp_ieee_div_zero 0
		.amdhsa_exception_fp_ieee_overflow 0
		.amdhsa_exception_fp_ieee_underflow 0
		.amdhsa_exception_fp_ieee_inexact 0
		.amdhsa_exception_int_div_zero 0
	.end_amdhsa_kernel
	.section	.text._ZN9rocsparseL19gebsrmvn_3xn_kernelILj128ELj7ELj64EdEEvi20rocsparse_direction_NS_24const_host_device_scalarIT2_EEPKiS6_PKS3_S8_S4_PS3_21rocsparse_index_base_b,"axG",@progbits,_ZN9rocsparseL19gebsrmvn_3xn_kernelILj128ELj7ELj64EdEEvi20rocsparse_direction_NS_24const_host_device_scalarIT2_EEPKiS6_PKS3_S8_S4_PS3_21rocsparse_index_base_b,comdat
.Lfunc_end66:
	.size	_ZN9rocsparseL19gebsrmvn_3xn_kernelILj128ELj7ELj64EdEEvi20rocsparse_direction_NS_24const_host_device_scalarIT2_EEPKiS6_PKS3_S8_S4_PS3_21rocsparse_index_base_b, .Lfunc_end66-_ZN9rocsparseL19gebsrmvn_3xn_kernelILj128ELj7ELj64EdEEvi20rocsparse_direction_NS_24const_host_device_scalarIT2_EEPKiS6_PKS3_S8_S4_PS3_21rocsparse_index_base_b
                                        ; -- End function
	.set _ZN9rocsparseL19gebsrmvn_3xn_kernelILj128ELj7ELj64EdEEvi20rocsparse_direction_NS_24const_host_device_scalarIT2_EEPKiS6_PKS3_S8_S4_PS3_21rocsparse_index_base_b.num_vgpr, 75
	.set _ZN9rocsparseL19gebsrmvn_3xn_kernelILj128ELj7ELj64EdEEvi20rocsparse_direction_NS_24const_host_device_scalarIT2_EEPKiS6_PKS3_S8_S4_PS3_21rocsparse_index_base_b.num_agpr, 0
	.set _ZN9rocsparseL19gebsrmvn_3xn_kernelILj128ELj7ELj64EdEEvi20rocsparse_direction_NS_24const_host_device_scalarIT2_EEPKiS6_PKS3_S8_S4_PS3_21rocsparse_index_base_b.numbered_sgpr, 16
	.set _ZN9rocsparseL19gebsrmvn_3xn_kernelILj128ELj7ELj64EdEEvi20rocsparse_direction_NS_24const_host_device_scalarIT2_EEPKiS6_PKS3_S8_S4_PS3_21rocsparse_index_base_b.num_named_barrier, 0
	.set _ZN9rocsparseL19gebsrmvn_3xn_kernelILj128ELj7ELj64EdEEvi20rocsparse_direction_NS_24const_host_device_scalarIT2_EEPKiS6_PKS3_S8_S4_PS3_21rocsparse_index_base_b.private_seg_size, 0
	.set _ZN9rocsparseL19gebsrmvn_3xn_kernelILj128ELj7ELj64EdEEvi20rocsparse_direction_NS_24const_host_device_scalarIT2_EEPKiS6_PKS3_S8_S4_PS3_21rocsparse_index_base_b.uses_vcc, 1
	.set _ZN9rocsparseL19gebsrmvn_3xn_kernelILj128ELj7ELj64EdEEvi20rocsparse_direction_NS_24const_host_device_scalarIT2_EEPKiS6_PKS3_S8_S4_PS3_21rocsparse_index_base_b.uses_flat_scratch, 0
	.set _ZN9rocsparseL19gebsrmvn_3xn_kernelILj128ELj7ELj64EdEEvi20rocsparse_direction_NS_24const_host_device_scalarIT2_EEPKiS6_PKS3_S8_S4_PS3_21rocsparse_index_base_b.has_dyn_sized_stack, 0
	.set _ZN9rocsparseL19gebsrmvn_3xn_kernelILj128ELj7ELj64EdEEvi20rocsparse_direction_NS_24const_host_device_scalarIT2_EEPKiS6_PKS3_S8_S4_PS3_21rocsparse_index_base_b.has_recursion, 0
	.set _ZN9rocsparseL19gebsrmvn_3xn_kernelILj128ELj7ELj64EdEEvi20rocsparse_direction_NS_24const_host_device_scalarIT2_EEPKiS6_PKS3_S8_S4_PS3_21rocsparse_index_base_b.has_indirect_call, 0
	.section	.AMDGPU.csdata,"",@progbits
; Kernel info:
; codeLenInByte = 4016
; TotalNumSgprs: 18
; NumVgprs: 75
; ScratchSize: 0
; MemoryBound: 0
; FloatMode: 240
; IeeeMode: 1
; LDSByteSize: 0 bytes/workgroup (compile time only)
; SGPRBlocks: 0
; VGPRBlocks: 9
; NumSGPRsForWavesPerEU: 18
; NumVGPRsForWavesPerEU: 75
; Occupancy: 12
; WaveLimiterHint : 1
; COMPUTE_PGM_RSRC2:SCRATCH_EN: 0
; COMPUTE_PGM_RSRC2:USER_SGPR: 6
; COMPUTE_PGM_RSRC2:TRAP_HANDLER: 0
; COMPUTE_PGM_RSRC2:TGID_X_EN: 1
; COMPUTE_PGM_RSRC2:TGID_Y_EN: 0
; COMPUTE_PGM_RSRC2:TGID_Z_EN: 0
; COMPUTE_PGM_RSRC2:TIDIG_COMP_CNT: 0
	.section	.text._ZN9rocsparseL19gebsrmvn_3xn_kernelILj128ELj8ELj4EdEEvi20rocsparse_direction_NS_24const_host_device_scalarIT2_EEPKiS6_PKS3_S8_S4_PS3_21rocsparse_index_base_b,"axG",@progbits,_ZN9rocsparseL19gebsrmvn_3xn_kernelILj128ELj8ELj4EdEEvi20rocsparse_direction_NS_24const_host_device_scalarIT2_EEPKiS6_PKS3_S8_S4_PS3_21rocsparse_index_base_b,comdat
	.globl	_ZN9rocsparseL19gebsrmvn_3xn_kernelILj128ELj8ELj4EdEEvi20rocsparse_direction_NS_24const_host_device_scalarIT2_EEPKiS6_PKS3_S8_S4_PS3_21rocsparse_index_base_b ; -- Begin function _ZN9rocsparseL19gebsrmvn_3xn_kernelILj128ELj8ELj4EdEEvi20rocsparse_direction_NS_24const_host_device_scalarIT2_EEPKiS6_PKS3_S8_S4_PS3_21rocsparse_index_base_b
	.p2align	8
	.type	_ZN9rocsparseL19gebsrmvn_3xn_kernelILj128ELj8ELj4EdEEvi20rocsparse_direction_NS_24const_host_device_scalarIT2_EEPKiS6_PKS3_S8_S4_PS3_21rocsparse_index_base_b,@function
_ZN9rocsparseL19gebsrmvn_3xn_kernelILj128ELj8ELj4EdEEvi20rocsparse_direction_NS_24const_host_device_scalarIT2_EEPKiS6_PKS3_S8_S4_PS3_21rocsparse_index_base_b: ; @_ZN9rocsparseL19gebsrmvn_3xn_kernelILj128ELj8ELj4EdEEvi20rocsparse_direction_NS_24const_host_device_scalarIT2_EEPKiS6_PKS3_S8_S4_PS3_21rocsparse_index_base_b
; %bb.0:
	s_clause 0x2
	s_load_dwordx2 s[2:3], s[4:5], 0x40
	s_load_dwordx2 s[8:9], s[4:5], 0x8
	;; [unrolled: 1-line block ×3, first 2 shown]
	s_waitcnt lgkmcnt(0)
	s_bitcmp1_b32 s3, 0
	v_mov_b32_e32 v1, s8
	v_mov_b32_e32 v2, s9
	s_cselect_b32 s3, -1, 0
	s_and_b32 vcc_lo, exec_lo, s3
	s_xor_b32 s3, s3, -1
	s_cbranch_vccnz .LBB67_2
; %bb.1:
	v_mov_b32_e32 v1, s8
	v_mov_b32_e32 v2, s9
	flat_load_dwordx2 v[1:2], v[1:2]
.LBB67_2:
	v_mov_b32_e32 v4, s1
	v_mov_b32_e32 v3, s0
	s_andn2_b32 vcc_lo, exec_lo, s3
	s_cbranch_vccnz .LBB67_4
; %bb.3:
	v_mov_b32_e32 v4, s1
	v_mov_b32_e32 v3, s0
	flat_load_dwordx2 v[3:4], v[3:4]
.LBB67_4:
	s_waitcnt vmcnt(0) lgkmcnt(0)
	v_cmp_neq_f64_e32 vcc_lo, 0, v[1:2]
	v_cmp_neq_f64_e64 s0, 1.0, v[3:4]
	s_or_b32 s0, vcc_lo, s0
	s_and_saveexec_b32 s1, s0
	s_cbranch_execz .LBB67_23
; %bb.5:
	s_load_dwordx2 s[0:1], s[4:5], 0x0
	v_lshrrev_b32_e32 v5, 2, v0
	v_lshl_or_b32 v5, s6, 5, v5
	s_waitcnt lgkmcnt(0)
	v_cmp_gt_i32_e32 vcc_lo, s0, v5
	s_and_b32 exec_lo, exec_lo, vcc_lo
	s_cbranch_execz .LBB67_23
; %bb.6:
	s_load_dwordx8 s[8:15], s[4:5], 0x10
	v_ashrrev_i32_e32 v6, 31, v5
	v_and_b32_e32 v0, 3, v0
	s_cmp_lg_u32 s1, 0
	v_lshlrev_b64 v[6:7], 2, v[5:6]
	s_waitcnt lgkmcnt(0)
	v_add_co_u32 v6, vcc_lo, s8, v6
	v_add_co_ci_u32_e64 v7, null, s9, v7, vcc_lo
	global_load_dwordx2 v[6:7], v[6:7], off
	s_waitcnt vmcnt(0)
	v_subrev_nc_u32_e32 v6, s2, v6
	v_subrev_nc_u32_e32 v20, s2, v7
	v_add_nc_u32_e32 v6, v6, v0
	v_cmp_lt_i32_e64 s0, v6, v20
	s_cbranch_scc0 .LBB67_12
; %bb.7:
	v_mov_b32_e32 v10, 0
	v_mov_b32_e32 v8, 0
	;; [unrolled: 1-line block ×6, first 2 shown]
	s_and_saveexec_b32 s1, s0
	s_cbranch_execz .LBB67_11
; %bb.8:
	v_mad_u64_u32 v[14:15], null, v6, 24, 23
	v_mov_b32_e32 v10, 0
	v_mov_b32_e32 v8, 0
	;; [unrolled: 1-line block ×8, first 2 shown]
	s_mov_b32 s3, 0
.LBB67_9:                               ; =>This Inner Loop Header: Depth=1
	v_ashrrev_i32_e32 v19, 31, v18
	v_mov_b32_e32 v38, v17
	v_lshlrev_b64 v[15:16], 2, v[18:19]
	v_add_nc_u32_e32 v18, 4, v18
	v_add_co_u32 v15, vcc_lo, s10, v15
	v_add_co_ci_u32_e64 v16, null, s11, v16, vcc_lo
	global_load_dword v7, v[15:16], off
	v_subrev_nc_u32_e32 v16, 23, v14
	v_mov_b32_e32 v15, v17
	v_lshlrev_b64 v[21:22], 3, v[16:17]
	v_add_nc_u32_e32 v16, -15, v14
	v_lshlrev_b64 v[23:24], 3, v[14:15]
	v_lshlrev_b64 v[39:40], 3, v[16:17]
	v_add_nc_u32_e32 v16, -14, v14
	v_add_co_u32 v33, vcc_lo, s12, v21
	v_add_co_ci_u32_e64 v34, null, s13, v22, vcc_lo
	v_lshlrev_b64 v[41:42], 3, v[16:17]
	v_add_co_u32 v45, vcc_lo, s12, v23
	v_add_nc_u32_e32 v16, -13, v14
	v_add_co_ci_u32_e64 v46, null, s13, v24, vcc_lo
	v_add_co_u32 v39, vcc_lo, s12, v39
	v_add_co_ci_u32_e64 v40, null, s13, v40, vcc_lo
	v_add_co_u32 v41, vcc_lo, s12, v41
	v_lshlrev_b64 v[43:44], 3, v[16:17]
	v_add_nc_u32_e32 v16, -12, v14
	v_add_co_ci_u32_e64 v42, null, s13, v42, vcc_lo
	s_clause 0x5
	global_load_dwordx4 v[21:24], v[33:34], off offset:16
	global_load_dwordx4 v[25:28], v[33:34], off
	global_load_dwordx4 v[29:32], v[33:34], off offset:32
	global_load_dwordx4 v[33:36], v[33:34], off offset:48
	global_load_dwordx2 v[47:48], v[39:40], off
	global_load_dwordx2 v[49:50], v[41:42], off
	v_lshlrev_b64 v[39:40], 3, v[16:17]
	v_add_nc_u32_e32 v16, -11, v14
	v_add_co_u32 v41, vcc_lo, s12, v43
	v_add_co_ci_u32_e64 v42, null, s13, v44, vcc_lo
	v_lshlrev_b64 v[43:44], 3, v[16:17]
	v_add_nc_u32_e32 v16, -10, v14
	v_add_co_u32 v39, vcc_lo, s12, v39
	v_add_co_ci_u32_e64 v40, null, s13, v40, vcc_lo
	;; [unrolled: 4-line block ×3, first 2 shown]
	v_lshlrev_b64 v[59:60], 3, v[16:17]
	s_clause 0x1
	global_load_dwordx2 v[51:52], v[41:42], off
	global_load_dwordx2 v[55:56], v[39:40], off
	s_waitcnt vmcnt(8)
	v_subrev_nc_u32_e32 v7, s2, v7
	v_lshlrev_b32_e32 v37, 3, v7
	v_lshlrev_b64 v[15:16], 3, v[37:38]
	v_add_co_u32 v61, vcc_lo, s14, v15
	v_add_co_ci_u32_e64 v62, null, s15, v16, vcc_lo
	v_add_co_u32 v53, vcc_lo, s12, v53
	v_add_co_ci_u32_e64 v54, null, s13, v54, vcc_lo
	s_clause 0x1
	global_load_dwordx4 v[37:40], v[61:62], off
	global_load_dwordx4 v[41:44], v[61:62], off offset:16
	v_add_co_u32 v59, vcc_lo, s12, v59
	v_add_nc_u32_e32 v16, -8, v14
	v_add_co_ci_u32_e64 v60, null, s13, v60, vcc_lo
	s_clause 0x1
	global_load_dwordx2 v[57:58], v[57:58], off
	global_load_dwordx2 v[53:54], v[53:54], off
	v_lshlrev_b64 v[63:64], 3, v[16:17]
	v_add_nc_u32_e32 v16, -7, v14
	global_load_dwordx2 v[59:60], v[59:60], off
	v_lshlrev_b64 v[65:66], 3, v[16:17]
	v_add_nc_u32_e32 v16, -6, v14
	v_add_co_u32 v63, vcc_lo, s12, v63
	v_add_co_ci_u32_e64 v64, null, s13, v64, vcc_lo
	s_waitcnt vmcnt(4)
	v_fma_f64 v[25:26], v[25:26], v[37:38], v[10:11]
	v_fma_f64 v[27:28], v[27:28], v[37:38], v[12:13]
	global_load_dwordx4 v[10:13], v[61:62], off offset:32
	v_fma_f64 v[7:8], v[21:22], v[37:38], v[8:9]
	v_lshlrev_b64 v[21:22], 3, v[16:17]
	v_add_nc_u32_e32 v16, -5, v14
	global_load_dwordx2 v[37:38], v[63:64], off
	v_lshlrev_b64 v[63:64], 3, v[16:17]
	v_add_nc_u32_e32 v16, -4, v14
	v_fma_f64 v[25:26], v[23:24], v[39:40], v[25:26]
	v_add_co_u32 v23, vcc_lo, s12, v65
	v_add_co_ci_u32_e64 v24, null, s13, v66, vcc_lo
	v_add_co_u32 v21, vcc_lo, s12, v21
	v_add_co_ci_u32_e64 v22, null, s13, v22, vcc_lo
	global_load_dwordx2 v[65:66], v[23:24], off
	v_fma_f64 v[27:28], v[29:30], v[39:40], v[27:28]
	v_fma_f64 v[7:8], v[31:32], v[39:40], v[7:8]
	global_load_dwordx2 v[29:30], v[21:22], off
	v_lshlrev_b64 v[23:24], 3, v[16:17]
	v_add_nc_u32_e32 v16, -3, v14
	v_add_co_u32 v21, vcc_lo, s12, v63
	v_add_co_ci_u32_e64 v22, null, s13, v64, vcc_lo
	v_lshlrev_b64 v[15:16], 3, v[16:17]
	v_add_co_u32 v23, vcc_lo, s12, v23
	v_add_co_ci_u32_e64 v24, null, s13, v24, vcc_lo
	global_load_dwordx2 v[31:32], v[21:22], off
	v_add_co_u32 v15, vcc_lo, s12, v15
	v_add_co_ci_u32_e64 v16, null, s13, v16, vcc_lo
	s_clause 0x1
	global_load_dwordx2 v[39:40], v[23:24], off
	global_load_dwordx2 v[63:64], v[15:16], off
	global_load_dwordx4 v[21:24], v[61:62], off offset:48
	v_add_nc_u32_e32 v16, -2, v14
	s_waitcnt vmcnt(11)
	v_fma_f64 v[25:26], v[33:34], v[41:42], v[25:26]
	v_fma_f64 v[27:28], v[35:36], v[41:42], v[27:28]
	;; [unrolled: 1-line block ×3, first 2 shown]
	v_lshlrev_b64 v[61:62], 3, v[16:17]
	v_add_nc_u32_e32 v16, -1, v14
	v_add_nc_u32_e32 v14, 0x60, v14
	v_lshlrev_b64 v[15:16], 3, v[16:17]
	v_add_co_u32 v33, vcc_lo, s12, v61
	v_add_co_ci_u32_e64 v34, null, s13, v62, vcc_lo
	v_add_co_u32 v15, vcc_lo, s12, v15
	v_add_co_ci_u32_e64 v16, null, s13, v16, vcc_lo
	s_clause 0x2
	global_load_dwordx2 v[35:36], v[45:46], off
	global_load_dwordx2 v[33:34], v[33:34], off
	;; [unrolled: 1-line block ×3, first 2 shown]
	v_fma_f64 v[25:26], v[49:50], v[43:44], v[25:26]
	v_fma_f64 v[27:28], v[51:52], v[43:44], v[27:28]
	;; [unrolled: 1-line block ×3, first 2 shown]
	v_cmp_ge_i32_e32 vcc_lo, v18, v20
	s_or_b32 s3, vcc_lo, s3
	s_waitcnt vmcnt(10)
	v_fma_f64 v[25:26], v[57:58], v[10:11], v[25:26]
	v_fma_f64 v[27:28], v[53:54], v[10:11], v[27:28]
	;; [unrolled: 1-line block ×3, first 2 shown]
	s_waitcnt vmcnt(9)
	v_fma_f64 v[9:10], v[37:38], v[12:13], v[25:26]
	s_waitcnt vmcnt(8)
	v_fma_f64 v[25:26], v[65:66], v[12:13], v[27:28]
	;; [unrolled: 2-line block ×4, first 2 shown]
	v_fma_f64 v[12:13], v[39:40], v[21:22], v[25:26]
	v_fma_f64 v[7:8], v[63:64], v[21:22], v[7:8]
	s_waitcnt vmcnt(1)
	v_fma_f64 v[10:11], v[33:34], v[23:24], v[9:10]
	s_waitcnt vmcnt(0)
	v_fma_f64 v[12:13], v[15:16], v[23:24], v[12:13]
	v_fma_f64 v[8:9], v[35:36], v[23:24], v[7:8]
	s_andn2_b32 exec_lo, exec_lo, s3
	s_cbranch_execnz .LBB67_9
; %bb.10:
	s_or_b32 exec_lo, exec_lo, s3
.LBB67_11:
	s_or_b32 exec_lo, exec_lo, s1
	s_cbranch_execz .LBB67_13
	s_branch .LBB67_18
.LBB67_12:
                                        ; implicit-def: $vgpr10_vgpr11
                                        ; implicit-def: $vgpr8_vgpr9
                                        ; implicit-def: $vgpr12_vgpr13
.LBB67_13:
	v_mov_b32_e32 v10, 0
	v_mov_b32_e32 v8, 0
	;; [unrolled: 1-line block ×6, first 2 shown]
	s_and_saveexec_b32 s1, s0
	s_cbranch_execz .LBB67_17
; %bb.14:
	v_mad_u64_u32 v[14:15], null, v6, 24, 23
	v_mov_b32_e32 v10, 0
	v_mov_b32_e32 v8, 0
	;; [unrolled: 1-line block ×7, first 2 shown]
	s_mov_b32 s0, 0
.LBB67_15:                              ; =>This Inner Loop Header: Depth=1
	v_ashrrev_i32_e32 v7, 31, v6
	v_subrev_nc_u32_e32 v16, 23, v14
	v_add_nc_u32_e32 v18, -15, v14
	v_mov_b32_e32 v19, v17
	v_add_nc_u32_e32 v21, -7, v14
	v_lshlrev_b64 v[27:28], 2, v[6:7]
	v_mov_b32_e32 v22, v17
	v_lshlrev_b64 v[23:24], 3, v[16:17]
	v_lshlrev_b64 v[18:19], 3, v[18:19]
	v_mov_b32_e32 v15, v17
	v_add_nc_u32_e32 v16, -14, v14
	v_lshlrev_b64 v[21:22], 3, v[21:22]
	v_add_co_u32 v27, vcc_lo, s10, v27
	v_add_co_ci_u32_e64 v28, null, s11, v28, vcc_lo
	v_add_co_u32 v37, vcc_lo, s12, v23
	v_add_co_ci_u32_e64 v38, null, s13, v24, vcc_lo
	;; [unrolled: 2-line block ×4, first 2 shown]
	global_load_dword v7, v[27:28], off
	s_clause 0x2
	global_load_dwordx4 v[21:24], v[37:38], off
	global_load_dwordx2 v[18:19], v[18:19], off
	global_load_dwordx2 v[39:40], v[33:34], off
	v_lshlrev_b64 v[29:30], 3, v[14:15]
	v_lshlrev_b64 v[31:32], 3, v[16:17]
	v_add_nc_u32_e32 v16, -6, v14
	v_mov_b32_e32 v26, v17
	v_add_nc_u32_e32 v6, 4, v6
	v_add_co_u32 v41, vcc_lo, s12, v29
	v_add_co_ci_u32_e64 v42, null, s13, v30, vcc_lo
	v_lshlrev_b64 v[29:30], 3, v[16:17]
	v_add_nc_u32_e32 v16, -13, v14
	v_add_co_u32 v27, vcc_lo, s12, v31
	v_add_co_ci_u32_e64 v28, null, s13, v32, vcc_lo
	v_add_co_u32 v29, vcc_lo, s12, v29
	v_lshlrev_b64 v[31:32], 3, v[16:17]
	v_add_nc_u32_e32 v16, -5, v14
	v_add_co_ci_u32_e64 v30, null, s13, v30, vcc_lo
	global_load_dwordx2 v[43:44], v[27:28], off
	v_add_co_u32 v47, vcc_lo, s12, v31
	global_load_dwordx2 v[45:46], v[29:30], off
	v_lshlrev_b64 v[27:28], 3, v[16:17]
	v_add_nc_u32_e32 v16, -12, v14
	v_add_co_ci_u32_e64 v48, null, s13, v32, vcc_lo
	v_lshlrev_b64 v[29:30], 3, v[16:17]
	v_add_nc_u32_e32 v16, -4, v14
	v_add_co_u32 v49, vcc_lo, s12, v27
	v_add_co_ci_u32_e64 v50, null, s13, v28, vcc_lo
	v_lshlrev_b64 v[27:28], 3, v[16:17]
	v_add_nc_u32_e32 v16, -11, v14
	v_add_co_u32 v51, vcc_lo, s12, v29
	;; [unrolled: 4-line block ×6, first 2 shown]
	v_add_co_ci_u32_e64 v60, null, s13, v30, vcc_lo
	v_lshlrev_b64 v[15:16], 3, v[16:17]
	v_add_co_u32 v61, vcc_lo, s12, v27
	v_add_co_ci_u32_e64 v62, null, s13, v28, vcc_lo
	v_add_co_u32 v63, vcc_lo, s12, v15
	v_add_co_ci_u32_e64 v64, null, s13, v16, vcc_lo
	s_waitcnt vmcnt(5)
	v_subrev_nc_u32_e32 v7, s2, v7
	v_lshlrev_b32_e32 v25, 3, v7
	v_lshlrev_b64 v[15:16], 3, v[25:26]
	v_add_co_u32 v65, vcc_lo, s14, v15
	v_add_co_ci_u32_e64 v66, null, s15, v16, vcc_lo
	s_clause 0x1
	global_load_dwordx4 v[25:28], v[65:66], off
	global_load_dwordx4 v[29:32], v[65:66], off offset:16
	s_clause 0x2
	global_load_dwordx4 v[33:36], v[37:38], off offset:16
	global_load_dwordx2 v[47:48], v[47:48], off
	global_load_dwordx2 v[49:50], v[49:50], off
	v_add_nc_u32_e32 v16, -1, v14
	s_waitcnt vmcnt(4)
	v_fma_f64 v[10:11], v[21:22], v[25:26], v[10:11]
	v_fma_f64 v[18:19], v[18:19], v[25:26], v[12:13]
	;; [unrolled: 1-line block ×3, first 2 shown]
	v_lshlrev_b64 v[25:26], 3, v[16:17]
	v_add_nc_u32_e32 v16, -8, v14
	v_add_nc_u32_e32 v14, 0x60, v14
	v_lshlrev_b64 v[15:16], 3, v[16:17]
	v_fma_f64 v[67:68], v[23:24], v[27:28], v[10:11]
	s_clause 0x5
	global_load_dwordx4 v[10:13], v[37:38], off offset:48
	global_load_dwordx4 v[21:24], v[37:38], off offset:32
	global_load_dwordx2 v[51:52], v[51:52], off
	global_load_dwordx2 v[53:54], v[53:54], off
	;; [unrolled: 1-line block ×4, first 2 shown]
	v_add_co_u32 v37, vcc_lo, s12, v25
	v_add_co_ci_u32_e64 v38, null, s13, v26, vcc_lo
	v_fma_f64 v[18:19], v[43:44], v[27:28], v[18:19]
	v_fma_f64 v[7:8], v[45:46], v[27:28], v[7:8]
	global_load_dwordx4 v[25:28], v[65:66], off offset:32
	s_clause 0x3
	global_load_dwordx2 v[43:44], v[59:60], off
	global_load_dwordx2 v[45:46], v[61:62], off
	;; [unrolled: 1-line block ×4, first 2 shown]
	v_add_co_u32 v15, vcc_lo, s12, v15
	v_add_co_ci_u32_e64 v16, null, s13, v16, vcc_lo
	global_load_dwordx4 v[37:40], v[65:66], off offset:48
	s_clause 0x1
	global_load_dwordx2 v[15:16], v[15:16], off
	global_load_dwordx2 v[41:42], v[41:42], off
	v_cmp_ge_i32_e32 vcc_lo, v6, v20
	s_waitcnt vmcnt(16)
	v_fma_f64 v[33:34], v[33:34], v[29:30], v[67:68]
	s_or_b32 s0, vcc_lo, s0
	s_waitcnt vmcnt(15)
	v_fma_f64 v[18:19], v[47:48], v[29:30], v[18:19]
	s_waitcnt vmcnt(14)
	v_fma_f64 v[7:8], v[49:50], v[29:30], v[7:8]
	v_fma_f64 v[29:30], v[35:36], v[31:32], v[33:34]
	s_waitcnt vmcnt(11)
	v_fma_f64 v[18:19], v[51:52], v[31:32], v[18:19]
	s_waitcnt vmcnt(10)
	v_fma_f64 v[7:8], v[53:54], v[31:32], v[7:8]
	s_waitcnt vmcnt(7)
	v_fma_f64 v[21:22], v[21:22], v[25:26], v[29:30]
	v_fma_f64 v[18:19], v[55:56], v[25:26], v[18:19]
	;; [unrolled: 1-line block ×4, first 2 shown]
	s_waitcnt vmcnt(6)
	v_fma_f64 v[18:19], v[43:44], v[27:28], v[18:19]
	s_waitcnt vmcnt(5)
	v_fma_f64 v[7:8], v[45:46], v[27:28], v[7:8]
	;; [unrolled: 2-line block ×3, first 2 shown]
	v_fma_f64 v[18:19], v[59:60], v[37:38], v[18:19]
	v_fma_f64 v[7:8], v[61:62], v[37:38], v[7:8]
	;; [unrolled: 1-line block ×3, first 2 shown]
	s_waitcnt vmcnt(1)
	v_fma_f64 v[12:13], v[15:16], v[39:40], v[18:19]
	s_waitcnt vmcnt(0)
	v_fma_f64 v[8:9], v[41:42], v[39:40], v[7:8]
	s_andn2_b32 exec_lo, exec_lo, s0
	s_cbranch_execnz .LBB67_15
; %bb.16:
	s_or_b32 exec_lo, exec_lo, s0
.LBB67_17:
	s_or_b32 exec_lo, exec_lo, s1
.LBB67_18:
	v_mbcnt_lo_u32_b32 v18, -1, 0
	v_xor_b32_e32 v6, 2, v18
	v_cmp_gt_i32_e32 vcc_lo, 32, v6
	v_cndmask_b32_e32 v6, v18, v6, vcc_lo
	v_lshlrev_b32_e32 v17, 2, v6
	ds_bpermute_b32 v6, v17, v10
	ds_bpermute_b32 v7, v17, v11
	;; [unrolled: 1-line block ×6, first 2 shown]
	s_waitcnt lgkmcnt(4)
	v_add_f64 v[10:11], v[10:11], v[6:7]
	s_waitcnt lgkmcnt(2)
	v_add_f64 v[6:7], v[12:13], v[14:15]
	;; [unrolled: 2-line block ×3, first 2 shown]
	v_xor_b32_e32 v8, 1, v18
	v_cmp_gt_i32_e32 vcc_lo, 32, v8
	v_cndmask_b32_e32 v8, v18, v8, vcc_lo
	v_cmp_eq_u32_e32 vcc_lo, 3, v0
	v_lshlrev_b32_e32 v15, 2, v8
	ds_bpermute_b32 v16, v15, v10
	ds_bpermute_b32 v17, v15, v11
	;; [unrolled: 1-line block ×6, first 2 shown]
	s_and_b32 exec_lo, exec_lo, vcc_lo
	s_cbranch_execz .LBB67_23
; %bb.19:
	s_waitcnt lgkmcnt(4)
	v_add_f64 v[10:11], v[10:11], v[16:17]
	s_waitcnt lgkmcnt(2)
	v_add_f64 v[8:9], v[6:7], v[8:9]
	;; [unrolled: 2-line block ×3, first 2 shown]
	s_load_dwordx2 s[0:1], s[4:5], 0x38
	s_mov_b32 s2, exec_lo
	v_cmpx_eq_f64_e32 0, v[3:4]
	s_xor_b32 s2, exec_lo, s2
	s_cbranch_execz .LBB67_21
; %bb.20:
	v_lshl_add_u32 v0, v5, 1, v5
	v_mul_f64 v[10:11], v[1:2], v[10:11]
	v_mul_f64 v[12:13], v[1:2], v[8:9]
	;; [unrolled: 1-line block ×3, first 2 shown]
                                        ; implicit-def: $vgpr5
                                        ; implicit-def: $vgpr8_vgpr9
                                        ; implicit-def: $vgpr6_vgpr7
	v_ashrrev_i32_e32 v1, 31, v0
	v_lshlrev_b64 v[0:1], 3, v[0:1]
	s_waitcnt lgkmcnt(0)
	v_add_co_u32 v0, vcc_lo, s0, v0
	v_add_co_ci_u32_e64 v1, null, s1, v1, vcc_lo
	global_store_dwordx4 v[0:1], v[10:13], off
	global_store_dwordx2 v[0:1], v[2:3], off offset:16
                                        ; implicit-def: $vgpr1_vgpr2
                                        ; implicit-def: $vgpr10_vgpr11
                                        ; implicit-def: $vgpr3_vgpr4
.LBB67_21:
	s_andn2_saveexec_b32 s2, s2
	s_cbranch_execz .LBB67_23
; %bb.22:
	v_lshl_add_u32 v12, v5, 1, v5
	v_mul_f64 v[10:11], v[1:2], v[10:11]
	v_mul_f64 v[8:9], v[1:2], v[8:9]
	;; [unrolled: 1-line block ×3, first 2 shown]
	v_ashrrev_i32_e32 v13, 31, v12
	v_lshlrev_b64 v[12:13], 3, v[12:13]
	s_waitcnt lgkmcnt(0)
	v_add_co_u32 v16, vcc_lo, s0, v12
	v_add_co_ci_u32_e64 v17, null, s1, v13, vcc_lo
	s_clause 0x1
	global_load_dwordx4 v[12:15], v[16:17], off
	global_load_dwordx2 v[18:19], v[16:17], off offset:16
	s_waitcnt vmcnt(1)
	v_fma_f64 v[5:6], v[3:4], v[12:13], v[10:11]
	v_fma_f64 v[7:8], v[3:4], v[14:15], v[8:9]
	s_waitcnt vmcnt(0)
	v_fma_f64 v[0:1], v[3:4], v[18:19], v[0:1]
	global_store_dwordx4 v[16:17], v[5:8], off
	global_store_dwordx2 v[16:17], v[0:1], off offset:16
.LBB67_23:
	s_endpgm
	.section	.rodata,"a",@progbits
	.p2align	6, 0x0
	.amdhsa_kernel _ZN9rocsparseL19gebsrmvn_3xn_kernelILj128ELj8ELj4EdEEvi20rocsparse_direction_NS_24const_host_device_scalarIT2_EEPKiS6_PKS3_S8_S4_PS3_21rocsparse_index_base_b
		.amdhsa_group_segment_fixed_size 0
		.amdhsa_private_segment_fixed_size 0
		.amdhsa_kernarg_size 72
		.amdhsa_user_sgpr_count 6
		.amdhsa_user_sgpr_private_segment_buffer 1
		.amdhsa_user_sgpr_dispatch_ptr 0
		.amdhsa_user_sgpr_queue_ptr 0
		.amdhsa_user_sgpr_kernarg_segment_ptr 1
		.amdhsa_user_sgpr_dispatch_id 0
		.amdhsa_user_sgpr_flat_scratch_init 0
		.amdhsa_user_sgpr_private_segment_size 0
		.amdhsa_wavefront_size32 1
		.amdhsa_uses_dynamic_stack 0
		.amdhsa_system_sgpr_private_segment_wavefront_offset 0
		.amdhsa_system_sgpr_workgroup_id_x 1
		.amdhsa_system_sgpr_workgroup_id_y 0
		.amdhsa_system_sgpr_workgroup_id_z 0
		.amdhsa_system_sgpr_workgroup_info 0
		.amdhsa_system_vgpr_workitem_id 0
		.amdhsa_next_free_vgpr 69
		.amdhsa_next_free_sgpr 16
		.amdhsa_reserve_vcc 1
		.amdhsa_reserve_flat_scratch 0
		.amdhsa_float_round_mode_32 0
		.amdhsa_float_round_mode_16_64 0
		.amdhsa_float_denorm_mode_32 3
		.amdhsa_float_denorm_mode_16_64 3
		.amdhsa_dx10_clamp 1
		.amdhsa_ieee_mode 1
		.amdhsa_fp16_overflow 0
		.amdhsa_workgroup_processor_mode 1
		.amdhsa_memory_ordered 1
		.amdhsa_forward_progress 1
		.amdhsa_shared_vgpr_count 0
		.amdhsa_exception_fp_ieee_invalid_op 0
		.amdhsa_exception_fp_denorm_src 0
		.amdhsa_exception_fp_ieee_div_zero 0
		.amdhsa_exception_fp_ieee_overflow 0
		.amdhsa_exception_fp_ieee_underflow 0
		.amdhsa_exception_fp_ieee_inexact 0
		.amdhsa_exception_int_div_zero 0
	.end_amdhsa_kernel
	.section	.text._ZN9rocsparseL19gebsrmvn_3xn_kernelILj128ELj8ELj4EdEEvi20rocsparse_direction_NS_24const_host_device_scalarIT2_EEPKiS6_PKS3_S8_S4_PS3_21rocsparse_index_base_b,"axG",@progbits,_ZN9rocsparseL19gebsrmvn_3xn_kernelILj128ELj8ELj4EdEEvi20rocsparse_direction_NS_24const_host_device_scalarIT2_EEPKiS6_PKS3_S8_S4_PS3_21rocsparse_index_base_b,comdat
.Lfunc_end67:
	.size	_ZN9rocsparseL19gebsrmvn_3xn_kernelILj128ELj8ELj4EdEEvi20rocsparse_direction_NS_24const_host_device_scalarIT2_EEPKiS6_PKS3_S8_S4_PS3_21rocsparse_index_base_b, .Lfunc_end67-_ZN9rocsparseL19gebsrmvn_3xn_kernelILj128ELj8ELj4EdEEvi20rocsparse_direction_NS_24const_host_device_scalarIT2_EEPKiS6_PKS3_S8_S4_PS3_21rocsparse_index_base_b
                                        ; -- End function
	.set _ZN9rocsparseL19gebsrmvn_3xn_kernelILj128ELj8ELj4EdEEvi20rocsparse_direction_NS_24const_host_device_scalarIT2_EEPKiS6_PKS3_S8_S4_PS3_21rocsparse_index_base_b.num_vgpr, 69
	.set _ZN9rocsparseL19gebsrmvn_3xn_kernelILj128ELj8ELj4EdEEvi20rocsparse_direction_NS_24const_host_device_scalarIT2_EEPKiS6_PKS3_S8_S4_PS3_21rocsparse_index_base_b.num_agpr, 0
	.set _ZN9rocsparseL19gebsrmvn_3xn_kernelILj128ELj8ELj4EdEEvi20rocsparse_direction_NS_24const_host_device_scalarIT2_EEPKiS6_PKS3_S8_S4_PS3_21rocsparse_index_base_b.numbered_sgpr, 16
	.set _ZN9rocsparseL19gebsrmvn_3xn_kernelILj128ELj8ELj4EdEEvi20rocsparse_direction_NS_24const_host_device_scalarIT2_EEPKiS6_PKS3_S8_S4_PS3_21rocsparse_index_base_b.num_named_barrier, 0
	.set _ZN9rocsparseL19gebsrmvn_3xn_kernelILj128ELj8ELj4EdEEvi20rocsparse_direction_NS_24const_host_device_scalarIT2_EEPKiS6_PKS3_S8_S4_PS3_21rocsparse_index_base_b.private_seg_size, 0
	.set _ZN9rocsparseL19gebsrmvn_3xn_kernelILj128ELj8ELj4EdEEvi20rocsparse_direction_NS_24const_host_device_scalarIT2_EEPKiS6_PKS3_S8_S4_PS3_21rocsparse_index_base_b.uses_vcc, 1
	.set _ZN9rocsparseL19gebsrmvn_3xn_kernelILj128ELj8ELj4EdEEvi20rocsparse_direction_NS_24const_host_device_scalarIT2_EEPKiS6_PKS3_S8_S4_PS3_21rocsparse_index_base_b.uses_flat_scratch, 0
	.set _ZN9rocsparseL19gebsrmvn_3xn_kernelILj128ELj8ELj4EdEEvi20rocsparse_direction_NS_24const_host_device_scalarIT2_EEPKiS6_PKS3_S8_S4_PS3_21rocsparse_index_base_b.has_dyn_sized_stack, 0
	.set _ZN9rocsparseL19gebsrmvn_3xn_kernelILj128ELj8ELj4EdEEvi20rocsparse_direction_NS_24const_host_device_scalarIT2_EEPKiS6_PKS3_S8_S4_PS3_21rocsparse_index_base_b.has_recursion, 0
	.set _ZN9rocsparseL19gebsrmvn_3xn_kernelILj128ELj8ELj4EdEEvi20rocsparse_direction_NS_24const_host_device_scalarIT2_EEPKiS6_PKS3_S8_S4_PS3_21rocsparse_index_base_b.has_indirect_call, 0
	.section	.AMDGPU.csdata,"",@progbits
; Kernel info:
; codeLenInByte = 2964
; TotalNumSgprs: 18
; NumVgprs: 69
; ScratchSize: 0
; MemoryBound: 1
; FloatMode: 240
; IeeeMode: 1
; LDSByteSize: 0 bytes/workgroup (compile time only)
; SGPRBlocks: 0
; VGPRBlocks: 8
; NumSGPRsForWavesPerEU: 18
; NumVGPRsForWavesPerEU: 69
; Occupancy: 12
; WaveLimiterHint : 1
; COMPUTE_PGM_RSRC2:SCRATCH_EN: 0
; COMPUTE_PGM_RSRC2:USER_SGPR: 6
; COMPUTE_PGM_RSRC2:TRAP_HANDLER: 0
; COMPUTE_PGM_RSRC2:TGID_X_EN: 1
; COMPUTE_PGM_RSRC2:TGID_Y_EN: 0
; COMPUTE_PGM_RSRC2:TGID_Z_EN: 0
; COMPUTE_PGM_RSRC2:TIDIG_COMP_CNT: 0
	.section	.text._ZN9rocsparseL19gebsrmvn_3xn_kernelILj128ELj8ELj8EdEEvi20rocsparse_direction_NS_24const_host_device_scalarIT2_EEPKiS6_PKS3_S8_S4_PS3_21rocsparse_index_base_b,"axG",@progbits,_ZN9rocsparseL19gebsrmvn_3xn_kernelILj128ELj8ELj8EdEEvi20rocsparse_direction_NS_24const_host_device_scalarIT2_EEPKiS6_PKS3_S8_S4_PS3_21rocsparse_index_base_b,comdat
	.globl	_ZN9rocsparseL19gebsrmvn_3xn_kernelILj128ELj8ELj8EdEEvi20rocsparse_direction_NS_24const_host_device_scalarIT2_EEPKiS6_PKS3_S8_S4_PS3_21rocsparse_index_base_b ; -- Begin function _ZN9rocsparseL19gebsrmvn_3xn_kernelILj128ELj8ELj8EdEEvi20rocsparse_direction_NS_24const_host_device_scalarIT2_EEPKiS6_PKS3_S8_S4_PS3_21rocsparse_index_base_b
	.p2align	8
	.type	_ZN9rocsparseL19gebsrmvn_3xn_kernelILj128ELj8ELj8EdEEvi20rocsparse_direction_NS_24const_host_device_scalarIT2_EEPKiS6_PKS3_S8_S4_PS3_21rocsparse_index_base_b,@function
_ZN9rocsparseL19gebsrmvn_3xn_kernelILj128ELj8ELj8EdEEvi20rocsparse_direction_NS_24const_host_device_scalarIT2_EEPKiS6_PKS3_S8_S4_PS3_21rocsparse_index_base_b: ; @_ZN9rocsparseL19gebsrmvn_3xn_kernelILj128ELj8ELj8EdEEvi20rocsparse_direction_NS_24const_host_device_scalarIT2_EEPKiS6_PKS3_S8_S4_PS3_21rocsparse_index_base_b
; %bb.0:
	s_clause 0x2
	s_load_dwordx2 s[2:3], s[4:5], 0x40
	s_load_dwordx2 s[8:9], s[4:5], 0x8
	;; [unrolled: 1-line block ×3, first 2 shown]
	s_waitcnt lgkmcnt(0)
	s_bitcmp1_b32 s3, 0
	v_mov_b32_e32 v1, s8
	v_mov_b32_e32 v2, s9
	s_cselect_b32 s3, -1, 0
	s_and_b32 vcc_lo, exec_lo, s3
	s_xor_b32 s3, s3, -1
	s_cbranch_vccnz .LBB68_2
; %bb.1:
	v_mov_b32_e32 v1, s8
	v_mov_b32_e32 v2, s9
	flat_load_dwordx2 v[1:2], v[1:2]
.LBB68_2:
	v_mov_b32_e32 v4, s1
	v_mov_b32_e32 v3, s0
	s_andn2_b32 vcc_lo, exec_lo, s3
	s_cbranch_vccnz .LBB68_4
; %bb.3:
	v_mov_b32_e32 v4, s1
	v_mov_b32_e32 v3, s0
	flat_load_dwordx2 v[3:4], v[3:4]
.LBB68_4:
	s_waitcnt vmcnt(0) lgkmcnt(0)
	v_cmp_neq_f64_e32 vcc_lo, 0, v[1:2]
	v_cmp_neq_f64_e64 s0, 1.0, v[3:4]
	s_or_b32 s0, vcc_lo, s0
	s_and_saveexec_b32 s1, s0
	s_cbranch_execz .LBB68_23
; %bb.5:
	s_load_dwordx2 s[0:1], s[4:5], 0x0
	v_lshrrev_b32_e32 v5, 3, v0
	v_lshl_or_b32 v5, s6, 4, v5
	s_waitcnt lgkmcnt(0)
	v_cmp_gt_i32_e32 vcc_lo, s0, v5
	s_and_b32 exec_lo, exec_lo, vcc_lo
	s_cbranch_execz .LBB68_23
; %bb.6:
	s_load_dwordx8 s[8:15], s[4:5], 0x10
	v_ashrrev_i32_e32 v6, 31, v5
	v_and_b32_e32 v0, 7, v0
	s_cmp_lg_u32 s1, 0
	v_lshlrev_b64 v[6:7], 2, v[5:6]
	s_waitcnt lgkmcnt(0)
	v_add_co_u32 v6, vcc_lo, s8, v6
	v_add_co_ci_u32_e64 v7, null, s9, v7, vcc_lo
	global_load_dwordx2 v[6:7], v[6:7], off
	s_waitcnt vmcnt(0)
	v_subrev_nc_u32_e32 v6, s2, v6
	v_subrev_nc_u32_e32 v20, s2, v7
	v_add_nc_u32_e32 v6, v6, v0
	v_cmp_lt_i32_e64 s0, v6, v20
	s_cbranch_scc0 .LBB68_12
; %bb.7:
	v_mov_b32_e32 v10, 0
	v_mov_b32_e32 v8, 0
	;; [unrolled: 1-line block ×6, first 2 shown]
	s_and_saveexec_b32 s1, s0
	s_cbranch_execz .LBB68_11
; %bb.8:
	v_mad_u64_u32 v[14:15], null, v6, 24, 23
	v_mov_b32_e32 v10, 0
	v_mov_b32_e32 v8, 0
	;; [unrolled: 1-line block ×8, first 2 shown]
	s_mov_b32 s3, 0
.LBB68_9:                               ; =>This Inner Loop Header: Depth=1
	v_ashrrev_i32_e32 v19, 31, v18
	v_mov_b32_e32 v38, v17
	v_lshlrev_b64 v[15:16], 2, v[18:19]
	v_add_nc_u32_e32 v18, 8, v18
	v_add_co_u32 v15, vcc_lo, s10, v15
	v_add_co_ci_u32_e64 v16, null, s11, v16, vcc_lo
	global_load_dword v7, v[15:16], off
	v_subrev_nc_u32_e32 v16, 23, v14
	v_mov_b32_e32 v15, v17
	v_lshlrev_b64 v[21:22], 3, v[16:17]
	v_add_nc_u32_e32 v16, -15, v14
	v_lshlrev_b64 v[23:24], 3, v[14:15]
	v_lshlrev_b64 v[39:40], 3, v[16:17]
	v_add_nc_u32_e32 v16, -14, v14
	v_add_co_u32 v33, vcc_lo, s12, v21
	v_add_co_ci_u32_e64 v34, null, s13, v22, vcc_lo
	v_lshlrev_b64 v[41:42], 3, v[16:17]
	v_add_co_u32 v45, vcc_lo, s12, v23
	v_add_nc_u32_e32 v16, -13, v14
	v_add_co_ci_u32_e64 v46, null, s13, v24, vcc_lo
	v_add_co_u32 v39, vcc_lo, s12, v39
	v_add_co_ci_u32_e64 v40, null, s13, v40, vcc_lo
	v_add_co_u32 v41, vcc_lo, s12, v41
	v_lshlrev_b64 v[43:44], 3, v[16:17]
	v_add_nc_u32_e32 v16, -12, v14
	v_add_co_ci_u32_e64 v42, null, s13, v42, vcc_lo
	s_clause 0x5
	global_load_dwordx4 v[21:24], v[33:34], off offset:16
	global_load_dwordx4 v[25:28], v[33:34], off
	global_load_dwordx4 v[29:32], v[33:34], off offset:32
	global_load_dwordx4 v[33:36], v[33:34], off offset:48
	global_load_dwordx2 v[47:48], v[39:40], off
	global_load_dwordx2 v[49:50], v[41:42], off
	v_lshlrev_b64 v[39:40], 3, v[16:17]
	v_add_nc_u32_e32 v16, -11, v14
	v_add_co_u32 v41, vcc_lo, s12, v43
	v_add_co_ci_u32_e64 v42, null, s13, v44, vcc_lo
	v_lshlrev_b64 v[43:44], 3, v[16:17]
	v_add_nc_u32_e32 v16, -10, v14
	v_add_co_u32 v39, vcc_lo, s12, v39
	v_add_co_ci_u32_e64 v40, null, s13, v40, vcc_lo
	;; [unrolled: 4-line block ×3, first 2 shown]
	v_lshlrev_b64 v[59:60], 3, v[16:17]
	s_clause 0x1
	global_load_dwordx2 v[51:52], v[41:42], off
	global_load_dwordx2 v[55:56], v[39:40], off
	s_waitcnt vmcnt(8)
	v_subrev_nc_u32_e32 v7, s2, v7
	v_lshlrev_b32_e32 v37, 3, v7
	v_lshlrev_b64 v[15:16], 3, v[37:38]
	v_add_co_u32 v61, vcc_lo, s14, v15
	v_add_co_ci_u32_e64 v62, null, s15, v16, vcc_lo
	v_add_co_u32 v53, vcc_lo, s12, v53
	v_add_co_ci_u32_e64 v54, null, s13, v54, vcc_lo
	s_clause 0x1
	global_load_dwordx4 v[37:40], v[61:62], off
	global_load_dwordx4 v[41:44], v[61:62], off offset:16
	v_add_co_u32 v59, vcc_lo, s12, v59
	v_add_nc_u32_e32 v16, -8, v14
	v_add_co_ci_u32_e64 v60, null, s13, v60, vcc_lo
	s_clause 0x1
	global_load_dwordx2 v[57:58], v[57:58], off
	global_load_dwordx2 v[53:54], v[53:54], off
	v_lshlrev_b64 v[63:64], 3, v[16:17]
	v_add_nc_u32_e32 v16, -7, v14
	global_load_dwordx2 v[59:60], v[59:60], off
	v_lshlrev_b64 v[65:66], 3, v[16:17]
	v_add_nc_u32_e32 v16, -6, v14
	v_add_co_u32 v63, vcc_lo, s12, v63
	v_add_co_ci_u32_e64 v64, null, s13, v64, vcc_lo
	s_waitcnt vmcnt(4)
	v_fma_f64 v[25:26], v[25:26], v[37:38], v[10:11]
	v_fma_f64 v[27:28], v[27:28], v[37:38], v[12:13]
	global_load_dwordx4 v[10:13], v[61:62], off offset:32
	v_fma_f64 v[7:8], v[21:22], v[37:38], v[8:9]
	v_lshlrev_b64 v[21:22], 3, v[16:17]
	v_add_nc_u32_e32 v16, -5, v14
	global_load_dwordx2 v[37:38], v[63:64], off
	v_lshlrev_b64 v[63:64], 3, v[16:17]
	v_add_nc_u32_e32 v16, -4, v14
	v_fma_f64 v[25:26], v[23:24], v[39:40], v[25:26]
	v_add_co_u32 v23, vcc_lo, s12, v65
	v_add_co_ci_u32_e64 v24, null, s13, v66, vcc_lo
	v_add_co_u32 v21, vcc_lo, s12, v21
	v_add_co_ci_u32_e64 v22, null, s13, v22, vcc_lo
	global_load_dwordx2 v[65:66], v[23:24], off
	v_fma_f64 v[27:28], v[29:30], v[39:40], v[27:28]
	v_fma_f64 v[7:8], v[31:32], v[39:40], v[7:8]
	global_load_dwordx2 v[29:30], v[21:22], off
	v_lshlrev_b64 v[23:24], 3, v[16:17]
	v_add_nc_u32_e32 v16, -3, v14
	v_add_co_u32 v21, vcc_lo, s12, v63
	v_add_co_ci_u32_e64 v22, null, s13, v64, vcc_lo
	v_lshlrev_b64 v[15:16], 3, v[16:17]
	v_add_co_u32 v23, vcc_lo, s12, v23
	v_add_co_ci_u32_e64 v24, null, s13, v24, vcc_lo
	global_load_dwordx2 v[31:32], v[21:22], off
	v_add_co_u32 v15, vcc_lo, s12, v15
	v_add_co_ci_u32_e64 v16, null, s13, v16, vcc_lo
	s_clause 0x1
	global_load_dwordx2 v[39:40], v[23:24], off
	global_load_dwordx2 v[63:64], v[15:16], off
	global_load_dwordx4 v[21:24], v[61:62], off offset:48
	v_add_nc_u32_e32 v16, -2, v14
	s_waitcnt vmcnt(11)
	v_fma_f64 v[25:26], v[33:34], v[41:42], v[25:26]
	v_fma_f64 v[27:28], v[35:36], v[41:42], v[27:28]
	;; [unrolled: 1-line block ×3, first 2 shown]
	v_lshlrev_b64 v[61:62], 3, v[16:17]
	v_add_nc_u32_e32 v16, -1, v14
	v_add_nc_u32_e32 v14, 0xc0, v14
	v_lshlrev_b64 v[15:16], 3, v[16:17]
	v_add_co_u32 v33, vcc_lo, s12, v61
	v_add_co_ci_u32_e64 v34, null, s13, v62, vcc_lo
	v_add_co_u32 v15, vcc_lo, s12, v15
	v_add_co_ci_u32_e64 v16, null, s13, v16, vcc_lo
	s_clause 0x2
	global_load_dwordx2 v[35:36], v[45:46], off
	global_load_dwordx2 v[33:34], v[33:34], off
	;; [unrolled: 1-line block ×3, first 2 shown]
	v_fma_f64 v[25:26], v[49:50], v[43:44], v[25:26]
	v_fma_f64 v[27:28], v[51:52], v[43:44], v[27:28]
	;; [unrolled: 1-line block ×3, first 2 shown]
	v_cmp_ge_i32_e32 vcc_lo, v18, v20
	s_or_b32 s3, vcc_lo, s3
	s_waitcnt vmcnt(10)
	v_fma_f64 v[25:26], v[57:58], v[10:11], v[25:26]
	v_fma_f64 v[27:28], v[53:54], v[10:11], v[27:28]
	;; [unrolled: 1-line block ×3, first 2 shown]
	s_waitcnt vmcnt(9)
	v_fma_f64 v[9:10], v[37:38], v[12:13], v[25:26]
	s_waitcnt vmcnt(8)
	v_fma_f64 v[25:26], v[65:66], v[12:13], v[27:28]
	;; [unrolled: 2-line block ×4, first 2 shown]
	v_fma_f64 v[12:13], v[39:40], v[21:22], v[25:26]
	v_fma_f64 v[7:8], v[63:64], v[21:22], v[7:8]
	s_waitcnt vmcnt(1)
	v_fma_f64 v[10:11], v[33:34], v[23:24], v[9:10]
	s_waitcnt vmcnt(0)
	v_fma_f64 v[12:13], v[15:16], v[23:24], v[12:13]
	v_fma_f64 v[8:9], v[35:36], v[23:24], v[7:8]
	s_andn2_b32 exec_lo, exec_lo, s3
	s_cbranch_execnz .LBB68_9
; %bb.10:
	s_or_b32 exec_lo, exec_lo, s3
.LBB68_11:
	s_or_b32 exec_lo, exec_lo, s1
	s_cbranch_execz .LBB68_13
	s_branch .LBB68_18
.LBB68_12:
                                        ; implicit-def: $vgpr10_vgpr11
                                        ; implicit-def: $vgpr8_vgpr9
                                        ; implicit-def: $vgpr12_vgpr13
.LBB68_13:
	v_mov_b32_e32 v10, 0
	v_mov_b32_e32 v8, 0
	;; [unrolled: 1-line block ×6, first 2 shown]
	s_and_saveexec_b32 s1, s0
	s_cbranch_execz .LBB68_17
; %bb.14:
	v_mad_u64_u32 v[14:15], null, v6, 24, 23
	v_mov_b32_e32 v10, 0
	v_mov_b32_e32 v8, 0
	v_mov_b32_e32 v12, 0
	v_mov_b32_e32 v11, 0
	v_mov_b32_e32 v9, 0
	v_mov_b32_e32 v13, 0
	v_mov_b32_e32 v17, 0
	s_mov_b32 s0, 0
.LBB68_15:                              ; =>This Inner Loop Header: Depth=1
	v_ashrrev_i32_e32 v7, 31, v6
	v_subrev_nc_u32_e32 v16, 23, v14
	v_add_nc_u32_e32 v18, -15, v14
	v_mov_b32_e32 v19, v17
	v_add_nc_u32_e32 v21, -7, v14
	v_lshlrev_b64 v[27:28], 2, v[6:7]
	v_mov_b32_e32 v22, v17
	v_lshlrev_b64 v[23:24], 3, v[16:17]
	v_lshlrev_b64 v[18:19], 3, v[18:19]
	v_mov_b32_e32 v15, v17
	v_add_nc_u32_e32 v16, -14, v14
	v_lshlrev_b64 v[21:22], 3, v[21:22]
	v_add_co_u32 v27, vcc_lo, s10, v27
	v_add_co_ci_u32_e64 v28, null, s11, v28, vcc_lo
	v_add_co_u32 v37, vcc_lo, s12, v23
	v_add_co_ci_u32_e64 v38, null, s13, v24, vcc_lo
	;; [unrolled: 2-line block ×4, first 2 shown]
	global_load_dword v7, v[27:28], off
	s_clause 0x2
	global_load_dwordx4 v[21:24], v[37:38], off
	global_load_dwordx2 v[18:19], v[18:19], off
	global_load_dwordx2 v[39:40], v[33:34], off
	v_lshlrev_b64 v[29:30], 3, v[14:15]
	v_lshlrev_b64 v[31:32], 3, v[16:17]
	v_add_nc_u32_e32 v16, -6, v14
	v_mov_b32_e32 v26, v17
	v_add_nc_u32_e32 v6, 8, v6
	v_add_co_u32 v41, vcc_lo, s12, v29
	v_add_co_ci_u32_e64 v42, null, s13, v30, vcc_lo
	v_lshlrev_b64 v[29:30], 3, v[16:17]
	v_add_nc_u32_e32 v16, -13, v14
	v_add_co_u32 v27, vcc_lo, s12, v31
	v_add_co_ci_u32_e64 v28, null, s13, v32, vcc_lo
	v_add_co_u32 v29, vcc_lo, s12, v29
	v_lshlrev_b64 v[31:32], 3, v[16:17]
	v_add_nc_u32_e32 v16, -5, v14
	v_add_co_ci_u32_e64 v30, null, s13, v30, vcc_lo
	global_load_dwordx2 v[43:44], v[27:28], off
	v_add_co_u32 v47, vcc_lo, s12, v31
	global_load_dwordx2 v[45:46], v[29:30], off
	v_lshlrev_b64 v[27:28], 3, v[16:17]
	v_add_nc_u32_e32 v16, -12, v14
	v_add_co_ci_u32_e64 v48, null, s13, v32, vcc_lo
	v_lshlrev_b64 v[29:30], 3, v[16:17]
	v_add_nc_u32_e32 v16, -4, v14
	v_add_co_u32 v49, vcc_lo, s12, v27
	v_add_co_ci_u32_e64 v50, null, s13, v28, vcc_lo
	v_lshlrev_b64 v[27:28], 3, v[16:17]
	v_add_nc_u32_e32 v16, -11, v14
	v_add_co_u32 v51, vcc_lo, s12, v29
	;; [unrolled: 4-line block ×6, first 2 shown]
	v_add_co_ci_u32_e64 v60, null, s13, v30, vcc_lo
	v_lshlrev_b64 v[15:16], 3, v[16:17]
	v_add_co_u32 v61, vcc_lo, s12, v27
	v_add_co_ci_u32_e64 v62, null, s13, v28, vcc_lo
	v_add_co_u32 v63, vcc_lo, s12, v15
	v_add_co_ci_u32_e64 v64, null, s13, v16, vcc_lo
	s_waitcnt vmcnt(5)
	v_subrev_nc_u32_e32 v7, s2, v7
	v_lshlrev_b32_e32 v25, 3, v7
	v_lshlrev_b64 v[15:16], 3, v[25:26]
	v_add_co_u32 v65, vcc_lo, s14, v15
	v_add_co_ci_u32_e64 v66, null, s15, v16, vcc_lo
	s_clause 0x1
	global_load_dwordx4 v[25:28], v[65:66], off
	global_load_dwordx4 v[29:32], v[65:66], off offset:16
	s_clause 0x2
	global_load_dwordx4 v[33:36], v[37:38], off offset:16
	global_load_dwordx2 v[47:48], v[47:48], off
	global_load_dwordx2 v[49:50], v[49:50], off
	v_add_nc_u32_e32 v16, -1, v14
	s_waitcnt vmcnt(4)
	v_fma_f64 v[10:11], v[21:22], v[25:26], v[10:11]
	v_fma_f64 v[18:19], v[18:19], v[25:26], v[12:13]
	;; [unrolled: 1-line block ×3, first 2 shown]
	v_lshlrev_b64 v[25:26], 3, v[16:17]
	v_add_nc_u32_e32 v16, -8, v14
	v_add_nc_u32_e32 v14, 0xc0, v14
	v_lshlrev_b64 v[15:16], 3, v[16:17]
	v_fma_f64 v[67:68], v[23:24], v[27:28], v[10:11]
	s_clause 0x5
	global_load_dwordx4 v[10:13], v[37:38], off offset:48
	global_load_dwordx4 v[21:24], v[37:38], off offset:32
	global_load_dwordx2 v[51:52], v[51:52], off
	global_load_dwordx2 v[53:54], v[53:54], off
	;; [unrolled: 1-line block ×4, first 2 shown]
	v_add_co_u32 v37, vcc_lo, s12, v25
	v_add_co_ci_u32_e64 v38, null, s13, v26, vcc_lo
	v_fma_f64 v[18:19], v[43:44], v[27:28], v[18:19]
	v_fma_f64 v[7:8], v[45:46], v[27:28], v[7:8]
	global_load_dwordx4 v[25:28], v[65:66], off offset:32
	s_clause 0x3
	global_load_dwordx2 v[43:44], v[59:60], off
	global_load_dwordx2 v[45:46], v[61:62], off
	;; [unrolled: 1-line block ×4, first 2 shown]
	v_add_co_u32 v15, vcc_lo, s12, v15
	v_add_co_ci_u32_e64 v16, null, s13, v16, vcc_lo
	global_load_dwordx4 v[37:40], v[65:66], off offset:48
	s_clause 0x1
	global_load_dwordx2 v[15:16], v[15:16], off
	global_load_dwordx2 v[41:42], v[41:42], off
	v_cmp_ge_i32_e32 vcc_lo, v6, v20
	s_waitcnt vmcnt(16)
	v_fma_f64 v[33:34], v[33:34], v[29:30], v[67:68]
	s_or_b32 s0, vcc_lo, s0
	s_waitcnt vmcnt(15)
	v_fma_f64 v[18:19], v[47:48], v[29:30], v[18:19]
	s_waitcnt vmcnt(14)
	v_fma_f64 v[7:8], v[49:50], v[29:30], v[7:8]
	v_fma_f64 v[29:30], v[35:36], v[31:32], v[33:34]
	s_waitcnt vmcnt(11)
	v_fma_f64 v[18:19], v[51:52], v[31:32], v[18:19]
	s_waitcnt vmcnt(10)
	;; [unrolled: 2-line block ×3, first 2 shown]
	v_fma_f64 v[21:22], v[21:22], v[25:26], v[29:30]
	v_fma_f64 v[18:19], v[55:56], v[25:26], v[18:19]
	;; [unrolled: 1-line block ×4, first 2 shown]
	s_waitcnt vmcnt(6)
	v_fma_f64 v[18:19], v[43:44], v[27:28], v[18:19]
	s_waitcnt vmcnt(5)
	v_fma_f64 v[7:8], v[45:46], v[27:28], v[7:8]
	;; [unrolled: 2-line block ×3, first 2 shown]
	v_fma_f64 v[18:19], v[59:60], v[37:38], v[18:19]
	v_fma_f64 v[7:8], v[61:62], v[37:38], v[7:8]
	;; [unrolled: 1-line block ×3, first 2 shown]
	s_waitcnt vmcnt(1)
	v_fma_f64 v[12:13], v[15:16], v[39:40], v[18:19]
	s_waitcnt vmcnt(0)
	v_fma_f64 v[8:9], v[41:42], v[39:40], v[7:8]
	s_andn2_b32 exec_lo, exec_lo, s0
	s_cbranch_execnz .LBB68_15
; %bb.16:
	s_or_b32 exec_lo, exec_lo, s0
.LBB68_17:
	s_or_b32 exec_lo, exec_lo, s1
.LBB68_18:
	v_mbcnt_lo_u32_b32 v18, -1, 0
	v_xor_b32_e32 v6, 4, v18
	v_cmp_gt_i32_e32 vcc_lo, 32, v6
	v_cndmask_b32_e32 v6, v18, v6, vcc_lo
	v_lshlrev_b32_e32 v17, 2, v6
	ds_bpermute_b32 v6, v17, v10
	ds_bpermute_b32 v7, v17, v11
	;; [unrolled: 1-line block ×6, first 2 shown]
	s_waitcnt lgkmcnt(4)
	v_add_f64 v[6:7], v[10:11], v[6:7]
	s_waitcnt lgkmcnt(2)
	v_add_f64 v[10:11], v[12:13], v[14:15]
	s_waitcnt lgkmcnt(0)
	v_add_f64 v[12:13], v[8:9], v[16:17]
	v_xor_b32_e32 v8, 2, v18
	v_cmp_gt_i32_e32 vcc_lo, 32, v8
	v_cndmask_b32_e32 v8, v18, v8, vcc_lo
	v_lshlrev_b32_e32 v17, 2, v8
	ds_bpermute_b32 v8, v17, v6
	ds_bpermute_b32 v9, v17, v7
	;; [unrolled: 1-line block ×6, first 2 shown]
	s_waitcnt lgkmcnt(4)
	v_add_f64 v[8:9], v[6:7], v[8:9]
	s_waitcnt lgkmcnt(2)
	v_add_f64 v[6:7], v[10:11], v[14:15]
	v_xor_b32_e32 v10, 1, v18
	s_waitcnt lgkmcnt(0)
	v_add_f64 v[12:13], v[12:13], v[16:17]
	v_cmp_gt_i32_e32 vcc_lo, 32, v10
	v_cndmask_b32_e32 v10, v18, v10, vcc_lo
	v_cmp_eq_u32_e32 vcc_lo, 7, v0
	v_lshlrev_b32_e32 v15, 2, v10
	ds_bpermute_b32 v10, v15, v8
	ds_bpermute_b32 v11, v15, v9
	ds_bpermute_b32 v16, v15, v6
	ds_bpermute_b32 v17, v15, v7
	ds_bpermute_b32 v14, v15, v12
	ds_bpermute_b32 v15, v15, v13
	s_and_b32 exec_lo, exec_lo, vcc_lo
	s_cbranch_execz .LBB68_23
; %bb.19:
	s_waitcnt lgkmcnt(4)
	v_add_f64 v[10:11], v[8:9], v[10:11]
	s_waitcnt lgkmcnt(2)
	v_add_f64 v[8:9], v[6:7], v[16:17]
	;; [unrolled: 2-line block ×3, first 2 shown]
	s_load_dwordx2 s[0:1], s[4:5], 0x38
	s_mov_b32 s2, exec_lo
	v_cmpx_eq_f64_e32 0, v[3:4]
	s_xor_b32 s2, exec_lo, s2
	s_cbranch_execz .LBB68_21
; %bb.20:
	v_lshl_add_u32 v0, v5, 1, v5
	v_mul_f64 v[10:11], v[1:2], v[10:11]
	v_mul_f64 v[12:13], v[1:2], v[8:9]
	;; [unrolled: 1-line block ×3, first 2 shown]
                                        ; implicit-def: $vgpr5
                                        ; implicit-def: $vgpr8_vgpr9
                                        ; implicit-def: $vgpr6_vgpr7
	v_ashrrev_i32_e32 v1, 31, v0
	v_lshlrev_b64 v[0:1], 3, v[0:1]
	s_waitcnt lgkmcnt(0)
	v_add_co_u32 v0, vcc_lo, s0, v0
	v_add_co_ci_u32_e64 v1, null, s1, v1, vcc_lo
	global_store_dwordx4 v[0:1], v[10:13], off
	global_store_dwordx2 v[0:1], v[2:3], off offset:16
                                        ; implicit-def: $vgpr1_vgpr2
                                        ; implicit-def: $vgpr10_vgpr11
                                        ; implicit-def: $vgpr3_vgpr4
.LBB68_21:
	s_andn2_saveexec_b32 s2, s2
	s_cbranch_execz .LBB68_23
; %bb.22:
	v_lshl_add_u32 v12, v5, 1, v5
	v_mul_f64 v[10:11], v[1:2], v[10:11]
	v_mul_f64 v[8:9], v[1:2], v[8:9]
	;; [unrolled: 1-line block ×3, first 2 shown]
	v_ashrrev_i32_e32 v13, 31, v12
	v_lshlrev_b64 v[12:13], 3, v[12:13]
	s_waitcnt lgkmcnt(0)
	v_add_co_u32 v16, vcc_lo, s0, v12
	v_add_co_ci_u32_e64 v17, null, s1, v13, vcc_lo
	s_clause 0x1
	global_load_dwordx4 v[12:15], v[16:17], off
	global_load_dwordx2 v[18:19], v[16:17], off offset:16
	s_waitcnt vmcnt(1)
	v_fma_f64 v[5:6], v[3:4], v[12:13], v[10:11]
	v_fma_f64 v[7:8], v[3:4], v[14:15], v[8:9]
	s_waitcnt vmcnt(0)
	v_fma_f64 v[0:1], v[3:4], v[18:19], v[0:1]
	global_store_dwordx4 v[16:17], v[5:8], off
	global_store_dwordx2 v[16:17], v[0:1], off offset:16
.LBB68_23:
	s_endpgm
	.section	.rodata,"a",@progbits
	.p2align	6, 0x0
	.amdhsa_kernel _ZN9rocsparseL19gebsrmvn_3xn_kernelILj128ELj8ELj8EdEEvi20rocsparse_direction_NS_24const_host_device_scalarIT2_EEPKiS6_PKS3_S8_S4_PS3_21rocsparse_index_base_b
		.amdhsa_group_segment_fixed_size 0
		.amdhsa_private_segment_fixed_size 0
		.amdhsa_kernarg_size 72
		.amdhsa_user_sgpr_count 6
		.amdhsa_user_sgpr_private_segment_buffer 1
		.amdhsa_user_sgpr_dispatch_ptr 0
		.amdhsa_user_sgpr_queue_ptr 0
		.amdhsa_user_sgpr_kernarg_segment_ptr 1
		.amdhsa_user_sgpr_dispatch_id 0
		.amdhsa_user_sgpr_flat_scratch_init 0
		.amdhsa_user_sgpr_private_segment_size 0
		.amdhsa_wavefront_size32 1
		.amdhsa_uses_dynamic_stack 0
		.amdhsa_system_sgpr_private_segment_wavefront_offset 0
		.amdhsa_system_sgpr_workgroup_id_x 1
		.amdhsa_system_sgpr_workgroup_id_y 0
		.amdhsa_system_sgpr_workgroup_id_z 0
		.amdhsa_system_sgpr_workgroup_info 0
		.amdhsa_system_vgpr_workitem_id 0
		.amdhsa_next_free_vgpr 69
		.amdhsa_next_free_sgpr 16
		.amdhsa_reserve_vcc 1
		.amdhsa_reserve_flat_scratch 0
		.amdhsa_float_round_mode_32 0
		.amdhsa_float_round_mode_16_64 0
		.amdhsa_float_denorm_mode_32 3
		.amdhsa_float_denorm_mode_16_64 3
		.amdhsa_dx10_clamp 1
		.amdhsa_ieee_mode 1
		.amdhsa_fp16_overflow 0
		.amdhsa_workgroup_processor_mode 1
		.amdhsa_memory_ordered 1
		.amdhsa_forward_progress 1
		.amdhsa_shared_vgpr_count 0
		.amdhsa_exception_fp_ieee_invalid_op 0
		.amdhsa_exception_fp_denorm_src 0
		.amdhsa_exception_fp_ieee_div_zero 0
		.amdhsa_exception_fp_ieee_overflow 0
		.amdhsa_exception_fp_ieee_underflow 0
		.amdhsa_exception_fp_ieee_inexact 0
		.amdhsa_exception_int_div_zero 0
	.end_amdhsa_kernel
	.section	.text._ZN9rocsparseL19gebsrmvn_3xn_kernelILj128ELj8ELj8EdEEvi20rocsparse_direction_NS_24const_host_device_scalarIT2_EEPKiS6_PKS3_S8_S4_PS3_21rocsparse_index_base_b,"axG",@progbits,_ZN9rocsparseL19gebsrmvn_3xn_kernelILj128ELj8ELj8EdEEvi20rocsparse_direction_NS_24const_host_device_scalarIT2_EEPKiS6_PKS3_S8_S4_PS3_21rocsparse_index_base_b,comdat
.Lfunc_end68:
	.size	_ZN9rocsparseL19gebsrmvn_3xn_kernelILj128ELj8ELj8EdEEvi20rocsparse_direction_NS_24const_host_device_scalarIT2_EEPKiS6_PKS3_S8_S4_PS3_21rocsparse_index_base_b, .Lfunc_end68-_ZN9rocsparseL19gebsrmvn_3xn_kernelILj128ELj8ELj8EdEEvi20rocsparse_direction_NS_24const_host_device_scalarIT2_EEPKiS6_PKS3_S8_S4_PS3_21rocsparse_index_base_b
                                        ; -- End function
	.set _ZN9rocsparseL19gebsrmvn_3xn_kernelILj128ELj8ELj8EdEEvi20rocsparse_direction_NS_24const_host_device_scalarIT2_EEPKiS6_PKS3_S8_S4_PS3_21rocsparse_index_base_b.num_vgpr, 69
	.set _ZN9rocsparseL19gebsrmvn_3xn_kernelILj128ELj8ELj8EdEEvi20rocsparse_direction_NS_24const_host_device_scalarIT2_EEPKiS6_PKS3_S8_S4_PS3_21rocsparse_index_base_b.num_agpr, 0
	.set _ZN9rocsparseL19gebsrmvn_3xn_kernelILj128ELj8ELj8EdEEvi20rocsparse_direction_NS_24const_host_device_scalarIT2_EEPKiS6_PKS3_S8_S4_PS3_21rocsparse_index_base_b.numbered_sgpr, 16
	.set _ZN9rocsparseL19gebsrmvn_3xn_kernelILj128ELj8ELj8EdEEvi20rocsparse_direction_NS_24const_host_device_scalarIT2_EEPKiS6_PKS3_S8_S4_PS3_21rocsparse_index_base_b.num_named_barrier, 0
	.set _ZN9rocsparseL19gebsrmvn_3xn_kernelILj128ELj8ELj8EdEEvi20rocsparse_direction_NS_24const_host_device_scalarIT2_EEPKiS6_PKS3_S8_S4_PS3_21rocsparse_index_base_b.private_seg_size, 0
	.set _ZN9rocsparseL19gebsrmvn_3xn_kernelILj128ELj8ELj8EdEEvi20rocsparse_direction_NS_24const_host_device_scalarIT2_EEPKiS6_PKS3_S8_S4_PS3_21rocsparse_index_base_b.uses_vcc, 1
	.set _ZN9rocsparseL19gebsrmvn_3xn_kernelILj128ELj8ELj8EdEEvi20rocsparse_direction_NS_24const_host_device_scalarIT2_EEPKiS6_PKS3_S8_S4_PS3_21rocsparse_index_base_b.uses_flat_scratch, 0
	.set _ZN9rocsparseL19gebsrmvn_3xn_kernelILj128ELj8ELj8EdEEvi20rocsparse_direction_NS_24const_host_device_scalarIT2_EEPKiS6_PKS3_S8_S4_PS3_21rocsparse_index_base_b.has_dyn_sized_stack, 0
	.set _ZN9rocsparseL19gebsrmvn_3xn_kernelILj128ELj8ELj8EdEEvi20rocsparse_direction_NS_24const_host_device_scalarIT2_EEPKiS6_PKS3_S8_S4_PS3_21rocsparse_index_base_b.has_recursion, 0
	.set _ZN9rocsparseL19gebsrmvn_3xn_kernelILj128ELj8ELj8EdEEvi20rocsparse_direction_NS_24const_host_device_scalarIT2_EEPKiS6_PKS3_S8_S4_PS3_21rocsparse_index_base_b.has_indirect_call, 0
	.section	.AMDGPU.csdata,"",@progbits
; Kernel info:
; codeLenInByte = 3064
; TotalNumSgprs: 18
; NumVgprs: 69
; ScratchSize: 0
; MemoryBound: 1
; FloatMode: 240
; IeeeMode: 1
; LDSByteSize: 0 bytes/workgroup (compile time only)
; SGPRBlocks: 0
; VGPRBlocks: 8
; NumSGPRsForWavesPerEU: 18
; NumVGPRsForWavesPerEU: 69
; Occupancy: 12
; WaveLimiterHint : 1
; COMPUTE_PGM_RSRC2:SCRATCH_EN: 0
; COMPUTE_PGM_RSRC2:USER_SGPR: 6
; COMPUTE_PGM_RSRC2:TRAP_HANDLER: 0
; COMPUTE_PGM_RSRC2:TGID_X_EN: 1
; COMPUTE_PGM_RSRC2:TGID_Y_EN: 0
; COMPUTE_PGM_RSRC2:TGID_Z_EN: 0
; COMPUTE_PGM_RSRC2:TIDIG_COMP_CNT: 0
	.section	.text._ZN9rocsparseL19gebsrmvn_3xn_kernelILj128ELj8ELj16EdEEvi20rocsparse_direction_NS_24const_host_device_scalarIT2_EEPKiS6_PKS3_S8_S4_PS3_21rocsparse_index_base_b,"axG",@progbits,_ZN9rocsparseL19gebsrmvn_3xn_kernelILj128ELj8ELj16EdEEvi20rocsparse_direction_NS_24const_host_device_scalarIT2_EEPKiS6_PKS3_S8_S4_PS3_21rocsparse_index_base_b,comdat
	.globl	_ZN9rocsparseL19gebsrmvn_3xn_kernelILj128ELj8ELj16EdEEvi20rocsparse_direction_NS_24const_host_device_scalarIT2_EEPKiS6_PKS3_S8_S4_PS3_21rocsparse_index_base_b ; -- Begin function _ZN9rocsparseL19gebsrmvn_3xn_kernelILj128ELj8ELj16EdEEvi20rocsparse_direction_NS_24const_host_device_scalarIT2_EEPKiS6_PKS3_S8_S4_PS3_21rocsparse_index_base_b
	.p2align	8
	.type	_ZN9rocsparseL19gebsrmvn_3xn_kernelILj128ELj8ELj16EdEEvi20rocsparse_direction_NS_24const_host_device_scalarIT2_EEPKiS6_PKS3_S8_S4_PS3_21rocsparse_index_base_b,@function
_ZN9rocsparseL19gebsrmvn_3xn_kernelILj128ELj8ELj16EdEEvi20rocsparse_direction_NS_24const_host_device_scalarIT2_EEPKiS6_PKS3_S8_S4_PS3_21rocsparse_index_base_b: ; @_ZN9rocsparseL19gebsrmvn_3xn_kernelILj128ELj8ELj16EdEEvi20rocsparse_direction_NS_24const_host_device_scalarIT2_EEPKiS6_PKS3_S8_S4_PS3_21rocsparse_index_base_b
; %bb.0:
	s_clause 0x2
	s_load_dwordx2 s[2:3], s[4:5], 0x40
	s_load_dwordx2 s[8:9], s[4:5], 0x8
	s_load_dwordx2 s[0:1], s[4:5], 0x30
	s_waitcnt lgkmcnt(0)
	s_bitcmp1_b32 s3, 0
	v_mov_b32_e32 v1, s8
	v_mov_b32_e32 v2, s9
	s_cselect_b32 s3, -1, 0
	s_and_b32 vcc_lo, exec_lo, s3
	s_xor_b32 s3, s3, -1
	s_cbranch_vccnz .LBB69_2
; %bb.1:
	v_mov_b32_e32 v1, s8
	v_mov_b32_e32 v2, s9
	flat_load_dwordx2 v[1:2], v[1:2]
.LBB69_2:
	v_mov_b32_e32 v4, s1
	v_mov_b32_e32 v3, s0
	s_andn2_b32 vcc_lo, exec_lo, s3
	s_cbranch_vccnz .LBB69_4
; %bb.3:
	v_mov_b32_e32 v4, s1
	v_mov_b32_e32 v3, s0
	flat_load_dwordx2 v[3:4], v[3:4]
.LBB69_4:
	s_waitcnt vmcnt(0) lgkmcnt(0)
	v_cmp_neq_f64_e32 vcc_lo, 0, v[1:2]
	v_cmp_neq_f64_e64 s0, 1.0, v[3:4]
	s_or_b32 s0, vcc_lo, s0
	s_and_saveexec_b32 s1, s0
	s_cbranch_execz .LBB69_23
; %bb.5:
	s_load_dwordx2 s[0:1], s[4:5], 0x0
	v_lshrrev_b32_e32 v5, 4, v0
	v_lshl_or_b32 v5, s6, 3, v5
	s_waitcnt lgkmcnt(0)
	v_cmp_gt_i32_e32 vcc_lo, s0, v5
	s_and_b32 exec_lo, exec_lo, vcc_lo
	s_cbranch_execz .LBB69_23
; %bb.6:
	s_load_dwordx8 s[8:15], s[4:5], 0x10
	v_ashrrev_i32_e32 v6, 31, v5
	v_and_b32_e32 v0, 15, v0
	s_cmp_lg_u32 s1, 0
	v_lshlrev_b64 v[6:7], 2, v[5:6]
	s_waitcnt lgkmcnt(0)
	v_add_co_u32 v6, vcc_lo, s8, v6
	v_add_co_ci_u32_e64 v7, null, s9, v7, vcc_lo
	global_load_dwordx2 v[6:7], v[6:7], off
	s_waitcnt vmcnt(0)
	v_subrev_nc_u32_e32 v6, s2, v6
	v_subrev_nc_u32_e32 v20, s2, v7
	v_add_nc_u32_e32 v6, v6, v0
	v_cmp_lt_i32_e64 s0, v6, v20
	s_cbranch_scc0 .LBB69_12
; %bb.7:
	v_mov_b32_e32 v10, 0
	v_mov_b32_e32 v8, 0
	;; [unrolled: 1-line block ×6, first 2 shown]
	s_and_saveexec_b32 s1, s0
	s_cbranch_execz .LBB69_11
; %bb.8:
	v_mad_u64_u32 v[14:15], null, v6, 24, 23
	v_mov_b32_e32 v10, 0
	v_mov_b32_e32 v8, 0
	;; [unrolled: 1-line block ×8, first 2 shown]
	s_mov_b32 s3, 0
.LBB69_9:                               ; =>This Inner Loop Header: Depth=1
	v_ashrrev_i32_e32 v19, 31, v18
	v_mov_b32_e32 v38, v17
	v_lshlrev_b64 v[15:16], 2, v[18:19]
	v_add_nc_u32_e32 v18, 16, v18
	v_add_co_u32 v15, vcc_lo, s10, v15
	v_add_co_ci_u32_e64 v16, null, s11, v16, vcc_lo
	global_load_dword v7, v[15:16], off
	v_subrev_nc_u32_e32 v16, 23, v14
	v_mov_b32_e32 v15, v17
	v_lshlrev_b64 v[21:22], 3, v[16:17]
	v_add_nc_u32_e32 v16, -15, v14
	v_lshlrev_b64 v[23:24], 3, v[14:15]
	v_lshlrev_b64 v[39:40], 3, v[16:17]
	v_add_nc_u32_e32 v16, -14, v14
	v_add_co_u32 v33, vcc_lo, s12, v21
	v_add_co_ci_u32_e64 v34, null, s13, v22, vcc_lo
	v_lshlrev_b64 v[41:42], 3, v[16:17]
	v_add_co_u32 v45, vcc_lo, s12, v23
	v_add_nc_u32_e32 v16, -13, v14
	v_add_co_ci_u32_e64 v46, null, s13, v24, vcc_lo
	v_add_co_u32 v39, vcc_lo, s12, v39
	v_add_co_ci_u32_e64 v40, null, s13, v40, vcc_lo
	v_add_co_u32 v41, vcc_lo, s12, v41
	v_lshlrev_b64 v[43:44], 3, v[16:17]
	v_add_nc_u32_e32 v16, -12, v14
	v_add_co_ci_u32_e64 v42, null, s13, v42, vcc_lo
	s_clause 0x5
	global_load_dwordx4 v[21:24], v[33:34], off offset:16
	global_load_dwordx4 v[25:28], v[33:34], off
	global_load_dwordx4 v[29:32], v[33:34], off offset:32
	global_load_dwordx4 v[33:36], v[33:34], off offset:48
	global_load_dwordx2 v[47:48], v[39:40], off
	global_load_dwordx2 v[49:50], v[41:42], off
	v_lshlrev_b64 v[39:40], 3, v[16:17]
	v_add_nc_u32_e32 v16, -11, v14
	v_add_co_u32 v41, vcc_lo, s12, v43
	v_add_co_ci_u32_e64 v42, null, s13, v44, vcc_lo
	v_lshlrev_b64 v[43:44], 3, v[16:17]
	v_add_nc_u32_e32 v16, -10, v14
	v_add_co_u32 v39, vcc_lo, s12, v39
	v_add_co_ci_u32_e64 v40, null, s13, v40, vcc_lo
	;; [unrolled: 4-line block ×3, first 2 shown]
	v_lshlrev_b64 v[59:60], 3, v[16:17]
	s_clause 0x1
	global_load_dwordx2 v[51:52], v[41:42], off
	global_load_dwordx2 v[55:56], v[39:40], off
	s_waitcnt vmcnt(8)
	v_subrev_nc_u32_e32 v7, s2, v7
	v_lshlrev_b32_e32 v37, 3, v7
	v_lshlrev_b64 v[15:16], 3, v[37:38]
	v_add_co_u32 v61, vcc_lo, s14, v15
	v_add_co_ci_u32_e64 v62, null, s15, v16, vcc_lo
	v_add_co_u32 v53, vcc_lo, s12, v53
	v_add_co_ci_u32_e64 v54, null, s13, v54, vcc_lo
	s_clause 0x1
	global_load_dwordx4 v[37:40], v[61:62], off
	global_load_dwordx4 v[41:44], v[61:62], off offset:16
	v_add_co_u32 v59, vcc_lo, s12, v59
	v_add_nc_u32_e32 v16, -8, v14
	v_add_co_ci_u32_e64 v60, null, s13, v60, vcc_lo
	s_clause 0x1
	global_load_dwordx2 v[57:58], v[57:58], off
	global_load_dwordx2 v[53:54], v[53:54], off
	v_lshlrev_b64 v[63:64], 3, v[16:17]
	v_add_nc_u32_e32 v16, -7, v14
	global_load_dwordx2 v[59:60], v[59:60], off
	v_lshlrev_b64 v[65:66], 3, v[16:17]
	v_add_nc_u32_e32 v16, -6, v14
	v_add_co_u32 v63, vcc_lo, s12, v63
	v_add_co_ci_u32_e64 v64, null, s13, v64, vcc_lo
	s_waitcnt vmcnt(4)
	v_fma_f64 v[25:26], v[25:26], v[37:38], v[10:11]
	v_fma_f64 v[27:28], v[27:28], v[37:38], v[12:13]
	global_load_dwordx4 v[10:13], v[61:62], off offset:32
	v_fma_f64 v[7:8], v[21:22], v[37:38], v[8:9]
	v_lshlrev_b64 v[21:22], 3, v[16:17]
	v_add_nc_u32_e32 v16, -5, v14
	global_load_dwordx2 v[37:38], v[63:64], off
	v_lshlrev_b64 v[63:64], 3, v[16:17]
	v_add_nc_u32_e32 v16, -4, v14
	v_fma_f64 v[25:26], v[23:24], v[39:40], v[25:26]
	v_add_co_u32 v23, vcc_lo, s12, v65
	v_add_co_ci_u32_e64 v24, null, s13, v66, vcc_lo
	v_add_co_u32 v21, vcc_lo, s12, v21
	v_add_co_ci_u32_e64 v22, null, s13, v22, vcc_lo
	global_load_dwordx2 v[65:66], v[23:24], off
	v_fma_f64 v[27:28], v[29:30], v[39:40], v[27:28]
	v_fma_f64 v[7:8], v[31:32], v[39:40], v[7:8]
	global_load_dwordx2 v[29:30], v[21:22], off
	v_lshlrev_b64 v[23:24], 3, v[16:17]
	v_add_nc_u32_e32 v16, -3, v14
	v_add_co_u32 v21, vcc_lo, s12, v63
	v_add_co_ci_u32_e64 v22, null, s13, v64, vcc_lo
	v_lshlrev_b64 v[15:16], 3, v[16:17]
	v_add_co_u32 v23, vcc_lo, s12, v23
	v_add_co_ci_u32_e64 v24, null, s13, v24, vcc_lo
	global_load_dwordx2 v[31:32], v[21:22], off
	v_add_co_u32 v15, vcc_lo, s12, v15
	v_add_co_ci_u32_e64 v16, null, s13, v16, vcc_lo
	s_clause 0x1
	global_load_dwordx2 v[39:40], v[23:24], off
	global_load_dwordx2 v[63:64], v[15:16], off
	global_load_dwordx4 v[21:24], v[61:62], off offset:48
	v_add_nc_u32_e32 v16, -2, v14
	s_waitcnt vmcnt(11)
	v_fma_f64 v[25:26], v[33:34], v[41:42], v[25:26]
	v_fma_f64 v[27:28], v[35:36], v[41:42], v[27:28]
	;; [unrolled: 1-line block ×3, first 2 shown]
	v_lshlrev_b64 v[61:62], 3, v[16:17]
	v_add_nc_u32_e32 v16, -1, v14
	v_add_nc_u32_e32 v14, 0x180, v14
	v_lshlrev_b64 v[15:16], 3, v[16:17]
	v_add_co_u32 v33, vcc_lo, s12, v61
	v_add_co_ci_u32_e64 v34, null, s13, v62, vcc_lo
	v_add_co_u32 v15, vcc_lo, s12, v15
	v_add_co_ci_u32_e64 v16, null, s13, v16, vcc_lo
	s_clause 0x2
	global_load_dwordx2 v[35:36], v[45:46], off
	global_load_dwordx2 v[33:34], v[33:34], off
	;; [unrolled: 1-line block ×3, first 2 shown]
	v_fma_f64 v[25:26], v[49:50], v[43:44], v[25:26]
	v_fma_f64 v[27:28], v[51:52], v[43:44], v[27:28]
	;; [unrolled: 1-line block ×3, first 2 shown]
	v_cmp_ge_i32_e32 vcc_lo, v18, v20
	s_or_b32 s3, vcc_lo, s3
	s_waitcnt vmcnt(10)
	v_fma_f64 v[25:26], v[57:58], v[10:11], v[25:26]
	v_fma_f64 v[27:28], v[53:54], v[10:11], v[27:28]
	;; [unrolled: 1-line block ×3, first 2 shown]
	s_waitcnt vmcnt(9)
	v_fma_f64 v[9:10], v[37:38], v[12:13], v[25:26]
	s_waitcnt vmcnt(8)
	v_fma_f64 v[25:26], v[65:66], v[12:13], v[27:28]
	;; [unrolled: 2-line block ×4, first 2 shown]
	v_fma_f64 v[12:13], v[39:40], v[21:22], v[25:26]
	v_fma_f64 v[7:8], v[63:64], v[21:22], v[7:8]
	s_waitcnt vmcnt(1)
	v_fma_f64 v[10:11], v[33:34], v[23:24], v[9:10]
	s_waitcnt vmcnt(0)
	v_fma_f64 v[12:13], v[15:16], v[23:24], v[12:13]
	v_fma_f64 v[8:9], v[35:36], v[23:24], v[7:8]
	s_andn2_b32 exec_lo, exec_lo, s3
	s_cbranch_execnz .LBB69_9
; %bb.10:
	s_or_b32 exec_lo, exec_lo, s3
.LBB69_11:
	s_or_b32 exec_lo, exec_lo, s1
	s_cbranch_execz .LBB69_13
	s_branch .LBB69_18
.LBB69_12:
                                        ; implicit-def: $vgpr10_vgpr11
                                        ; implicit-def: $vgpr8_vgpr9
                                        ; implicit-def: $vgpr12_vgpr13
.LBB69_13:
	v_mov_b32_e32 v10, 0
	v_mov_b32_e32 v8, 0
	;; [unrolled: 1-line block ×6, first 2 shown]
	s_and_saveexec_b32 s1, s0
	s_cbranch_execz .LBB69_17
; %bb.14:
	v_mad_u64_u32 v[14:15], null, v6, 24, 23
	v_mov_b32_e32 v10, 0
	v_mov_b32_e32 v8, 0
	;; [unrolled: 1-line block ×7, first 2 shown]
	s_mov_b32 s0, 0
.LBB69_15:                              ; =>This Inner Loop Header: Depth=1
	v_ashrrev_i32_e32 v7, 31, v6
	v_subrev_nc_u32_e32 v16, 23, v14
	v_add_nc_u32_e32 v18, -15, v14
	v_mov_b32_e32 v19, v17
	v_add_nc_u32_e32 v21, -7, v14
	v_lshlrev_b64 v[27:28], 2, v[6:7]
	v_mov_b32_e32 v22, v17
	v_lshlrev_b64 v[23:24], 3, v[16:17]
	v_lshlrev_b64 v[18:19], 3, v[18:19]
	v_mov_b32_e32 v15, v17
	v_add_nc_u32_e32 v16, -14, v14
	v_lshlrev_b64 v[21:22], 3, v[21:22]
	v_add_co_u32 v27, vcc_lo, s10, v27
	v_add_co_ci_u32_e64 v28, null, s11, v28, vcc_lo
	v_add_co_u32 v37, vcc_lo, s12, v23
	v_add_co_ci_u32_e64 v38, null, s13, v24, vcc_lo
	;; [unrolled: 2-line block ×4, first 2 shown]
	global_load_dword v7, v[27:28], off
	s_clause 0x2
	global_load_dwordx4 v[21:24], v[37:38], off
	global_load_dwordx2 v[18:19], v[18:19], off
	global_load_dwordx2 v[39:40], v[33:34], off
	v_lshlrev_b64 v[29:30], 3, v[14:15]
	v_lshlrev_b64 v[31:32], 3, v[16:17]
	v_add_nc_u32_e32 v16, -6, v14
	v_mov_b32_e32 v26, v17
	v_add_nc_u32_e32 v6, 16, v6
	v_add_co_u32 v41, vcc_lo, s12, v29
	v_add_co_ci_u32_e64 v42, null, s13, v30, vcc_lo
	v_lshlrev_b64 v[29:30], 3, v[16:17]
	v_add_nc_u32_e32 v16, -13, v14
	v_add_co_u32 v27, vcc_lo, s12, v31
	v_add_co_ci_u32_e64 v28, null, s13, v32, vcc_lo
	v_add_co_u32 v29, vcc_lo, s12, v29
	v_lshlrev_b64 v[31:32], 3, v[16:17]
	v_add_nc_u32_e32 v16, -5, v14
	v_add_co_ci_u32_e64 v30, null, s13, v30, vcc_lo
	global_load_dwordx2 v[43:44], v[27:28], off
	v_add_co_u32 v47, vcc_lo, s12, v31
	global_load_dwordx2 v[45:46], v[29:30], off
	v_lshlrev_b64 v[27:28], 3, v[16:17]
	v_add_nc_u32_e32 v16, -12, v14
	v_add_co_ci_u32_e64 v48, null, s13, v32, vcc_lo
	v_lshlrev_b64 v[29:30], 3, v[16:17]
	v_add_nc_u32_e32 v16, -4, v14
	v_add_co_u32 v49, vcc_lo, s12, v27
	v_add_co_ci_u32_e64 v50, null, s13, v28, vcc_lo
	v_lshlrev_b64 v[27:28], 3, v[16:17]
	v_add_nc_u32_e32 v16, -11, v14
	v_add_co_u32 v51, vcc_lo, s12, v29
	;; [unrolled: 4-line block ×6, first 2 shown]
	v_add_co_ci_u32_e64 v60, null, s13, v30, vcc_lo
	v_lshlrev_b64 v[15:16], 3, v[16:17]
	v_add_co_u32 v61, vcc_lo, s12, v27
	v_add_co_ci_u32_e64 v62, null, s13, v28, vcc_lo
	v_add_co_u32 v63, vcc_lo, s12, v15
	v_add_co_ci_u32_e64 v64, null, s13, v16, vcc_lo
	s_waitcnt vmcnt(5)
	v_subrev_nc_u32_e32 v7, s2, v7
	v_lshlrev_b32_e32 v25, 3, v7
	v_lshlrev_b64 v[15:16], 3, v[25:26]
	v_add_co_u32 v65, vcc_lo, s14, v15
	v_add_co_ci_u32_e64 v66, null, s15, v16, vcc_lo
	s_clause 0x1
	global_load_dwordx4 v[25:28], v[65:66], off
	global_load_dwordx4 v[29:32], v[65:66], off offset:16
	s_clause 0x2
	global_load_dwordx4 v[33:36], v[37:38], off offset:16
	global_load_dwordx2 v[47:48], v[47:48], off
	global_load_dwordx2 v[49:50], v[49:50], off
	v_add_nc_u32_e32 v16, -1, v14
	s_waitcnt vmcnt(4)
	v_fma_f64 v[10:11], v[21:22], v[25:26], v[10:11]
	v_fma_f64 v[18:19], v[18:19], v[25:26], v[12:13]
	v_fma_f64 v[7:8], v[39:40], v[25:26], v[8:9]
	v_lshlrev_b64 v[25:26], 3, v[16:17]
	v_add_nc_u32_e32 v16, -8, v14
	v_add_nc_u32_e32 v14, 0x180, v14
	v_lshlrev_b64 v[15:16], 3, v[16:17]
	v_fma_f64 v[67:68], v[23:24], v[27:28], v[10:11]
	s_clause 0x5
	global_load_dwordx4 v[10:13], v[37:38], off offset:48
	global_load_dwordx4 v[21:24], v[37:38], off offset:32
	global_load_dwordx2 v[51:52], v[51:52], off
	global_load_dwordx2 v[53:54], v[53:54], off
	;; [unrolled: 1-line block ×4, first 2 shown]
	v_add_co_u32 v37, vcc_lo, s12, v25
	v_add_co_ci_u32_e64 v38, null, s13, v26, vcc_lo
	v_fma_f64 v[18:19], v[43:44], v[27:28], v[18:19]
	v_fma_f64 v[7:8], v[45:46], v[27:28], v[7:8]
	global_load_dwordx4 v[25:28], v[65:66], off offset:32
	s_clause 0x3
	global_load_dwordx2 v[43:44], v[59:60], off
	global_load_dwordx2 v[45:46], v[61:62], off
	;; [unrolled: 1-line block ×4, first 2 shown]
	v_add_co_u32 v15, vcc_lo, s12, v15
	v_add_co_ci_u32_e64 v16, null, s13, v16, vcc_lo
	global_load_dwordx4 v[37:40], v[65:66], off offset:48
	s_clause 0x1
	global_load_dwordx2 v[15:16], v[15:16], off
	global_load_dwordx2 v[41:42], v[41:42], off
	v_cmp_ge_i32_e32 vcc_lo, v6, v20
	s_waitcnt vmcnt(16)
	v_fma_f64 v[33:34], v[33:34], v[29:30], v[67:68]
	s_or_b32 s0, vcc_lo, s0
	s_waitcnt vmcnt(15)
	v_fma_f64 v[18:19], v[47:48], v[29:30], v[18:19]
	s_waitcnt vmcnt(14)
	v_fma_f64 v[7:8], v[49:50], v[29:30], v[7:8]
	v_fma_f64 v[29:30], v[35:36], v[31:32], v[33:34]
	s_waitcnt vmcnt(11)
	v_fma_f64 v[18:19], v[51:52], v[31:32], v[18:19]
	s_waitcnt vmcnt(10)
	;; [unrolled: 2-line block ×3, first 2 shown]
	v_fma_f64 v[21:22], v[21:22], v[25:26], v[29:30]
	v_fma_f64 v[18:19], v[55:56], v[25:26], v[18:19]
	;; [unrolled: 1-line block ×4, first 2 shown]
	s_waitcnt vmcnt(6)
	v_fma_f64 v[18:19], v[43:44], v[27:28], v[18:19]
	s_waitcnt vmcnt(5)
	v_fma_f64 v[7:8], v[45:46], v[27:28], v[7:8]
	;; [unrolled: 2-line block ×3, first 2 shown]
	v_fma_f64 v[18:19], v[59:60], v[37:38], v[18:19]
	v_fma_f64 v[7:8], v[61:62], v[37:38], v[7:8]
	;; [unrolled: 1-line block ×3, first 2 shown]
	s_waitcnt vmcnt(1)
	v_fma_f64 v[12:13], v[15:16], v[39:40], v[18:19]
	s_waitcnt vmcnt(0)
	v_fma_f64 v[8:9], v[41:42], v[39:40], v[7:8]
	s_andn2_b32 exec_lo, exec_lo, s0
	s_cbranch_execnz .LBB69_15
; %bb.16:
	s_or_b32 exec_lo, exec_lo, s0
.LBB69_17:
	s_or_b32 exec_lo, exec_lo, s1
.LBB69_18:
	v_mbcnt_lo_u32_b32 v18, -1, 0
	v_xor_b32_e32 v6, 8, v18
	v_cmp_gt_i32_e32 vcc_lo, 32, v6
	v_cndmask_b32_e32 v6, v18, v6, vcc_lo
	v_lshlrev_b32_e32 v17, 2, v6
	ds_bpermute_b32 v6, v17, v10
	ds_bpermute_b32 v7, v17, v11
	;; [unrolled: 1-line block ×6, first 2 shown]
	s_waitcnt lgkmcnt(4)
	v_add_f64 v[6:7], v[10:11], v[6:7]
	s_waitcnt lgkmcnt(2)
	v_add_f64 v[10:11], v[12:13], v[14:15]
	v_xor_b32_e32 v12, 4, v18
	s_waitcnt lgkmcnt(0)
	v_add_f64 v[8:9], v[8:9], v[16:17]
	v_cmp_gt_i32_e32 vcc_lo, 32, v12
	v_cndmask_b32_e32 v12, v18, v12, vcc_lo
	v_lshlrev_b32_e32 v17, 2, v12
	ds_bpermute_b32 v12, v17, v6
	ds_bpermute_b32 v13, v17, v7
	;; [unrolled: 1-line block ×6, first 2 shown]
	s_waitcnt lgkmcnt(4)
	v_add_f64 v[6:7], v[6:7], v[12:13]
	s_waitcnt lgkmcnt(2)
	v_add_f64 v[10:11], v[10:11], v[14:15]
	;; [unrolled: 2-line block ×3, first 2 shown]
	v_xor_b32_e32 v8, 2, v18
	v_cmp_gt_i32_e32 vcc_lo, 32, v8
	v_cndmask_b32_e32 v8, v18, v8, vcc_lo
	v_lshlrev_b32_e32 v17, 2, v8
	ds_bpermute_b32 v8, v17, v6
	ds_bpermute_b32 v9, v17, v7
	;; [unrolled: 1-line block ×6, first 2 shown]
	s_waitcnt lgkmcnt(4)
	v_add_f64 v[8:9], v[6:7], v[8:9]
	s_waitcnt lgkmcnt(2)
	v_add_f64 v[6:7], v[10:11], v[14:15]
	v_xor_b32_e32 v10, 1, v18
	s_waitcnt lgkmcnt(0)
	v_add_f64 v[12:13], v[12:13], v[16:17]
	v_cmp_gt_i32_e32 vcc_lo, 32, v10
	v_cndmask_b32_e32 v10, v18, v10, vcc_lo
	v_cmp_eq_u32_e32 vcc_lo, 15, v0
	v_lshlrev_b32_e32 v15, 2, v10
	ds_bpermute_b32 v10, v15, v8
	ds_bpermute_b32 v11, v15, v9
	ds_bpermute_b32 v16, v15, v6
	ds_bpermute_b32 v17, v15, v7
	ds_bpermute_b32 v14, v15, v12
	ds_bpermute_b32 v15, v15, v13
	s_and_b32 exec_lo, exec_lo, vcc_lo
	s_cbranch_execz .LBB69_23
; %bb.19:
	s_waitcnt lgkmcnt(4)
	v_add_f64 v[10:11], v[8:9], v[10:11]
	s_waitcnt lgkmcnt(2)
	v_add_f64 v[8:9], v[6:7], v[16:17]
	;; [unrolled: 2-line block ×3, first 2 shown]
	s_load_dwordx2 s[0:1], s[4:5], 0x38
	s_mov_b32 s2, exec_lo
	v_cmpx_eq_f64_e32 0, v[3:4]
	s_xor_b32 s2, exec_lo, s2
	s_cbranch_execz .LBB69_21
; %bb.20:
	v_lshl_add_u32 v0, v5, 1, v5
	v_mul_f64 v[10:11], v[1:2], v[10:11]
	v_mul_f64 v[12:13], v[1:2], v[8:9]
	v_mul_f64 v[2:3], v[1:2], v[6:7]
                                        ; implicit-def: $vgpr5
                                        ; implicit-def: $vgpr8_vgpr9
                                        ; implicit-def: $vgpr6_vgpr7
	v_ashrrev_i32_e32 v1, 31, v0
	v_lshlrev_b64 v[0:1], 3, v[0:1]
	s_waitcnt lgkmcnt(0)
	v_add_co_u32 v0, vcc_lo, s0, v0
	v_add_co_ci_u32_e64 v1, null, s1, v1, vcc_lo
	global_store_dwordx4 v[0:1], v[10:13], off
	global_store_dwordx2 v[0:1], v[2:3], off offset:16
                                        ; implicit-def: $vgpr1_vgpr2
                                        ; implicit-def: $vgpr10_vgpr11
                                        ; implicit-def: $vgpr3_vgpr4
.LBB69_21:
	s_andn2_saveexec_b32 s2, s2
	s_cbranch_execz .LBB69_23
; %bb.22:
	v_lshl_add_u32 v12, v5, 1, v5
	v_mul_f64 v[10:11], v[1:2], v[10:11]
	v_mul_f64 v[8:9], v[1:2], v[8:9]
	;; [unrolled: 1-line block ×3, first 2 shown]
	v_ashrrev_i32_e32 v13, 31, v12
	v_lshlrev_b64 v[12:13], 3, v[12:13]
	s_waitcnt lgkmcnt(0)
	v_add_co_u32 v16, vcc_lo, s0, v12
	v_add_co_ci_u32_e64 v17, null, s1, v13, vcc_lo
	s_clause 0x1
	global_load_dwordx4 v[12:15], v[16:17], off
	global_load_dwordx2 v[18:19], v[16:17], off offset:16
	s_waitcnt vmcnt(1)
	v_fma_f64 v[5:6], v[3:4], v[12:13], v[10:11]
	v_fma_f64 v[7:8], v[3:4], v[14:15], v[8:9]
	s_waitcnt vmcnt(0)
	v_fma_f64 v[0:1], v[3:4], v[18:19], v[0:1]
	global_store_dwordx4 v[16:17], v[5:8], off
	global_store_dwordx2 v[16:17], v[0:1], off offset:16
.LBB69_23:
	s_endpgm
	.section	.rodata,"a",@progbits
	.p2align	6, 0x0
	.amdhsa_kernel _ZN9rocsparseL19gebsrmvn_3xn_kernelILj128ELj8ELj16EdEEvi20rocsparse_direction_NS_24const_host_device_scalarIT2_EEPKiS6_PKS3_S8_S4_PS3_21rocsparse_index_base_b
		.amdhsa_group_segment_fixed_size 0
		.amdhsa_private_segment_fixed_size 0
		.amdhsa_kernarg_size 72
		.amdhsa_user_sgpr_count 6
		.amdhsa_user_sgpr_private_segment_buffer 1
		.amdhsa_user_sgpr_dispatch_ptr 0
		.amdhsa_user_sgpr_queue_ptr 0
		.amdhsa_user_sgpr_kernarg_segment_ptr 1
		.amdhsa_user_sgpr_dispatch_id 0
		.amdhsa_user_sgpr_flat_scratch_init 0
		.amdhsa_user_sgpr_private_segment_size 0
		.amdhsa_wavefront_size32 1
		.amdhsa_uses_dynamic_stack 0
		.amdhsa_system_sgpr_private_segment_wavefront_offset 0
		.amdhsa_system_sgpr_workgroup_id_x 1
		.amdhsa_system_sgpr_workgroup_id_y 0
		.amdhsa_system_sgpr_workgroup_id_z 0
		.amdhsa_system_sgpr_workgroup_info 0
		.amdhsa_system_vgpr_workitem_id 0
		.amdhsa_next_free_vgpr 69
		.amdhsa_next_free_sgpr 16
		.amdhsa_reserve_vcc 1
		.amdhsa_reserve_flat_scratch 0
		.amdhsa_float_round_mode_32 0
		.amdhsa_float_round_mode_16_64 0
		.amdhsa_float_denorm_mode_32 3
		.amdhsa_float_denorm_mode_16_64 3
		.amdhsa_dx10_clamp 1
		.amdhsa_ieee_mode 1
		.amdhsa_fp16_overflow 0
		.amdhsa_workgroup_processor_mode 1
		.amdhsa_memory_ordered 1
		.amdhsa_forward_progress 1
		.amdhsa_shared_vgpr_count 0
		.amdhsa_exception_fp_ieee_invalid_op 0
		.amdhsa_exception_fp_denorm_src 0
		.amdhsa_exception_fp_ieee_div_zero 0
		.amdhsa_exception_fp_ieee_overflow 0
		.amdhsa_exception_fp_ieee_underflow 0
		.amdhsa_exception_fp_ieee_inexact 0
		.amdhsa_exception_int_div_zero 0
	.end_amdhsa_kernel
	.section	.text._ZN9rocsparseL19gebsrmvn_3xn_kernelILj128ELj8ELj16EdEEvi20rocsparse_direction_NS_24const_host_device_scalarIT2_EEPKiS6_PKS3_S8_S4_PS3_21rocsparse_index_base_b,"axG",@progbits,_ZN9rocsparseL19gebsrmvn_3xn_kernelILj128ELj8ELj16EdEEvi20rocsparse_direction_NS_24const_host_device_scalarIT2_EEPKiS6_PKS3_S8_S4_PS3_21rocsparse_index_base_b,comdat
.Lfunc_end69:
	.size	_ZN9rocsparseL19gebsrmvn_3xn_kernelILj128ELj8ELj16EdEEvi20rocsparse_direction_NS_24const_host_device_scalarIT2_EEPKiS6_PKS3_S8_S4_PS3_21rocsparse_index_base_b, .Lfunc_end69-_ZN9rocsparseL19gebsrmvn_3xn_kernelILj128ELj8ELj16EdEEvi20rocsparse_direction_NS_24const_host_device_scalarIT2_EEPKiS6_PKS3_S8_S4_PS3_21rocsparse_index_base_b
                                        ; -- End function
	.set _ZN9rocsparseL19gebsrmvn_3xn_kernelILj128ELj8ELj16EdEEvi20rocsparse_direction_NS_24const_host_device_scalarIT2_EEPKiS6_PKS3_S8_S4_PS3_21rocsparse_index_base_b.num_vgpr, 69
	.set _ZN9rocsparseL19gebsrmvn_3xn_kernelILj128ELj8ELj16EdEEvi20rocsparse_direction_NS_24const_host_device_scalarIT2_EEPKiS6_PKS3_S8_S4_PS3_21rocsparse_index_base_b.num_agpr, 0
	.set _ZN9rocsparseL19gebsrmvn_3xn_kernelILj128ELj8ELj16EdEEvi20rocsparse_direction_NS_24const_host_device_scalarIT2_EEPKiS6_PKS3_S8_S4_PS3_21rocsparse_index_base_b.numbered_sgpr, 16
	.set _ZN9rocsparseL19gebsrmvn_3xn_kernelILj128ELj8ELj16EdEEvi20rocsparse_direction_NS_24const_host_device_scalarIT2_EEPKiS6_PKS3_S8_S4_PS3_21rocsparse_index_base_b.num_named_barrier, 0
	.set _ZN9rocsparseL19gebsrmvn_3xn_kernelILj128ELj8ELj16EdEEvi20rocsparse_direction_NS_24const_host_device_scalarIT2_EEPKiS6_PKS3_S8_S4_PS3_21rocsparse_index_base_b.private_seg_size, 0
	.set _ZN9rocsparseL19gebsrmvn_3xn_kernelILj128ELj8ELj16EdEEvi20rocsparse_direction_NS_24const_host_device_scalarIT2_EEPKiS6_PKS3_S8_S4_PS3_21rocsparse_index_base_b.uses_vcc, 1
	.set _ZN9rocsparseL19gebsrmvn_3xn_kernelILj128ELj8ELj16EdEEvi20rocsparse_direction_NS_24const_host_device_scalarIT2_EEPKiS6_PKS3_S8_S4_PS3_21rocsparse_index_base_b.uses_flat_scratch, 0
	.set _ZN9rocsparseL19gebsrmvn_3xn_kernelILj128ELj8ELj16EdEEvi20rocsparse_direction_NS_24const_host_device_scalarIT2_EEPKiS6_PKS3_S8_S4_PS3_21rocsparse_index_base_b.has_dyn_sized_stack, 0
	.set _ZN9rocsparseL19gebsrmvn_3xn_kernelILj128ELj8ELj16EdEEvi20rocsparse_direction_NS_24const_host_device_scalarIT2_EEPKiS6_PKS3_S8_S4_PS3_21rocsparse_index_base_b.has_recursion, 0
	.set _ZN9rocsparseL19gebsrmvn_3xn_kernelILj128ELj8ELj16EdEEvi20rocsparse_direction_NS_24const_host_device_scalarIT2_EEPKiS6_PKS3_S8_S4_PS3_21rocsparse_index_base_b.has_indirect_call, 0
	.section	.AMDGPU.csdata,"",@progbits
; Kernel info:
; codeLenInByte = 3164
; TotalNumSgprs: 18
; NumVgprs: 69
; ScratchSize: 0
; MemoryBound: 1
; FloatMode: 240
; IeeeMode: 1
; LDSByteSize: 0 bytes/workgroup (compile time only)
; SGPRBlocks: 0
; VGPRBlocks: 8
; NumSGPRsForWavesPerEU: 18
; NumVGPRsForWavesPerEU: 69
; Occupancy: 12
; WaveLimiterHint : 1
; COMPUTE_PGM_RSRC2:SCRATCH_EN: 0
; COMPUTE_PGM_RSRC2:USER_SGPR: 6
; COMPUTE_PGM_RSRC2:TRAP_HANDLER: 0
; COMPUTE_PGM_RSRC2:TGID_X_EN: 1
; COMPUTE_PGM_RSRC2:TGID_Y_EN: 0
; COMPUTE_PGM_RSRC2:TGID_Z_EN: 0
; COMPUTE_PGM_RSRC2:TIDIG_COMP_CNT: 0
	.section	.text._ZN9rocsparseL19gebsrmvn_3xn_kernelILj128ELj8ELj32EdEEvi20rocsparse_direction_NS_24const_host_device_scalarIT2_EEPKiS6_PKS3_S8_S4_PS3_21rocsparse_index_base_b,"axG",@progbits,_ZN9rocsparseL19gebsrmvn_3xn_kernelILj128ELj8ELj32EdEEvi20rocsparse_direction_NS_24const_host_device_scalarIT2_EEPKiS6_PKS3_S8_S4_PS3_21rocsparse_index_base_b,comdat
	.globl	_ZN9rocsparseL19gebsrmvn_3xn_kernelILj128ELj8ELj32EdEEvi20rocsparse_direction_NS_24const_host_device_scalarIT2_EEPKiS6_PKS3_S8_S4_PS3_21rocsparse_index_base_b ; -- Begin function _ZN9rocsparseL19gebsrmvn_3xn_kernelILj128ELj8ELj32EdEEvi20rocsparse_direction_NS_24const_host_device_scalarIT2_EEPKiS6_PKS3_S8_S4_PS3_21rocsparse_index_base_b
	.p2align	8
	.type	_ZN9rocsparseL19gebsrmvn_3xn_kernelILj128ELj8ELj32EdEEvi20rocsparse_direction_NS_24const_host_device_scalarIT2_EEPKiS6_PKS3_S8_S4_PS3_21rocsparse_index_base_b,@function
_ZN9rocsparseL19gebsrmvn_3xn_kernelILj128ELj8ELj32EdEEvi20rocsparse_direction_NS_24const_host_device_scalarIT2_EEPKiS6_PKS3_S8_S4_PS3_21rocsparse_index_base_b: ; @_ZN9rocsparseL19gebsrmvn_3xn_kernelILj128ELj8ELj32EdEEvi20rocsparse_direction_NS_24const_host_device_scalarIT2_EEPKiS6_PKS3_S8_S4_PS3_21rocsparse_index_base_b
; %bb.0:
	s_clause 0x2
	s_load_dwordx2 s[2:3], s[4:5], 0x40
	s_load_dwordx2 s[8:9], s[4:5], 0x8
	;; [unrolled: 1-line block ×3, first 2 shown]
	s_waitcnt lgkmcnt(0)
	s_bitcmp1_b32 s3, 0
	v_mov_b32_e32 v1, s8
	v_mov_b32_e32 v2, s9
	s_cselect_b32 s3, -1, 0
	s_and_b32 vcc_lo, exec_lo, s3
	s_xor_b32 s3, s3, -1
	s_cbranch_vccnz .LBB70_2
; %bb.1:
	v_mov_b32_e32 v1, s8
	v_mov_b32_e32 v2, s9
	flat_load_dwordx2 v[1:2], v[1:2]
.LBB70_2:
	v_mov_b32_e32 v4, s1
	v_mov_b32_e32 v3, s0
	s_andn2_b32 vcc_lo, exec_lo, s3
	s_cbranch_vccnz .LBB70_4
; %bb.3:
	v_mov_b32_e32 v4, s1
	v_mov_b32_e32 v3, s0
	flat_load_dwordx2 v[3:4], v[3:4]
.LBB70_4:
	s_waitcnt vmcnt(0) lgkmcnt(0)
	v_cmp_neq_f64_e32 vcc_lo, 0, v[1:2]
	v_cmp_neq_f64_e64 s0, 1.0, v[3:4]
	s_or_b32 s0, vcc_lo, s0
	s_and_saveexec_b32 s1, s0
	s_cbranch_execz .LBB70_23
; %bb.5:
	s_load_dwordx2 s[0:1], s[4:5], 0x0
	v_lshrrev_b32_e32 v5, 5, v0
	v_lshl_or_b32 v5, s6, 2, v5
	s_waitcnt lgkmcnt(0)
	v_cmp_gt_i32_e32 vcc_lo, s0, v5
	s_and_b32 exec_lo, exec_lo, vcc_lo
	s_cbranch_execz .LBB70_23
; %bb.6:
	s_load_dwordx8 s[8:15], s[4:5], 0x10
	v_ashrrev_i32_e32 v6, 31, v5
	v_and_b32_e32 v0, 31, v0
	s_cmp_lg_u32 s1, 0
	v_lshlrev_b64 v[6:7], 2, v[5:6]
	s_waitcnt lgkmcnt(0)
	v_add_co_u32 v6, vcc_lo, s8, v6
	v_add_co_ci_u32_e64 v7, null, s9, v7, vcc_lo
	global_load_dwordx2 v[6:7], v[6:7], off
	s_waitcnt vmcnt(0)
	v_subrev_nc_u32_e32 v6, s2, v6
	v_subrev_nc_u32_e32 v20, s2, v7
	v_add_nc_u32_e32 v6, v6, v0
	v_cmp_lt_i32_e64 s0, v6, v20
	s_cbranch_scc0 .LBB70_12
; %bb.7:
	v_mov_b32_e32 v10, 0
	v_mov_b32_e32 v8, 0
	v_mov_b32_e32 v12, 0
	v_mov_b32_e32 v11, 0
	v_mov_b32_e32 v9, 0
	v_mov_b32_e32 v13, 0
	s_and_saveexec_b32 s1, s0
	s_cbranch_execz .LBB70_11
; %bb.8:
	v_mad_u64_u32 v[14:15], null, v6, 24, 23
	v_mov_b32_e32 v10, 0
	v_mov_b32_e32 v8, 0
	;; [unrolled: 1-line block ×8, first 2 shown]
	s_mov_b32 s3, 0
.LBB70_9:                               ; =>This Inner Loop Header: Depth=1
	v_ashrrev_i32_e32 v19, 31, v18
	v_mov_b32_e32 v38, v17
	v_lshlrev_b64 v[15:16], 2, v[18:19]
	v_add_nc_u32_e32 v18, 32, v18
	v_add_co_u32 v15, vcc_lo, s10, v15
	v_add_co_ci_u32_e64 v16, null, s11, v16, vcc_lo
	global_load_dword v7, v[15:16], off
	v_subrev_nc_u32_e32 v16, 23, v14
	v_mov_b32_e32 v15, v17
	v_lshlrev_b64 v[21:22], 3, v[16:17]
	v_add_nc_u32_e32 v16, -15, v14
	v_lshlrev_b64 v[23:24], 3, v[14:15]
	v_lshlrev_b64 v[39:40], 3, v[16:17]
	v_add_nc_u32_e32 v16, -14, v14
	v_add_co_u32 v33, vcc_lo, s12, v21
	v_add_co_ci_u32_e64 v34, null, s13, v22, vcc_lo
	v_lshlrev_b64 v[41:42], 3, v[16:17]
	v_add_co_u32 v45, vcc_lo, s12, v23
	v_add_nc_u32_e32 v16, -13, v14
	v_add_co_ci_u32_e64 v46, null, s13, v24, vcc_lo
	v_add_co_u32 v39, vcc_lo, s12, v39
	v_add_co_ci_u32_e64 v40, null, s13, v40, vcc_lo
	v_add_co_u32 v41, vcc_lo, s12, v41
	v_lshlrev_b64 v[43:44], 3, v[16:17]
	v_add_nc_u32_e32 v16, -12, v14
	v_add_co_ci_u32_e64 v42, null, s13, v42, vcc_lo
	s_clause 0x5
	global_load_dwordx4 v[21:24], v[33:34], off offset:16
	global_load_dwordx4 v[25:28], v[33:34], off
	global_load_dwordx4 v[29:32], v[33:34], off offset:32
	global_load_dwordx4 v[33:36], v[33:34], off offset:48
	global_load_dwordx2 v[47:48], v[39:40], off
	global_load_dwordx2 v[49:50], v[41:42], off
	v_lshlrev_b64 v[39:40], 3, v[16:17]
	v_add_nc_u32_e32 v16, -11, v14
	v_add_co_u32 v41, vcc_lo, s12, v43
	v_add_co_ci_u32_e64 v42, null, s13, v44, vcc_lo
	v_lshlrev_b64 v[43:44], 3, v[16:17]
	v_add_nc_u32_e32 v16, -10, v14
	v_add_co_u32 v39, vcc_lo, s12, v39
	v_add_co_ci_u32_e64 v40, null, s13, v40, vcc_lo
	;; [unrolled: 4-line block ×3, first 2 shown]
	v_lshlrev_b64 v[59:60], 3, v[16:17]
	s_clause 0x1
	global_load_dwordx2 v[51:52], v[41:42], off
	global_load_dwordx2 v[55:56], v[39:40], off
	s_waitcnt vmcnt(8)
	v_subrev_nc_u32_e32 v7, s2, v7
	v_lshlrev_b32_e32 v37, 3, v7
	v_lshlrev_b64 v[15:16], 3, v[37:38]
	v_add_co_u32 v61, vcc_lo, s14, v15
	v_add_co_ci_u32_e64 v62, null, s15, v16, vcc_lo
	v_add_co_u32 v53, vcc_lo, s12, v53
	v_add_co_ci_u32_e64 v54, null, s13, v54, vcc_lo
	s_clause 0x1
	global_load_dwordx4 v[37:40], v[61:62], off
	global_load_dwordx4 v[41:44], v[61:62], off offset:16
	v_add_co_u32 v59, vcc_lo, s12, v59
	v_add_nc_u32_e32 v16, -8, v14
	v_add_co_ci_u32_e64 v60, null, s13, v60, vcc_lo
	s_clause 0x1
	global_load_dwordx2 v[57:58], v[57:58], off
	global_load_dwordx2 v[53:54], v[53:54], off
	v_lshlrev_b64 v[63:64], 3, v[16:17]
	v_add_nc_u32_e32 v16, -7, v14
	global_load_dwordx2 v[59:60], v[59:60], off
	v_lshlrev_b64 v[65:66], 3, v[16:17]
	v_add_nc_u32_e32 v16, -6, v14
	v_add_co_u32 v63, vcc_lo, s12, v63
	v_add_co_ci_u32_e64 v64, null, s13, v64, vcc_lo
	s_waitcnt vmcnt(4)
	v_fma_f64 v[25:26], v[25:26], v[37:38], v[10:11]
	v_fma_f64 v[27:28], v[27:28], v[37:38], v[12:13]
	global_load_dwordx4 v[10:13], v[61:62], off offset:32
	v_fma_f64 v[7:8], v[21:22], v[37:38], v[8:9]
	v_lshlrev_b64 v[21:22], 3, v[16:17]
	v_add_nc_u32_e32 v16, -5, v14
	global_load_dwordx2 v[37:38], v[63:64], off
	v_lshlrev_b64 v[63:64], 3, v[16:17]
	v_add_nc_u32_e32 v16, -4, v14
	v_fma_f64 v[25:26], v[23:24], v[39:40], v[25:26]
	v_add_co_u32 v23, vcc_lo, s12, v65
	v_add_co_ci_u32_e64 v24, null, s13, v66, vcc_lo
	v_add_co_u32 v21, vcc_lo, s12, v21
	v_add_co_ci_u32_e64 v22, null, s13, v22, vcc_lo
	global_load_dwordx2 v[65:66], v[23:24], off
	v_fma_f64 v[27:28], v[29:30], v[39:40], v[27:28]
	v_fma_f64 v[7:8], v[31:32], v[39:40], v[7:8]
	global_load_dwordx2 v[29:30], v[21:22], off
	v_lshlrev_b64 v[23:24], 3, v[16:17]
	v_add_nc_u32_e32 v16, -3, v14
	v_add_co_u32 v21, vcc_lo, s12, v63
	v_add_co_ci_u32_e64 v22, null, s13, v64, vcc_lo
	v_lshlrev_b64 v[15:16], 3, v[16:17]
	v_add_co_u32 v23, vcc_lo, s12, v23
	v_add_co_ci_u32_e64 v24, null, s13, v24, vcc_lo
	global_load_dwordx2 v[31:32], v[21:22], off
	v_add_co_u32 v15, vcc_lo, s12, v15
	v_add_co_ci_u32_e64 v16, null, s13, v16, vcc_lo
	s_clause 0x1
	global_load_dwordx2 v[39:40], v[23:24], off
	global_load_dwordx2 v[63:64], v[15:16], off
	global_load_dwordx4 v[21:24], v[61:62], off offset:48
	v_add_nc_u32_e32 v16, -2, v14
	s_waitcnt vmcnt(11)
	v_fma_f64 v[25:26], v[33:34], v[41:42], v[25:26]
	v_fma_f64 v[27:28], v[35:36], v[41:42], v[27:28]
	;; [unrolled: 1-line block ×3, first 2 shown]
	v_lshlrev_b64 v[61:62], 3, v[16:17]
	v_add_nc_u32_e32 v16, -1, v14
	v_add_nc_u32_e32 v14, 0x300, v14
	v_lshlrev_b64 v[15:16], 3, v[16:17]
	v_add_co_u32 v33, vcc_lo, s12, v61
	v_add_co_ci_u32_e64 v34, null, s13, v62, vcc_lo
	v_add_co_u32 v15, vcc_lo, s12, v15
	v_add_co_ci_u32_e64 v16, null, s13, v16, vcc_lo
	s_clause 0x2
	global_load_dwordx2 v[35:36], v[45:46], off
	global_load_dwordx2 v[33:34], v[33:34], off
	;; [unrolled: 1-line block ×3, first 2 shown]
	v_fma_f64 v[25:26], v[49:50], v[43:44], v[25:26]
	v_fma_f64 v[27:28], v[51:52], v[43:44], v[27:28]
	;; [unrolled: 1-line block ×3, first 2 shown]
	v_cmp_ge_i32_e32 vcc_lo, v18, v20
	s_or_b32 s3, vcc_lo, s3
	s_waitcnt vmcnt(10)
	v_fma_f64 v[25:26], v[57:58], v[10:11], v[25:26]
	v_fma_f64 v[27:28], v[53:54], v[10:11], v[27:28]
	;; [unrolled: 1-line block ×3, first 2 shown]
	s_waitcnt vmcnt(9)
	v_fma_f64 v[9:10], v[37:38], v[12:13], v[25:26]
	s_waitcnt vmcnt(8)
	v_fma_f64 v[25:26], v[65:66], v[12:13], v[27:28]
	;; [unrolled: 2-line block ×4, first 2 shown]
	v_fma_f64 v[12:13], v[39:40], v[21:22], v[25:26]
	v_fma_f64 v[7:8], v[63:64], v[21:22], v[7:8]
	s_waitcnt vmcnt(1)
	v_fma_f64 v[10:11], v[33:34], v[23:24], v[9:10]
	s_waitcnt vmcnt(0)
	v_fma_f64 v[12:13], v[15:16], v[23:24], v[12:13]
	v_fma_f64 v[8:9], v[35:36], v[23:24], v[7:8]
	s_andn2_b32 exec_lo, exec_lo, s3
	s_cbranch_execnz .LBB70_9
; %bb.10:
	s_or_b32 exec_lo, exec_lo, s3
.LBB70_11:
	s_or_b32 exec_lo, exec_lo, s1
	s_cbranch_execz .LBB70_13
	s_branch .LBB70_18
.LBB70_12:
                                        ; implicit-def: $vgpr10_vgpr11
                                        ; implicit-def: $vgpr8_vgpr9
                                        ; implicit-def: $vgpr12_vgpr13
.LBB70_13:
	v_mov_b32_e32 v10, 0
	v_mov_b32_e32 v8, 0
	;; [unrolled: 1-line block ×6, first 2 shown]
	s_and_saveexec_b32 s1, s0
	s_cbranch_execz .LBB70_17
; %bb.14:
	v_mad_u64_u32 v[14:15], null, v6, 24, 23
	v_mov_b32_e32 v10, 0
	v_mov_b32_e32 v8, 0
	;; [unrolled: 1-line block ×7, first 2 shown]
	s_mov_b32 s0, 0
.LBB70_15:                              ; =>This Inner Loop Header: Depth=1
	v_ashrrev_i32_e32 v7, 31, v6
	v_subrev_nc_u32_e32 v16, 23, v14
	v_add_nc_u32_e32 v18, -15, v14
	v_mov_b32_e32 v19, v17
	v_add_nc_u32_e32 v21, -7, v14
	v_lshlrev_b64 v[27:28], 2, v[6:7]
	v_mov_b32_e32 v22, v17
	v_lshlrev_b64 v[23:24], 3, v[16:17]
	v_lshlrev_b64 v[18:19], 3, v[18:19]
	v_mov_b32_e32 v15, v17
	v_add_nc_u32_e32 v16, -14, v14
	v_lshlrev_b64 v[21:22], 3, v[21:22]
	v_add_co_u32 v27, vcc_lo, s10, v27
	v_add_co_ci_u32_e64 v28, null, s11, v28, vcc_lo
	v_add_co_u32 v37, vcc_lo, s12, v23
	v_add_co_ci_u32_e64 v38, null, s13, v24, vcc_lo
	;; [unrolled: 2-line block ×4, first 2 shown]
	global_load_dword v7, v[27:28], off
	s_clause 0x2
	global_load_dwordx4 v[21:24], v[37:38], off
	global_load_dwordx2 v[18:19], v[18:19], off
	global_load_dwordx2 v[39:40], v[33:34], off
	v_lshlrev_b64 v[29:30], 3, v[14:15]
	v_lshlrev_b64 v[31:32], 3, v[16:17]
	v_add_nc_u32_e32 v16, -6, v14
	v_mov_b32_e32 v26, v17
	v_add_nc_u32_e32 v6, 32, v6
	v_add_co_u32 v41, vcc_lo, s12, v29
	v_add_co_ci_u32_e64 v42, null, s13, v30, vcc_lo
	v_lshlrev_b64 v[29:30], 3, v[16:17]
	v_add_nc_u32_e32 v16, -13, v14
	v_add_co_u32 v27, vcc_lo, s12, v31
	v_add_co_ci_u32_e64 v28, null, s13, v32, vcc_lo
	v_add_co_u32 v29, vcc_lo, s12, v29
	v_lshlrev_b64 v[31:32], 3, v[16:17]
	v_add_nc_u32_e32 v16, -5, v14
	v_add_co_ci_u32_e64 v30, null, s13, v30, vcc_lo
	global_load_dwordx2 v[43:44], v[27:28], off
	v_add_co_u32 v47, vcc_lo, s12, v31
	global_load_dwordx2 v[45:46], v[29:30], off
	v_lshlrev_b64 v[27:28], 3, v[16:17]
	v_add_nc_u32_e32 v16, -12, v14
	v_add_co_ci_u32_e64 v48, null, s13, v32, vcc_lo
	v_lshlrev_b64 v[29:30], 3, v[16:17]
	v_add_nc_u32_e32 v16, -4, v14
	v_add_co_u32 v49, vcc_lo, s12, v27
	v_add_co_ci_u32_e64 v50, null, s13, v28, vcc_lo
	v_lshlrev_b64 v[27:28], 3, v[16:17]
	v_add_nc_u32_e32 v16, -11, v14
	v_add_co_u32 v51, vcc_lo, s12, v29
	;; [unrolled: 4-line block ×6, first 2 shown]
	v_add_co_ci_u32_e64 v60, null, s13, v30, vcc_lo
	v_lshlrev_b64 v[15:16], 3, v[16:17]
	v_add_co_u32 v61, vcc_lo, s12, v27
	v_add_co_ci_u32_e64 v62, null, s13, v28, vcc_lo
	v_add_co_u32 v63, vcc_lo, s12, v15
	v_add_co_ci_u32_e64 v64, null, s13, v16, vcc_lo
	s_waitcnt vmcnt(5)
	v_subrev_nc_u32_e32 v7, s2, v7
	v_lshlrev_b32_e32 v25, 3, v7
	v_lshlrev_b64 v[15:16], 3, v[25:26]
	v_add_co_u32 v65, vcc_lo, s14, v15
	v_add_co_ci_u32_e64 v66, null, s15, v16, vcc_lo
	s_clause 0x1
	global_load_dwordx4 v[25:28], v[65:66], off
	global_load_dwordx4 v[29:32], v[65:66], off offset:16
	s_clause 0x2
	global_load_dwordx4 v[33:36], v[37:38], off offset:16
	global_load_dwordx2 v[47:48], v[47:48], off
	global_load_dwordx2 v[49:50], v[49:50], off
	v_add_nc_u32_e32 v16, -1, v14
	s_waitcnt vmcnt(4)
	v_fma_f64 v[10:11], v[21:22], v[25:26], v[10:11]
	v_fma_f64 v[18:19], v[18:19], v[25:26], v[12:13]
	;; [unrolled: 1-line block ×3, first 2 shown]
	v_lshlrev_b64 v[25:26], 3, v[16:17]
	v_add_nc_u32_e32 v16, -8, v14
	v_add_nc_u32_e32 v14, 0x300, v14
	v_lshlrev_b64 v[15:16], 3, v[16:17]
	v_fma_f64 v[67:68], v[23:24], v[27:28], v[10:11]
	s_clause 0x5
	global_load_dwordx4 v[10:13], v[37:38], off offset:48
	global_load_dwordx4 v[21:24], v[37:38], off offset:32
	global_load_dwordx2 v[51:52], v[51:52], off
	global_load_dwordx2 v[53:54], v[53:54], off
	;; [unrolled: 1-line block ×4, first 2 shown]
	v_add_co_u32 v37, vcc_lo, s12, v25
	v_add_co_ci_u32_e64 v38, null, s13, v26, vcc_lo
	v_fma_f64 v[18:19], v[43:44], v[27:28], v[18:19]
	v_fma_f64 v[7:8], v[45:46], v[27:28], v[7:8]
	global_load_dwordx4 v[25:28], v[65:66], off offset:32
	s_clause 0x3
	global_load_dwordx2 v[43:44], v[59:60], off
	global_load_dwordx2 v[45:46], v[61:62], off
	;; [unrolled: 1-line block ×4, first 2 shown]
	v_add_co_u32 v15, vcc_lo, s12, v15
	v_add_co_ci_u32_e64 v16, null, s13, v16, vcc_lo
	global_load_dwordx4 v[37:40], v[65:66], off offset:48
	s_clause 0x1
	global_load_dwordx2 v[15:16], v[15:16], off
	global_load_dwordx2 v[41:42], v[41:42], off
	v_cmp_ge_i32_e32 vcc_lo, v6, v20
	s_waitcnt vmcnt(16)
	v_fma_f64 v[33:34], v[33:34], v[29:30], v[67:68]
	s_or_b32 s0, vcc_lo, s0
	s_waitcnt vmcnt(15)
	v_fma_f64 v[18:19], v[47:48], v[29:30], v[18:19]
	s_waitcnt vmcnt(14)
	v_fma_f64 v[7:8], v[49:50], v[29:30], v[7:8]
	v_fma_f64 v[29:30], v[35:36], v[31:32], v[33:34]
	s_waitcnt vmcnt(11)
	v_fma_f64 v[18:19], v[51:52], v[31:32], v[18:19]
	s_waitcnt vmcnt(10)
	v_fma_f64 v[7:8], v[53:54], v[31:32], v[7:8]
	s_waitcnt vmcnt(7)
	v_fma_f64 v[21:22], v[21:22], v[25:26], v[29:30]
	v_fma_f64 v[18:19], v[55:56], v[25:26], v[18:19]
	;; [unrolled: 1-line block ×4, first 2 shown]
	s_waitcnt vmcnt(6)
	v_fma_f64 v[18:19], v[43:44], v[27:28], v[18:19]
	s_waitcnt vmcnt(5)
	v_fma_f64 v[7:8], v[45:46], v[27:28], v[7:8]
	s_waitcnt vmcnt(2)
	v_fma_f64 v[9:10], v[10:11], v[37:38], v[21:22]
	v_fma_f64 v[18:19], v[59:60], v[37:38], v[18:19]
	v_fma_f64 v[7:8], v[61:62], v[37:38], v[7:8]
	v_fma_f64 v[10:11], v[12:13], v[39:40], v[9:10]
	s_waitcnt vmcnt(1)
	v_fma_f64 v[12:13], v[15:16], v[39:40], v[18:19]
	s_waitcnt vmcnt(0)
	v_fma_f64 v[8:9], v[41:42], v[39:40], v[7:8]
	s_andn2_b32 exec_lo, exec_lo, s0
	s_cbranch_execnz .LBB70_15
; %bb.16:
	s_or_b32 exec_lo, exec_lo, s0
.LBB70_17:
	s_or_b32 exec_lo, exec_lo, s1
.LBB70_18:
	v_mbcnt_lo_u32_b32 v18, -1, 0
	v_xor_b32_e32 v6, 16, v18
	v_cmp_gt_i32_e32 vcc_lo, 32, v6
	v_cndmask_b32_e32 v6, v18, v6, vcc_lo
	v_lshlrev_b32_e32 v17, 2, v6
	ds_bpermute_b32 v6, v17, v10
	ds_bpermute_b32 v7, v17, v11
	;; [unrolled: 1-line block ×6, first 2 shown]
	s_waitcnt lgkmcnt(4)
	v_add_f64 v[6:7], v[10:11], v[6:7]
	s_waitcnt lgkmcnt(2)
	v_add_f64 v[10:11], v[12:13], v[14:15]
	v_xor_b32_e32 v12, 8, v18
	s_waitcnt lgkmcnt(0)
	v_add_f64 v[8:9], v[8:9], v[16:17]
	v_cmp_gt_i32_e32 vcc_lo, 32, v12
	v_cndmask_b32_e32 v12, v18, v12, vcc_lo
	v_lshlrev_b32_e32 v17, 2, v12
	ds_bpermute_b32 v12, v17, v6
	ds_bpermute_b32 v13, v17, v7
	;; [unrolled: 1-line block ×6, first 2 shown]
	s_waitcnt lgkmcnt(4)
	v_add_f64 v[6:7], v[6:7], v[12:13]
	v_xor_b32_e32 v12, 4, v18
	s_waitcnt lgkmcnt(2)
	v_add_f64 v[10:11], v[10:11], v[14:15]
	s_waitcnt lgkmcnt(0)
	v_add_f64 v[8:9], v[8:9], v[16:17]
	v_cmp_gt_i32_e32 vcc_lo, 32, v12
	v_cndmask_b32_e32 v12, v18, v12, vcc_lo
	v_lshlrev_b32_e32 v17, 2, v12
	ds_bpermute_b32 v12, v17, v6
	ds_bpermute_b32 v13, v17, v7
	;; [unrolled: 1-line block ×6, first 2 shown]
	s_waitcnt lgkmcnt(4)
	v_add_f64 v[6:7], v[6:7], v[12:13]
	s_waitcnt lgkmcnt(2)
	v_add_f64 v[10:11], v[10:11], v[14:15]
	;; [unrolled: 2-line block ×3, first 2 shown]
	v_xor_b32_e32 v8, 2, v18
	v_cmp_gt_i32_e32 vcc_lo, 32, v8
	v_cndmask_b32_e32 v8, v18, v8, vcc_lo
	v_lshlrev_b32_e32 v17, 2, v8
	ds_bpermute_b32 v8, v17, v6
	ds_bpermute_b32 v9, v17, v7
	;; [unrolled: 1-line block ×6, first 2 shown]
	s_waitcnt lgkmcnt(4)
	v_add_f64 v[8:9], v[6:7], v[8:9]
	s_waitcnt lgkmcnt(2)
	v_add_f64 v[6:7], v[10:11], v[14:15]
	v_xor_b32_e32 v10, 1, v18
	s_waitcnt lgkmcnt(0)
	v_add_f64 v[12:13], v[12:13], v[16:17]
	v_cmp_gt_i32_e32 vcc_lo, 32, v10
	v_cndmask_b32_e32 v10, v18, v10, vcc_lo
	v_cmp_eq_u32_e32 vcc_lo, 31, v0
	v_lshlrev_b32_e32 v15, 2, v10
	ds_bpermute_b32 v10, v15, v8
	ds_bpermute_b32 v11, v15, v9
	;; [unrolled: 1-line block ×6, first 2 shown]
	s_and_b32 exec_lo, exec_lo, vcc_lo
	s_cbranch_execz .LBB70_23
; %bb.19:
	s_waitcnt lgkmcnt(4)
	v_add_f64 v[10:11], v[8:9], v[10:11]
	s_waitcnt lgkmcnt(2)
	v_add_f64 v[8:9], v[6:7], v[16:17]
	;; [unrolled: 2-line block ×3, first 2 shown]
	s_load_dwordx2 s[0:1], s[4:5], 0x38
	s_mov_b32 s2, exec_lo
	v_cmpx_eq_f64_e32 0, v[3:4]
	s_xor_b32 s2, exec_lo, s2
	s_cbranch_execz .LBB70_21
; %bb.20:
	v_lshl_add_u32 v0, v5, 1, v5
	v_mul_f64 v[10:11], v[1:2], v[10:11]
	v_mul_f64 v[12:13], v[1:2], v[8:9]
	;; [unrolled: 1-line block ×3, first 2 shown]
                                        ; implicit-def: $vgpr5
                                        ; implicit-def: $vgpr8_vgpr9
                                        ; implicit-def: $vgpr6_vgpr7
	v_ashrrev_i32_e32 v1, 31, v0
	v_lshlrev_b64 v[0:1], 3, v[0:1]
	s_waitcnt lgkmcnt(0)
	v_add_co_u32 v0, vcc_lo, s0, v0
	v_add_co_ci_u32_e64 v1, null, s1, v1, vcc_lo
	global_store_dwordx4 v[0:1], v[10:13], off
	global_store_dwordx2 v[0:1], v[2:3], off offset:16
                                        ; implicit-def: $vgpr1_vgpr2
                                        ; implicit-def: $vgpr10_vgpr11
                                        ; implicit-def: $vgpr3_vgpr4
.LBB70_21:
	s_andn2_saveexec_b32 s2, s2
	s_cbranch_execz .LBB70_23
; %bb.22:
	v_lshl_add_u32 v12, v5, 1, v5
	v_mul_f64 v[10:11], v[1:2], v[10:11]
	v_mul_f64 v[8:9], v[1:2], v[8:9]
	;; [unrolled: 1-line block ×3, first 2 shown]
	v_ashrrev_i32_e32 v13, 31, v12
	v_lshlrev_b64 v[12:13], 3, v[12:13]
	s_waitcnt lgkmcnt(0)
	v_add_co_u32 v16, vcc_lo, s0, v12
	v_add_co_ci_u32_e64 v17, null, s1, v13, vcc_lo
	s_clause 0x1
	global_load_dwordx4 v[12:15], v[16:17], off
	global_load_dwordx2 v[18:19], v[16:17], off offset:16
	s_waitcnt vmcnt(1)
	v_fma_f64 v[5:6], v[3:4], v[12:13], v[10:11]
	v_fma_f64 v[7:8], v[3:4], v[14:15], v[8:9]
	s_waitcnt vmcnt(0)
	v_fma_f64 v[0:1], v[3:4], v[18:19], v[0:1]
	global_store_dwordx4 v[16:17], v[5:8], off
	global_store_dwordx2 v[16:17], v[0:1], off offset:16
.LBB70_23:
	s_endpgm
	.section	.rodata,"a",@progbits
	.p2align	6, 0x0
	.amdhsa_kernel _ZN9rocsparseL19gebsrmvn_3xn_kernelILj128ELj8ELj32EdEEvi20rocsparse_direction_NS_24const_host_device_scalarIT2_EEPKiS6_PKS3_S8_S4_PS3_21rocsparse_index_base_b
		.amdhsa_group_segment_fixed_size 0
		.amdhsa_private_segment_fixed_size 0
		.amdhsa_kernarg_size 72
		.amdhsa_user_sgpr_count 6
		.amdhsa_user_sgpr_private_segment_buffer 1
		.amdhsa_user_sgpr_dispatch_ptr 0
		.amdhsa_user_sgpr_queue_ptr 0
		.amdhsa_user_sgpr_kernarg_segment_ptr 1
		.amdhsa_user_sgpr_dispatch_id 0
		.amdhsa_user_sgpr_flat_scratch_init 0
		.amdhsa_user_sgpr_private_segment_size 0
		.amdhsa_wavefront_size32 1
		.amdhsa_uses_dynamic_stack 0
		.amdhsa_system_sgpr_private_segment_wavefront_offset 0
		.amdhsa_system_sgpr_workgroup_id_x 1
		.amdhsa_system_sgpr_workgroup_id_y 0
		.amdhsa_system_sgpr_workgroup_id_z 0
		.amdhsa_system_sgpr_workgroup_info 0
		.amdhsa_system_vgpr_workitem_id 0
		.amdhsa_next_free_vgpr 69
		.amdhsa_next_free_sgpr 16
		.amdhsa_reserve_vcc 1
		.amdhsa_reserve_flat_scratch 0
		.amdhsa_float_round_mode_32 0
		.amdhsa_float_round_mode_16_64 0
		.amdhsa_float_denorm_mode_32 3
		.amdhsa_float_denorm_mode_16_64 3
		.amdhsa_dx10_clamp 1
		.amdhsa_ieee_mode 1
		.amdhsa_fp16_overflow 0
		.amdhsa_workgroup_processor_mode 1
		.amdhsa_memory_ordered 1
		.amdhsa_forward_progress 1
		.amdhsa_shared_vgpr_count 0
		.amdhsa_exception_fp_ieee_invalid_op 0
		.amdhsa_exception_fp_denorm_src 0
		.amdhsa_exception_fp_ieee_div_zero 0
		.amdhsa_exception_fp_ieee_overflow 0
		.amdhsa_exception_fp_ieee_underflow 0
		.amdhsa_exception_fp_ieee_inexact 0
		.amdhsa_exception_int_div_zero 0
	.end_amdhsa_kernel
	.section	.text._ZN9rocsparseL19gebsrmvn_3xn_kernelILj128ELj8ELj32EdEEvi20rocsparse_direction_NS_24const_host_device_scalarIT2_EEPKiS6_PKS3_S8_S4_PS3_21rocsparse_index_base_b,"axG",@progbits,_ZN9rocsparseL19gebsrmvn_3xn_kernelILj128ELj8ELj32EdEEvi20rocsparse_direction_NS_24const_host_device_scalarIT2_EEPKiS6_PKS3_S8_S4_PS3_21rocsparse_index_base_b,comdat
.Lfunc_end70:
	.size	_ZN9rocsparseL19gebsrmvn_3xn_kernelILj128ELj8ELj32EdEEvi20rocsparse_direction_NS_24const_host_device_scalarIT2_EEPKiS6_PKS3_S8_S4_PS3_21rocsparse_index_base_b, .Lfunc_end70-_ZN9rocsparseL19gebsrmvn_3xn_kernelILj128ELj8ELj32EdEEvi20rocsparse_direction_NS_24const_host_device_scalarIT2_EEPKiS6_PKS3_S8_S4_PS3_21rocsparse_index_base_b
                                        ; -- End function
	.set _ZN9rocsparseL19gebsrmvn_3xn_kernelILj128ELj8ELj32EdEEvi20rocsparse_direction_NS_24const_host_device_scalarIT2_EEPKiS6_PKS3_S8_S4_PS3_21rocsparse_index_base_b.num_vgpr, 69
	.set _ZN9rocsparseL19gebsrmvn_3xn_kernelILj128ELj8ELj32EdEEvi20rocsparse_direction_NS_24const_host_device_scalarIT2_EEPKiS6_PKS3_S8_S4_PS3_21rocsparse_index_base_b.num_agpr, 0
	.set _ZN9rocsparseL19gebsrmvn_3xn_kernelILj128ELj8ELj32EdEEvi20rocsparse_direction_NS_24const_host_device_scalarIT2_EEPKiS6_PKS3_S8_S4_PS3_21rocsparse_index_base_b.numbered_sgpr, 16
	.set _ZN9rocsparseL19gebsrmvn_3xn_kernelILj128ELj8ELj32EdEEvi20rocsparse_direction_NS_24const_host_device_scalarIT2_EEPKiS6_PKS3_S8_S4_PS3_21rocsparse_index_base_b.num_named_barrier, 0
	.set _ZN9rocsparseL19gebsrmvn_3xn_kernelILj128ELj8ELj32EdEEvi20rocsparse_direction_NS_24const_host_device_scalarIT2_EEPKiS6_PKS3_S8_S4_PS3_21rocsparse_index_base_b.private_seg_size, 0
	.set _ZN9rocsparseL19gebsrmvn_3xn_kernelILj128ELj8ELj32EdEEvi20rocsparse_direction_NS_24const_host_device_scalarIT2_EEPKiS6_PKS3_S8_S4_PS3_21rocsparse_index_base_b.uses_vcc, 1
	.set _ZN9rocsparseL19gebsrmvn_3xn_kernelILj128ELj8ELj32EdEEvi20rocsparse_direction_NS_24const_host_device_scalarIT2_EEPKiS6_PKS3_S8_S4_PS3_21rocsparse_index_base_b.uses_flat_scratch, 0
	.set _ZN9rocsparseL19gebsrmvn_3xn_kernelILj128ELj8ELj32EdEEvi20rocsparse_direction_NS_24const_host_device_scalarIT2_EEPKiS6_PKS3_S8_S4_PS3_21rocsparse_index_base_b.has_dyn_sized_stack, 0
	.set _ZN9rocsparseL19gebsrmvn_3xn_kernelILj128ELj8ELj32EdEEvi20rocsparse_direction_NS_24const_host_device_scalarIT2_EEPKiS6_PKS3_S8_S4_PS3_21rocsparse_index_base_b.has_recursion, 0
	.set _ZN9rocsparseL19gebsrmvn_3xn_kernelILj128ELj8ELj32EdEEvi20rocsparse_direction_NS_24const_host_device_scalarIT2_EEPKiS6_PKS3_S8_S4_PS3_21rocsparse_index_base_b.has_indirect_call, 0
	.section	.AMDGPU.csdata,"",@progbits
; Kernel info:
; codeLenInByte = 3264
; TotalNumSgprs: 18
; NumVgprs: 69
; ScratchSize: 0
; MemoryBound: 1
; FloatMode: 240
; IeeeMode: 1
; LDSByteSize: 0 bytes/workgroup (compile time only)
; SGPRBlocks: 0
; VGPRBlocks: 8
; NumSGPRsForWavesPerEU: 18
; NumVGPRsForWavesPerEU: 69
; Occupancy: 12
; WaveLimiterHint : 1
; COMPUTE_PGM_RSRC2:SCRATCH_EN: 0
; COMPUTE_PGM_RSRC2:USER_SGPR: 6
; COMPUTE_PGM_RSRC2:TRAP_HANDLER: 0
; COMPUTE_PGM_RSRC2:TGID_X_EN: 1
; COMPUTE_PGM_RSRC2:TGID_Y_EN: 0
; COMPUTE_PGM_RSRC2:TGID_Z_EN: 0
; COMPUTE_PGM_RSRC2:TIDIG_COMP_CNT: 0
	.section	.text._ZN9rocsparseL19gebsrmvn_3xn_kernelILj128ELj8ELj64EdEEvi20rocsparse_direction_NS_24const_host_device_scalarIT2_EEPKiS6_PKS3_S8_S4_PS3_21rocsparse_index_base_b,"axG",@progbits,_ZN9rocsparseL19gebsrmvn_3xn_kernelILj128ELj8ELj64EdEEvi20rocsparse_direction_NS_24const_host_device_scalarIT2_EEPKiS6_PKS3_S8_S4_PS3_21rocsparse_index_base_b,comdat
	.globl	_ZN9rocsparseL19gebsrmvn_3xn_kernelILj128ELj8ELj64EdEEvi20rocsparse_direction_NS_24const_host_device_scalarIT2_EEPKiS6_PKS3_S8_S4_PS3_21rocsparse_index_base_b ; -- Begin function _ZN9rocsparseL19gebsrmvn_3xn_kernelILj128ELj8ELj64EdEEvi20rocsparse_direction_NS_24const_host_device_scalarIT2_EEPKiS6_PKS3_S8_S4_PS3_21rocsparse_index_base_b
	.p2align	8
	.type	_ZN9rocsparseL19gebsrmvn_3xn_kernelILj128ELj8ELj64EdEEvi20rocsparse_direction_NS_24const_host_device_scalarIT2_EEPKiS6_PKS3_S8_S4_PS3_21rocsparse_index_base_b,@function
_ZN9rocsparseL19gebsrmvn_3xn_kernelILj128ELj8ELj64EdEEvi20rocsparse_direction_NS_24const_host_device_scalarIT2_EEPKiS6_PKS3_S8_S4_PS3_21rocsparse_index_base_b: ; @_ZN9rocsparseL19gebsrmvn_3xn_kernelILj128ELj8ELj64EdEEvi20rocsparse_direction_NS_24const_host_device_scalarIT2_EEPKiS6_PKS3_S8_S4_PS3_21rocsparse_index_base_b
; %bb.0:
	s_clause 0x2
	s_load_dwordx2 s[2:3], s[4:5], 0x40
	s_load_dwordx2 s[8:9], s[4:5], 0x8
	;; [unrolled: 1-line block ×3, first 2 shown]
	s_waitcnt lgkmcnt(0)
	s_bitcmp1_b32 s3, 0
	v_mov_b32_e32 v1, s8
	v_mov_b32_e32 v2, s9
	s_cselect_b32 s3, -1, 0
	s_and_b32 vcc_lo, exec_lo, s3
	s_xor_b32 s3, s3, -1
	s_cbranch_vccnz .LBB71_2
; %bb.1:
	v_mov_b32_e32 v1, s8
	v_mov_b32_e32 v2, s9
	flat_load_dwordx2 v[1:2], v[1:2]
.LBB71_2:
	v_mov_b32_e32 v4, s1
	v_mov_b32_e32 v3, s0
	s_andn2_b32 vcc_lo, exec_lo, s3
	s_cbranch_vccnz .LBB71_4
; %bb.3:
	v_mov_b32_e32 v4, s1
	v_mov_b32_e32 v3, s0
	flat_load_dwordx2 v[3:4], v[3:4]
.LBB71_4:
	s_waitcnt vmcnt(0) lgkmcnt(0)
	v_cmp_neq_f64_e32 vcc_lo, 0, v[1:2]
	v_cmp_neq_f64_e64 s0, 1.0, v[3:4]
	s_or_b32 s0, vcc_lo, s0
	s_and_saveexec_b32 s1, s0
	s_cbranch_execz .LBB71_23
; %bb.5:
	s_load_dwordx2 s[0:1], s[4:5], 0x0
	v_lshrrev_b32_e32 v5, 6, v0
	v_lshl_or_b32 v5, s6, 1, v5
	s_waitcnt lgkmcnt(0)
	v_cmp_gt_i32_e32 vcc_lo, s0, v5
	s_and_b32 exec_lo, exec_lo, vcc_lo
	s_cbranch_execz .LBB71_23
; %bb.6:
	s_load_dwordx8 s[8:15], s[4:5], 0x10
	v_ashrrev_i32_e32 v6, 31, v5
	v_and_b32_e32 v0, 63, v0
	s_cmp_lg_u32 s1, 0
	v_lshlrev_b64 v[6:7], 2, v[5:6]
	s_waitcnt lgkmcnt(0)
	v_add_co_u32 v6, vcc_lo, s8, v6
	v_add_co_ci_u32_e64 v7, null, s9, v7, vcc_lo
	global_load_dwordx2 v[6:7], v[6:7], off
	s_waitcnt vmcnt(0)
	v_subrev_nc_u32_e32 v6, s2, v6
	v_subrev_nc_u32_e32 v20, s2, v7
	v_add_nc_u32_e32 v6, v6, v0
	v_cmp_lt_i32_e64 s0, v6, v20
	s_cbranch_scc0 .LBB71_12
; %bb.7:
	v_mov_b32_e32 v10, 0
	v_mov_b32_e32 v8, 0
	;; [unrolled: 1-line block ×6, first 2 shown]
	s_and_saveexec_b32 s1, s0
	s_cbranch_execz .LBB71_11
; %bb.8:
	v_mad_u64_u32 v[14:15], null, v6, 24, 23
	v_mov_b32_e32 v10, 0
	v_mov_b32_e32 v8, 0
	;; [unrolled: 1-line block ×8, first 2 shown]
	s_mov_b32 s3, 0
.LBB71_9:                               ; =>This Inner Loop Header: Depth=1
	v_ashrrev_i32_e32 v19, 31, v18
	v_mov_b32_e32 v38, v17
	v_lshlrev_b64 v[15:16], 2, v[18:19]
	v_add_nc_u32_e32 v18, 64, v18
	v_add_co_u32 v15, vcc_lo, s10, v15
	v_add_co_ci_u32_e64 v16, null, s11, v16, vcc_lo
	global_load_dword v7, v[15:16], off
	v_subrev_nc_u32_e32 v16, 23, v14
	v_mov_b32_e32 v15, v17
	v_lshlrev_b64 v[21:22], 3, v[16:17]
	v_add_nc_u32_e32 v16, -15, v14
	v_lshlrev_b64 v[23:24], 3, v[14:15]
	v_lshlrev_b64 v[39:40], 3, v[16:17]
	v_add_nc_u32_e32 v16, -14, v14
	v_add_co_u32 v33, vcc_lo, s12, v21
	v_add_co_ci_u32_e64 v34, null, s13, v22, vcc_lo
	v_lshlrev_b64 v[41:42], 3, v[16:17]
	v_add_co_u32 v45, vcc_lo, s12, v23
	v_add_nc_u32_e32 v16, -13, v14
	v_add_co_ci_u32_e64 v46, null, s13, v24, vcc_lo
	v_add_co_u32 v39, vcc_lo, s12, v39
	v_add_co_ci_u32_e64 v40, null, s13, v40, vcc_lo
	v_add_co_u32 v41, vcc_lo, s12, v41
	v_lshlrev_b64 v[43:44], 3, v[16:17]
	v_add_nc_u32_e32 v16, -12, v14
	v_add_co_ci_u32_e64 v42, null, s13, v42, vcc_lo
	s_clause 0x5
	global_load_dwordx4 v[21:24], v[33:34], off offset:16
	global_load_dwordx4 v[25:28], v[33:34], off
	global_load_dwordx4 v[29:32], v[33:34], off offset:32
	global_load_dwordx4 v[33:36], v[33:34], off offset:48
	global_load_dwordx2 v[47:48], v[39:40], off
	global_load_dwordx2 v[49:50], v[41:42], off
	v_lshlrev_b64 v[39:40], 3, v[16:17]
	v_add_nc_u32_e32 v16, -11, v14
	v_add_co_u32 v41, vcc_lo, s12, v43
	v_add_co_ci_u32_e64 v42, null, s13, v44, vcc_lo
	v_lshlrev_b64 v[43:44], 3, v[16:17]
	v_add_nc_u32_e32 v16, -10, v14
	v_add_co_u32 v39, vcc_lo, s12, v39
	v_add_co_ci_u32_e64 v40, null, s13, v40, vcc_lo
	;; [unrolled: 4-line block ×3, first 2 shown]
	v_lshlrev_b64 v[59:60], 3, v[16:17]
	s_clause 0x1
	global_load_dwordx2 v[51:52], v[41:42], off
	global_load_dwordx2 v[55:56], v[39:40], off
	s_waitcnt vmcnt(8)
	v_subrev_nc_u32_e32 v7, s2, v7
	v_lshlrev_b32_e32 v37, 3, v7
	v_lshlrev_b64 v[15:16], 3, v[37:38]
	v_add_co_u32 v61, vcc_lo, s14, v15
	v_add_co_ci_u32_e64 v62, null, s15, v16, vcc_lo
	v_add_co_u32 v53, vcc_lo, s12, v53
	v_add_co_ci_u32_e64 v54, null, s13, v54, vcc_lo
	s_clause 0x1
	global_load_dwordx4 v[37:40], v[61:62], off
	global_load_dwordx4 v[41:44], v[61:62], off offset:16
	v_add_co_u32 v59, vcc_lo, s12, v59
	v_add_nc_u32_e32 v16, -8, v14
	v_add_co_ci_u32_e64 v60, null, s13, v60, vcc_lo
	s_clause 0x1
	global_load_dwordx2 v[57:58], v[57:58], off
	global_load_dwordx2 v[53:54], v[53:54], off
	v_lshlrev_b64 v[63:64], 3, v[16:17]
	v_add_nc_u32_e32 v16, -7, v14
	global_load_dwordx2 v[59:60], v[59:60], off
	v_lshlrev_b64 v[65:66], 3, v[16:17]
	v_add_nc_u32_e32 v16, -6, v14
	v_add_co_u32 v63, vcc_lo, s12, v63
	v_add_co_ci_u32_e64 v64, null, s13, v64, vcc_lo
	s_waitcnt vmcnt(4)
	v_fma_f64 v[25:26], v[25:26], v[37:38], v[10:11]
	v_fma_f64 v[27:28], v[27:28], v[37:38], v[12:13]
	global_load_dwordx4 v[10:13], v[61:62], off offset:32
	v_fma_f64 v[7:8], v[21:22], v[37:38], v[8:9]
	v_lshlrev_b64 v[21:22], 3, v[16:17]
	v_add_nc_u32_e32 v16, -5, v14
	global_load_dwordx2 v[37:38], v[63:64], off
	v_lshlrev_b64 v[63:64], 3, v[16:17]
	v_add_nc_u32_e32 v16, -4, v14
	v_fma_f64 v[25:26], v[23:24], v[39:40], v[25:26]
	v_add_co_u32 v23, vcc_lo, s12, v65
	v_add_co_ci_u32_e64 v24, null, s13, v66, vcc_lo
	v_add_co_u32 v21, vcc_lo, s12, v21
	v_add_co_ci_u32_e64 v22, null, s13, v22, vcc_lo
	global_load_dwordx2 v[65:66], v[23:24], off
	v_fma_f64 v[27:28], v[29:30], v[39:40], v[27:28]
	v_fma_f64 v[7:8], v[31:32], v[39:40], v[7:8]
	global_load_dwordx2 v[29:30], v[21:22], off
	v_lshlrev_b64 v[23:24], 3, v[16:17]
	v_add_nc_u32_e32 v16, -3, v14
	v_add_co_u32 v21, vcc_lo, s12, v63
	v_add_co_ci_u32_e64 v22, null, s13, v64, vcc_lo
	v_lshlrev_b64 v[15:16], 3, v[16:17]
	v_add_co_u32 v23, vcc_lo, s12, v23
	v_add_co_ci_u32_e64 v24, null, s13, v24, vcc_lo
	global_load_dwordx2 v[31:32], v[21:22], off
	v_add_co_u32 v15, vcc_lo, s12, v15
	v_add_co_ci_u32_e64 v16, null, s13, v16, vcc_lo
	s_clause 0x1
	global_load_dwordx2 v[39:40], v[23:24], off
	global_load_dwordx2 v[63:64], v[15:16], off
	global_load_dwordx4 v[21:24], v[61:62], off offset:48
	v_add_nc_u32_e32 v16, -2, v14
	s_waitcnt vmcnt(11)
	v_fma_f64 v[25:26], v[33:34], v[41:42], v[25:26]
	v_fma_f64 v[27:28], v[35:36], v[41:42], v[27:28]
	;; [unrolled: 1-line block ×3, first 2 shown]
	v_lshlrev_b64 v[61:62], 3, v[16:17]
	v_add_nc_u32_e32 v16, -1, v14
	v_add_nc_u32_e32 v14, 0x600, v14
	v_lshlrev_b64 v[15:16], 3, v[16:17]
	v_add_co_u32 v33, vcc_lo, s12, v61
	v_add_co_ci_u32_e64 v34, null, s13, v62, vcc_lo
	v_add_co_u32 v15, vcc_lo, s12, v15
	v_add_co_ci_u32_e64 v16, null, s13, v16, vcc_lo
	s_clause 0x2
	global_load_dwordx2 v[35:36], v[45:46], off
	global_load_dwordx2 v[33:34], v[33:34], off
	;; [unrolled: 1-line block ×3, first 2 shown]
	v_fma_f64 v[25:26], v[49:50], v[43:44], v[25:26]
	v_fma_f64 v[27:28], v[51:52], v[43:44], v[27:28]
	;; [unrolled: 1-line block ×3, first 2 shown]
	v_cmp_ge_i32_e32 vcc_lo, v18, v20
	s_or_b32 s3, vcc_lo, s3
	s_waitcnt vmcnt(10)
	v_fma_f64 v[25:26], v[57:58], v[10:11], v[25:26]
	v_fma_f64 v[27:28], v[53:54], v[10:11], v[27:28]
	;; [unrolled: 1-line block ×3, first 2 shown]
	s_waitcnt vmcnt(9)
	v_fma_f64 v[9:10], v[37:38], v[12:13], v[25:26]
	s_waitcnt vmcnt(8)
	v_fma_f64 v[25:26], v[65:66], v[12:13], v[27:28]
	;; [unrolled: 2-line block ×4, first 2 shown]
	v_fma_f64 v[12:13], v[39:40], v[21:22], v[25:26]
	v_fma_f64 v[7:8], v[63:64], v[21:22], v[7:8]
	s_waitcnt vmcnt(1)
	v_fma_f64 v[10:11], v[33:34], v[23:24], v[9:10]
	s_waitcnt vmcnt(0)
	v_fma_f64 v[12:13], v[15:16], v[23:24], v[12:13]
	v_fma_f64 v[8:9], v[35:36], v[23:24], v[7:8]
	s_andn2_b32 exec_lo, exec_lo, s3
	s_cbranch_execnz .LBB71_9
; %bb.10:
	s_or_b32 exec_lo, exec_lo, s3
.LBB71_11:
	s_or_b32 exec_lo, exec_lo, s1
	s_cbranch_execz .LBB71_13
	s_branch .LBB71_18
.LBB71_12:
                                        ; implicit-def: $vgpr10_vgpr11
                                        ; implicit-def: $vgpr8_vgpr9
                                        ; implicit-def: $vgpr12_vgpr13
.LBB71_13:
	v_mov_b32_e32 v10, 0
	v_mov_b32_e32 v8, 0
	;; [unrolled: 1-line block ×6, first 2 shown]
	s_and_saveexec_b32 s1, s0
	s_cbranch_execz .LBB71_17
; %bb.14:
	v_mad_u64_u32 v[14:15], null, v6, 24, 23
	v_mov_b32_e32 v10, 0
	v_mov_b32_e32 v8, 0
	;; [unrolled: 1-line block ×7, first 2 shown]
	s_mov_b32 s0, 0
.LBB71_15:                              ; =>This Inner Loop Header: Depth=1
	v_ashrrev_i32_e32 v7, 31, v6
	v_subrev_nc_u32_e32 v16, 23, v14
	v_add_nc_u32_e32 v18, -15, v14
	v_mov_b32_e32 v19, v17
	v_add_nc_u32_e32 v21, -7, v14
	v_lshlrev_b64 v[27:28], 2, v[6:7]
	v_mov_b32_e32 v22, v17
	v_lshlrev_b64 v[23:24], 3, v[16:17]
	v_lshlrev_b64 v[18:19], 3, v[18:19]
	v_mov_b32_e32 v15, v17
	v_add_nc_u32_e32 v16, -14, v14
	v_lshlrev_b64 v[21:22], 3, v[21:22]
	v_add_co_u32 v27, vcc_lo, s10, v27
	v_add_co_ci_u32_e64 v28, null, s11, v28, vcc_lo
	v_add_co_u32 v37, vcc_lo, s12, v23
	v_add_co_ci_u32_e64 v38, null, s13, v24, vcc_lo
	;; [unrolled: 2-line block ×4, first 2 shown]
	global_load_dword v7, v[27:28], off
	s_clause 0x2
	global_load_dwordx4 v[21:24], v[37:38], off
	global_load_dwordx2 v[18:19], v[18:19], off
	global_load_dwordx2 v[39:40], v[33:34], off
	v_lshlrev_b64 v[29:30], 3, v[14:15]
	v_lshlrev_b64 v[31:32], 3, v[16:17]
	v_add_nc_u32_e32 v16, -6, v14
	v_mov_b32_e32 v26, v17
	v_add_nc_u32_e32 v6, 64, v6
	v_add_co_u32 v41, vcc_lo, s12, v29
	v_add_co_ci_u32_e64 v42, null, s13, v30, vcc_lo
	v_lshlrev_b64 v[29:30], 3, v[16:17]
	v_add_nc_u32_e32 v16, -13, v14
	v_add_co_u32 v27, vcc_lo, s12, v31
	v_add_co_ci_u32_e64 v28, null, s13, v32, vcc_lo
	v_add_co_u32 v29, vcc_lo, s12, v29
	v_lshlrev_b64 v[31:32], 3, v[16:17]
	v_add_nc_u32_e32 v16, -5, v14
	v_add_co_ci_u32_e64 v30, null, s13, v30, vcc_lo
	global_load_dwordx2 v[43:44], v[27:28], off
	v_add_co_u32 v47, vcc_lo, s12, v31
	global_load_dwordx2 v[45:46], v[29:30], off
	v_lshlrev_b64 v[27:28], 3, v[16:17]
	v_add_nc_u32_e32 v16, -12, v14
	v_add_co_ci_u32_e64 v48, null, s13, v32, vcc_lo
	v_lshlrev_b64 v[29:30], 3, v[16:17]
	v_add_nc_u32_e32 v16, -4, v14
	v_add_co_u32 v49, vcc_lo, s12, v27
	v_add_co_ci_u32_e64 v50, null, s13, v28, vcc_lo
	v_lshlrev_b64 v[27:28], 3, v[16:17]
	v_add_nc_u32_e32 v16, -11, v14
	v_add_co_u32 v51, vcc_lo, s12, v29
	;; [unrolled: 4-line block ×6, first 2 shown]
	v_add_co_ci_u32_e64 v60, null, s13, v30, vcc_lo
	v_lshlrev_b64 v[15:16], 3, v[16:17]
	v_add_co_u32 v61, vcc_lo, s12, v27
	v_add_co_ci_u32_e64 v62, null, s13, v28, vcc_lo
	v_add_co_u32 v63, vcc_lo, s12, v15
	v_add_co_ci_u32_e64 v64, null, s13, v16, vcc_lo
	s_waitcnt vmcnt(5)
	v_subrev_nc_u32_e32 v7, s2, v7
	v_lshlrev_b32_e32 v25, 3, v7
	v_lshlrev_b64 v[15:16], 3, v[25:26]
	v_add_co_u32 v65, vcc_lo, s14, v15
	v_add_co_ci_u32_e64 v66, null, s15, v16, vcc_lo
	s_clause 0x1
	global_load_dwordx4 v[25:28], v[65:66], off
	global_load_dwordx4 v[29:32], v[65:66], off offset:16
	s_clause 0x2
	global_load_dwordx4 v[33:36], v[37:38], off offset:16
	global_load_dwordx2 v[47:48], v[47:48], off
	global_load_dwordx2 v[49:50], v[49:50], off
	v_add_nc_u32_e32 v16, -1, v14
	s_waitcnt vmcnt(4)
	v_fma_f64 v[10:11], v[21:22], v[25:26], v[10:11]
	v_fma_f64 v[18:19], v[18:19], v[25:26], v[12:13]
	;; [unrolled: 1-line block ×3, first 2 shown]
	v_lshlrev_b64 v[25:26], 3, v[16:17]
	v_add_nc_u32_e32 v16, -8, v14
	v_add_nc_u32_e32 v14, 0x600, v14
	v_lshlrev_b64 v[15:16], 3, v[16:17]
	v_fma_f64 v[67:68], v[23:24], v[27:28], v[10:11]
	s_clause 0x5
	global_load_dwordx4 v[10:13], v[37:38], off offset:48
	global_load_dwordx4 v[21:24], v[37:38], off offset:32
	global_load_dwordx2 v[51:52], v[51:52], off
	global_load_dwordx2 v[53:54], v[53:54], off
	;; [unrolled: 1-line block ×4, first 2 shown]
	v_add_co_u32 v37, vcc_lo, s12, v25
	v_add_co_ci_u32_e64 v38, null, s13, v26, vcc_lo
	v_fma_f64 v[18:19], v[43:44], v[27:28], v[18:19]
	v_fma_f64 v[7:8], v[45:46], v[27:28], v[7:8]
	global_load_dwordx4 v[25:28], v[65:66], off offset:32
	s_clause 0x3
	global_load_dwordx2 v[43:44], v[59:60], off
	global_load_dwordx2 v[45:46], v[61:62], off
	;; [unrolled: 1-line block ×4, first 2 shown]
	v_add_co_u32 v15, vcc_lo, s12, v15
	v_add_co_ci_u32_e64 v16, null, s13, v16, vcc_lo
	global_load_dwordx4 v[37:40], v[65:66], off offset:48
	s_clause 0x1
	global_load_dwordx2 v[15:16], v[15:16], off
	global_load_dwordx2 v[41:42], v[41:42], off
	v_cmp_ge_i32_e32 vcc_lo, v6, v20
	s_waitcnt vmcnt(16)
	v_fma_f64 v[33:34], v[33:34], v[29:30], v[67:68]
	s_or_b32 s0, vcc_lo, s0
	s_waitcnt vmcnt(15)
	v_fma_f64 v[18:19], v[47:48], v[29:30], v[18:19]
	s_waitcnt vmcnt(14)
	v_fma_f64 v[7:8], v[49:50], v[29:30], v[7:8]
	v_fma_f64 v[29:30], v[35:36], v[31:32], v[33:34]
	s_waitcnt vmcnt(11)
	v_fma_f64 v[18:19], v[51:52], v[31:32], v[18:19]
	s_waitcnt vmcnt(10)
	;; [unrolled: 2-line block ×3, first 2 shown]
	v_fma_f64 v[21:22], v[21:22], v[25:26], v[29:30]
	v_fma_f64 v[18:19], v[55:56], v[25:26], v[18:19]
	;; [unrolled: 1-line block ×4, first 2 shown]
	s_waitcnt vmcnt(6)
	v_fma_f64 v[18:19], v[43:44], v[27:28], v[18:19]
	s_waitcnt vmcnt(5)
	v_fma_f64 v[7:8], v[45:46], v[27:28], v[7:8]
	;; [unrolled: 2-line block ×3, first 2 shown]
	v_fma_f64 v[18:19], v[59:60], v[37:38], v[18:19]
	v_fma_f64 v[7:8], v[61:62], v[37:38], v[7:8]
	;; [unrolled: 1-line block ×3, first 2 shown]
	s_waitcnt vmcnt(1)
	v_fma_f64 v[12:13], v[15:16], v[39:40], v[18:19]
	s_waitcnt vmcnt(0)
	v_fma_f64 v[8:9], v[41:42], v[39:40], v[7:8]
	s_andn2_b32 exec_lo, exec_lo, s0
	s_cbranch_execnz .LBB71_15
; %bb.16:
	s_or_b32 exec_lo, exec_lo, s0
.LBB71_17:
	s_or_b32 exec_lo, exec_lo, s1
.LBB71_18:
	v_mbcnt_lo_u32_b32 v18, -1, 0
	v_or_b32_e32 v6, 32, v18
	v_cmp_gt_i32_e32 vcc_lo, 32, v6
	v_cndmask_b32_e32 v6, v18, v6, vcc_lo
	v_lshlrev_b32_e32 v17, 2, v6
	ds_bpermute_b32 v6, v17, v10
	ds_bpermute_b32 v7, v17, v11
	;; [unrolled: 1-line block ×6, first 2 shown]
	s_waitcnt lgkmcnt(4)
	v_add_f64 v[6:7], v[10:11], v[6:7]
	s_waitcnt lgkmcnt(2)
	v_add_f64 v[10:11], v[12:13], v[14:15]
	v_xor_b32_e32 v12, 16, v18
	s_waitcnt lgkmcnt(0)
	v_add_f64 v[8:9], v[8:9], v[16:17]
	v_cmp_gt_i32_e32 vcc_lo, 32, v12
	v_cndmask_b32_e32 v12, v18, v12, vcc_lo
	v_lshlrev_b32_e32 v17, 2, v12
	ds_bpermute_b32 v12, v17, v6
	ds_bpermute_b32 v13, v17, v7
	;; [unrolled: 1-line block ×6, first 2 shown]
	s_waitcnt lgkmcnt(4)
	v_add_f64 v[6:7], v[6:7], v[12:13]
	v_xor_b32_e32 v12, 8, v18
	s_waitcnt lgkmcnt(2)
	v_add_f64 v[10:11], v[10:11], v[14:15]
	s_waitcnt lgkmcnt(0)
	v_add_f64 v[8:9], v[8:9], v[16:17]
	v_cmp_gt_i32_e32 vcc_lo, 32, v12
	v_cndmask_b32_e32 v12, v18, v12, vcc_lo
	v_lshlrev_b32_e32 v17, 2, v12
	ds_bpermute_b32 v12, v17, v6
	ds_bpermute_b32 v13, v17, v7
	ds_bpermute_b32 v14, v17, v10
	ds_bpermute_b32 v15, v17, v11
	ds_bpermute_b32 v16, v17, v8
	ds_bpermute_b32 v17, v17, v9
	s_waitcnt lgkmcnt(4)
	v_add_f64 v[6:7], v[6:7], v[12:13]
	v_xor_b32_e32 v12, 4, v18
	s_waitcnt lgkmcnt(2)
	v_add_f64 v[10:11], v[10:11], v[14:15]
	s_waitcnt lgkmcnt(0)
	v_add_f64 v[8:9], v[8:9], v[16:17]
	v_cmp_gt_i32_e32 vcc_lo, 32, v12
	v_cndmask_b32_e32 v12, v18, v12, vcc_lo
	v_lshlrev_b32_e32 v17, 2, v12
	ds_bpermute_b32 v12, v17, v6
	ds_bpermute_b32 v13, v17, v7
	;; [unrolled: 1-line block ×6, first 2 shown]
	s_waitcnt lgkmcnt(4)
	v_add_f64 v[6:7], v[6:7], v[12:13]
	s_waitcnt lgkmcnt(2)
	v_add_f64 v[10:11], v[10:11], v[14:15]
	;; [unrolled: 2-line block ×3, first 2 shown]
	v_xor_b32_e32 v8, 2, v18
	v_cmp_gt_i32_e32 vcc_lo, 32, v8
	v_cndmask_b32_e32 v8, v18, v8, vcc_lo
	v_lshlrev_b32_e32 v17, 2, v8
	ds_bpermute_b32 v8, v17, v6
	ds_bpermute_b32 v9, v17, v7
	;; [unrolled: 1-line block ×6, first 2 shown]
	s_waitcnt lgkmcnt(4)
	v_add_f64 v[8:9], v[6:7], v[8:9]
	s_waitcnt lgkmcnt(2)
	v_add_f64 v[6:7], v[10:11], v[14:15]
	v_xor_b32_e32 v10, 1, v18
	s_waitcnt lgkmcnt(0)
	v_add_f64 v[12:13], v[12:13], v[16:17]
	v_cmp_gt_i32_e32 vcc_lo, 32, v10
	v_cndmask_b32_e32 v10, v18, v10, vcc_lo
	v_cmp_eq_u32_e32 vcc_lo, 63, v0
	v_lshlrev_b32_e32 v15, 2, v10
	ds_bpermute_b32 v10, v15, v8
	ds_bpermute_b32 v11, v15, v9
	ds_bpermute_b32 v16, v15, v6
	ds_bpermute_b32 v17, v15, v7
	ds_bpermute_b32 v14, v15, v12
	ds_bpermute_b32 v15, v15, v13
	s_and_b32 exec_lo, exec_lo, vcc_lo
	s_cbranch_execz .LBB71_23
; %bb.19:
	s_waitcnt lgkmcnt(4)
	v_add_f64 v[10:11], v[8:9], v[10:11]
	s_waitcnt lgkmcnt(2)
	v_add_f64 v[8:9], v[6:7], v[16:17]
	;; [unrolled: 2-line block ×3, first 2 shown]
	s_load_dwordx2 s[0:1], s[4:5], 0x38
	s_mov_b32 s2, exec_lo
	v_cmpx_eq_f64_e32 0, v[3:4]
	s_xor_b32 s2, exec_lo, s2
	s_cbranch_execz .LBB71_21
; %bb.20:
	v_lshl_add_u32 v0, v5, 1, v5
	v_mul_f64 v[10:11], v[1:2], v[10:11]
	v_mul_f64 v[12:13], v[1:2], v[8:9]
	;; [unrolled: 1-line block ×3, first 2 shown]
                                        ; implicit-def: $vgpr5
                                        ; implicit-def: $vgpr8_vgpr9
                                        ; implicit-def: $vgpr6_vgpr7
	v_ashrrev_i32_e32 v1, 31, v0
	v_lshlrev_b64 v[0:1], 3, v[0:1]
	s_waitcnt lgkmcnt(0)
	v_add_co_u32 v0, vcc_lo, s0, v0
	v_add_co_ci_u32_e64 v1, null, s1, v1, vcc_lo
	global_store_dwordx4 v[0:1], v[10:13], off
	global_store_dwordx2 v[0:1], v[2:3], off offset:16
                                        ; implicit-def: $vgpr1_vgpr2
                                        ; implicit-def: $vgpr10_vgpr11
                                        ; implicit-def: $vgpr3_vgpr4
.LBB71_21:
	s_andn2_saveexec_b32 s2, s2
	s_cbranch_execz .LBB71_23
; %bb.22:
	v_lshl_add_u32 v12, v5, 1, v5
	v_mul_f64 v[10:11], v[1:2], v[10:11]
	v_mul_f64 v[8:9], v[1:2], v[8:9]
	;; [unrolled: 1-line block ×3, first 2 shown]
	v_ashrrev_i32_e32 v13, 31, v12
	v_lshlrev_b64 v[12:13], 3, v[12:13]
	s_waitcnt lgkmcnt(0)
	v_add_co_u32 v16, vcc_lo, s0, v12
	v_add_co_ci_u32_e64 v17, null, s1, v13, vcc_lo
	s_clause 0x1
	global_load_dwordx4 v[12:15], v[16:17], off
	global_load_dwordx2 v[18:19], v[16:17], off offset:16
	s_waitcnt vmcnt(1)
	v_fma_f64 v[5:6], v[3:4], v[12:13], v[10:11]
	v_fma_f64 v[7:8], v[3:4], v[14:15], v[8:9]
	s_waitcnt vmcnt(0)
	v_fma_f64 v[0:1], v[3:4], v[18:19], v[0:1]
	global_store_dwordx4 v[16:17], v[5:8], off
	global_store_dwordx2 v[16:17], v[0:1], off offset:16
.LBB71_23:
	s_endpgm
	.section	.rodata,"a",@progbits
	.p2align	6, 0x0
	.amdhsa_kernel _ZN9rocsparseL19gebsrmvn_3xn_kernelILj128ELj8ELj64EdEEvi20rocsparse_direction_NS_24const_host_device_scalarIT2_EEPKiS6_PKS3_S8_S4_PS3_21rocsparse_index_base_b
		.amdhsa_group_segment_fixed_size 0
		.amdhsa_private_segment_fixed_size 0
		.amdhsa_kernarg_size 72
		.amdhsa_user_sgpr_count 6
		.amdhsa_user_sgpr_private_segment_buffer 1
		.amdhsa_user_sgpr_dispatch_ptr 0
		.amdhsa_user_sgpr_queue_ptr 0
		.amdhsa_user_sgpr_kernarg_segment_ptr 1
		.amdhsa_user_sgpr_dispatch_id 0
		.amdhsa_user_sgpr_flat_scratch_init 0
		.amdhsa_user_sgpr_private_segment_size 0
		.amdhsa_wavefront_size32 1
		.amdhsa_uses_dynamic_stack 0
		.amdhsa_system_sgpr_private_segment_wavefront_offset 0
		.amdhsa_system_sgpr_workgroup_id_x 1
		.amdhsa_system_sgpr_workgroup_id_y 0
		.amdhsa_system_sgpr_workgroup_id_z 0
		.amdhsa_system_sgpr_workgroup_info 0
		.amdhsa_system_vgpr_workitem_id 0
		.amdhsa_next_free_vgpr 69
		.amdhsa_next_free_sgpr 16
		.amdhsa_reserve_vcc 1
		.amdhsa_reserve_flat_scratch 0
		.amdhsa_float_round_mode_32 0
		.amdhsa_float_round_mode_16_64 0
		.amdhsa_float_denorm_mode_32 3
		.amdhsa_float_denorm_mode_16_64 3
		.amdhsa_dx10_clamp 1
		.amdhsa_ieee_mode 1
		.amdhsa_fp16_overflow 0
		.amdhsa_workgroup_processor_mode 1
		.amdhsa_memory_ordered 1
		.amdhsa_forward_progress 1
		.amdhsa_shared_vgpr_count 0
		.amdhsa_exception_fp_ieee_invalid_op 0
		.amdhsa_exception_fp_denorm_src 0
		.amdhsa_exception_fp_ieee_div_zero 0
		.amdhsa_exception_fp_ieee_overflow 0
		.amdhsa_exception_fp_ieee_underflow 0
		.amdhsa_exception_fp_ieee_inexact 0
		.amdhsa_exception_int_div_zero 0
	.end_amdhsa_kernel
	.section	.text._ZN9rocsparseL19gebsrmvn_3xn_kernelILj128ELj8ELj64EdEEvi20rocsparse_direction_NS_24const_host_device_scalarIT2_EEPKiS6_PKS3_S8_S4_PS3_21rocsparse_index_base_b,"axG",@progbits,_ZN9rocsparseL19gebsrmvn_3xn_kernelILj128ELj8ELj64EdEEvi20rocsparse_direction_NS_24const_host_device_scalarIT2_EEPKiS6_PKS3_S8_S4_PS3_21rocsparse_index_base_b,comdat
.Lfunc_end71:
	.size	_ZN9rocsparseL19gebsrmvn_3xn_kernelILj128ELj8ELj64EdEEvi20rocsparse_direction_NS_24const_host_device_scalarIT2_EEPKiS6_PKS3_S8_S4_PS3_21rocsparse_index_base_b, .Lfunc_end71-_ZN9rocsparseL19gebsrmvn_3xn_kernelILj128ELj8ELj64EdEEvi20rocsparse_direction_NS_24const_host_device_scalarIT2_EEPKiS6_PKS3_S8_S4_PS3_21rocsparse_index_base_b
                                        ; -- End function
	.set _ZN9rocsparseL19gebsrmvn_3xn_kernelILj128ELj8ELj64EdEEvi20rocsparse_direction_NS_24const_host_device_scalarIT2_EEPKiS6_PKS3_S8_S4_PS3_21rocsparse_index_base_b.num_vgpr, 69
	.set _ZN9rocsparseL19gebsrmvn_3xn_kernelILj128ELj8ELj64EdEEvi20rocsparse_direction_NS_24const_host_device_scalarIT2_EEPKiS6_PKS3_S8_S4_PS3_21rocsparse_index_base_b.num_agpr, 0
	.set _ZN9rocsparseL19gebsrmvn_3xn_kernelILj128ELj8ELj64EdEEvi20rocsparse_direction_NS_24const_host_device_scalarIT2_EEPKiS6_PKS3_S8_S4_PS3_21rocsparse_index_base_b.numbered_sgpr, 16
	.set _ZN9rocsparseL19gebsrmvn_3xn_kernelILj128ELj8ELj64EdEEvi20rocsparse_direction_NS_24const_host_device_scalarIT2_EEPKiS6_PKS3_S8_S4_PS3_21rocsparse_index_base_b.num_named_barrier, 0
	.set _ZN9rocsparseL19gebsrmvn_3xn_kernelILj128ELj8ELj64EdEEvi20rocsparse_direction_NS_24const_host_device_scalarIT2_EEPKiS6_PKS3_S8_S4_PS3_21rocsparse_index_base_b.private_seg_size, 0
	.set _ZN9rocsparseL19gebsrmvn_3xn_kernelILj128ELj8ELj64EdEEvi20rocsparse_direction_NS_24const_host_device_scalarIT2_EEPKiS6_PKS3_S8_S4_PS3_21rocsparse_index_base_b.uses_vcc, 1
	.set _ZN9rocsparseL19gebsrmvn_3xn_kernelILj128ELj8ELj64EdEEvi20rocsparse_direction_NS_24const_host_device_scalarIT2_EEPKiS6_PKS3_S8_S4_PS3_21rocsparse_index_base_b.uses_flat_scratch, 0
	.set _ZN9rocsparseL19gebsrmvn_3xn_kernelILj128ELj8ELj64EdEEvi20rocsparse_direction_NS_24const_host_device_scalarIT2_EEPKiS6_PKS3_S8_S4_PS3_21rocsparse_index_base_b.has_dyn_sized_stack, 0
	.set _ZN9rocsparseL19gebsrmvn_3xn_kernelILj128ELj8ELj64EdEEvi20rocsparse_direction_NS_24const_host_device_scalarIT2_EEPKiS6_PKS3_S8_S4_PS3_21rocsparse_index_base_b.has_recursion, 0
	.set _ZN9rocsparseL19gebsrmvn_3xn_kernelILj128ELj8ELj64EdEEvi20rocsparse_direction_NS_24const_host_device_scalarIT2_EEPKiS6_PKS3_S8_S4_PS3_21rocsparse_index_base_b.has_indirect_call, 0
	.section	.AMDGPU.csdata,"",@progbits
; Kernel info:
; codeLenInByte = 3364
; TotalNumSgprs: 18
; NumVgprs: 69
; ScratchSize: 0
; MemoryBound: 1
; FloatMode: 240
; IeeeMode: 1
; LDSByteSize: 0 bytes/workgroup (compile time only)
; SGPRBlocks: 0
; VGPRBlocks: 8
; NumSGPRsForWavesPerEU: 18
; NumVGPRsForWavesPerEU: 69
; Occupancy: 12
; WaveLimiterHint : 1
; COMPUTE_PGM_RSRC2:SCRATCH_EN: 0
; COMPUTE_PGM_RSRC2:USER_SGPR: 6
; COMPUTE_PGM_RSRC2:TRAP_HANDLER: 0
; COMPUTE_PGM_RSRC2:TGID_X_EN: 1
; COMPUTE_PGM_RSRC2:TGID_Y_EN: 0
; COMPUTE_PGM_RSRC2:TGID_Z_EN: 0
; COMPUTE_PGM_RSRC2:TIDIG_COMP_CNT: 0
	.section	.text._ZN9rocsparseL23gebsrmvn_general_kernelILj48ELj16EdEEvi20rocsparse_direction_NS_24const_host_device_scalarIT1_EEPKiS6_PKS3_iiS8_S4_PS3_21rocsparse_index_base_b,"axG",@progbits,_ZN9rocsparseL23gebsrmvn_general_kernelILj48ELj16EdEEvi20rocsparse_direction_NS_24const_host_device_scalarIT1_EEPKiS6_PKS3_iiS8_S4_PS3_21rocsparse_index_base_b,comdat
	.globl	_ZN9rocsparseL23gebsrmvn_general_kernelILj48ELj16EdEEvi20rocsparse_direction_NS_24const_host_device_scalarIT1_EEPKiS6_PKS3_iiS8_S4_PS3_21rocsparse_index_base_b ; -- Begin function _ZN9rocsparseL23gebsrmvn_general_kernelILj48ELj16EdEEvi20rocsparse_direction_NS_24const_host_device_scalarIT1_EEPKiS6_PKS3_iiS8_S4_PS3_21rocsparse_index_base_b
	.p2align	8
	.type	_ZN9rocsparseL23gebsrmvn_general_kernelILj48ELj16EdEEvi20rocsparse_direction_NS_24const_host_device_scalarIT1_EEPKiS6_PKS3_iiS8_S4_PS3_21rocsparse_index_base_b,@function
_ZN9rocsparseL23gebsrmvn_general_kernelILj48ELj16EdEEvi20rocsparse_direction_NS_24const_host_device_scalarIT1_EEPKiS6_PKS3_iiS8_S4_PS3_21rocsparse_index_base_b: ; @_ZN9rocsparseL23gebsrmvn_general_kernelILj48ELj16EdEEvi20rocsparse_direction_NS_24const_host_device_scalarIT1_EEPKiS6_PKS3_iiS8_S4_PS3_21rocsparse_index_base_b
; %bb.0:
	s_clause 0x2
	s_load_dwordx2 s[12:13], s[4:5], 0x48
	s_load_dwordx2 s[2:3], s[4:5], 0x8
	s_load_dwordx2 s[0:1], s[4:5], 0x38
	s_waitcnt lgkmcnt(0)
	s_bitcmp1_b32 s13, 0
	v_mov_b32_e32 v1, s2
	v_mov_b32_e32 v2, s3
	s_cselect_b32 s7, -1, 0
	s_and_b32 vcc_lo, exec_lo, s7
	s_xor_b32 s7, s7, -1
	s_cbranch_vccnz .LBB72_2
; %bb.1:
	v_mov_b32_e32 v1, s2
	v_mov_b32_e32 v2, s3
	flat_load_dwordx2 v[1:2], v[1:2]
.LBB72_2:
	v_mov_b32_e32 v4, s1
	v_mov_b32_e32 v3, s0
	s_andn2_b32 vcc_lo, exec_lo, s7
	s_cbranch_vccnz .LBB72_4
; %bb.3:
	v_mov_b32_e32 v4, s1
	v_mov_b32_e32 v3, s0
	flat_load_dwordx2 v[3:4], v[3:4]
.LBB72_4:
	s_waitcnt vmcnt(0) lgkmcnt(0)
	v_cmp_neq_f64_e32 vcc_lo, 0, v[1:2]
	v_cmp_neq_f64_e64 s0, 1.0, v[3:4]
	s_or_b32 s0, vcc_lo, s0
	s_and_saveexec_b32 s1, s0
	s_cbranch_execz .LBB72_24
; %bb.5:
	s_load_dwordx2 s[14:15], s[4:5], 0x28
	v_lshrrev_b32_e32 v5, 4, v0
	s_waitcnt lgkmcnt(0)
	v_cmp_gt_i32_e32 vcc_lo, s14, v5
	s_and_b32 exec_lo, exec_lo, vcc_lo
	s_cbranch_execz .LBB72_24
; %bb.6:
	s_clause 0x1
	s_load_dwordx4 s[8:11], s[4:5], 0x10
	s_load_dword s2, s[4:5], 0x4
	s_ashr_i32 s7, s6, 31
	v_mbcnt_lo_u32_b32 v8, -1, 0
	s_lshl_b64 s[0:1], s[6:7], 2
	v_and_b32_e32 v0, 15, v0
	s_mov_b32 s3, 0
	s_mul_i32 s22, s15, 3
	v_xor_b32_e32 v6, 8, v8
	v_xor_b32_e32 v7, 4, v8
	;; [unrolled: 1-line block ×4, first 2 shown]
	s_mul_i32 s23, s15, s14
	v_cmp_gt_i32_e32 vcc_lo, 32, v6
	v_cndmask_b32_e32 v11, v8, v6, vcc_lo
	v_cmp_gt_i32_e32 vcc_lo, 32, v7
	s_waitcnt lgkmcnt(0)
	s_add_u32 s0, s8, s0
	s_addc_u32 s1, s9, s1
	s_load_dwordx2 s[20:21], s[0:1], 0x0
	v_cmp_eq_f64_e64 s0, 0, v[3:4]
	s_clause 0x2
	s_load_dwordx2 s[8:9], s[4:5], 0x20
	s_load_dwordx2 s[16:17], s[4:5], 0x30
	s_load_dwordx2 s[4:5], s[4:5], 0x40
	v_cndmask_b32_e32 v12, v8, v7, vcc_lo
	v_cmp_gt_i32_e32 vcc_lo, 32, v9
	v_cmp_gt_i32_e64 s1, s15, v0
	s_waitcnt lgkmcnt(0)
	s_sub_i32 s13, s20, s12
	s_sub_i32 s18, s21, s12
	v_mad_u64_u32 v[6:7], null, s14, s13, v[5:6]
	v_cndmask_b32_e32 v7, v8, v9, vcc_lo
	v_cmp_gt_i32_e32 vcc_lo, 32, v10
	s_cmp_lt_i32 s20, s21
	s_mul_i32 s21, s14, s6
	s_cselect_b32 s19, -1, 0
	s_cmp_lg_u32 s2, 0
	v_cndmask_b32_e32 v8, v8, v10, vcc_lo
	v_mul_lo_u32 v13, s15, v6
	v_lshlrev_b32_e32 v10, 2, v11
	v_lshlrev_b32_e32 v11, 2, v12
	;; [unrolled: 1-line block ×4, first 2 shown]
	v_cmp_eq_u32_e64 s2, 15, v0
	s_cselect_b32 s20, -1, 0
	s_branch .LBB72_8
.LBB72_7:                               ;   in Loop: Header=BB72_8 Depth=1
	s_or_b32 exec_lo, exec_lo, s6
	v_add_nc_u32_e32 v5, 3, v5
	v_add_nc_u32_e32 v13, s22, v13
	v_cmp_le_i32_e32 vcc_lo, s14, v5
	s_or_b32 s3, vcc_lo, s3
	s_andn2_b32 exec_lo, exec_lo, s3
	s_cbranch_execz .LBB72_24
.LBB72_8:                               ; =>This Loop Header: Depth=1
                                        ;     Child Loop BB72_12 Depth 2
                                        ;       Child Loop BB72_15 Depth 3
	v_mov_b32_e32 v6, 0
	v_mov_b32_e32 v7, 0
	s_andn2_b32 vcc_lo, exec_lo, s19
	s_cbranch_vccnz .LBB72_19
; %bb.9:                                ;   in Loop: Header=BB72_8 Depth=1
	v_mov_b32_e32 v6, 0
	v_mov_b32_e32 v7, 0
	;; [unrolled: 1-line block ×3, first 2 shown]
	s_mov_b32 s6, s13
	s_branch .LBB72_12
.LBB72_10:                              ;   in Loop: Header=BB72_12 Depth=2
	s_inst_prefetch 0x2
	s_or_b32 exec_lo, exec_lo, s25
.LBB72_11:                              ;   in Loop: Header=BB72_12 Depth=2
	s_or_b32 exec_lo, exec_lo, s24
	v_add_nc_u32_e32 v15, s23, v15
	s_add_i32 s6, s6, 1
	s_cmp_ge_i32 s6, s18
	s_cbranch_scc1 .LBB72_19
.LBB72_12:                              ;   Parent Loop BB72_8 Depth=1
                                        ; =>  This Loop Header: Depth=2
                                        ;       Child Loop BB72_15 Depth 3
	s_and_saveexec_b32 s24, s1
	s_cbranch_execz .LBB72_11
; %bb.13:                               ;   in Loop: Header=BB72_12 Depth=2
	s_ashr_i32 s7, s6, 31
	v_mov_b32_e32 v16, v0
	s_lshl_b64 s[26:27], s[6:7], 2
	s_mov_b32 s25, 0
	s_add_u32 s26, s10, s26
	s_addc_u32 s27, s11, s27
	s_load_dword s7, s[26:27], 0x0
	s_waitcnt lgkmcnt(0)
	s_sub_i32 s26, s7, s12
	s_mul_i32 s7, s6, s15
	s_mul_i32 s26, s26, s15
	s_inst_prefetch 0x1
	s_branch .LBB72_15
	.p2align	6
.LBB72_14:                              ;   in Loop: Header=BB72_15 Depth=3
	v_add_nc_u32_e32 v17, s26, v16
	v_ashrrev_i32_e32 v9, 31, v8
	v_add_nc_u32_e32 v16, 16, v16
	v_ashrrev_i32_e32 v18, 31, v17
	v_lshlrev_b64 v[8:9], 3, v[8:9]
	v_lshlrev_b64 v[17:18], 3, v[17:18]
	v_add_co_u32 v8, vcc_lo, s8, v8
	v_add_co_ci_u32_e64 v9, null, s9, v9, vcc_lo
	v_add_co_u32 v17, vcc_lo, s16, v17
	v_add_co_ci_u32_e64 v18, null, s17, v18, vcc_lo
	v_cmp_le_i32_e32 vcc_lo, s15, v16
	global_load_dwordx2 v[8:9], v[8:9], off
	global_load_dwordx2 v[17:18], v[17:18], off
	s_or_b32 s25, vcc_lo, s25
	s_waitcnt vmcnt(0)
	v_fma_f64 v[6:7], v[8:9], v[17:18], v[6:7]
	s_andn2_b32 exec_lo, exec_lo, s25
	s_cbranch_execz .LBB72_10
.LBB72_15:                              ;   Parent Loop BB72_8 Depth=1
                                        ;     Parent Loop BB72_12 Depth=2
                                        ; =>    This Inner Loop Header: Depth=3
	s_and_b32 vcc_lo, exec_lo, s20
	s_cbranch_vccz .LBB72_17
; %bb.16:                               ;   in Loop: Header=BB72_15 Depth=3
	v_add_nc_u32_e32 v8, s7, v16
	v_mad_u64_u32 v[8:9], null, v8, s14, v[5:6]
	s_cbranch_execnz .LBB72_14
	s_branch .LBB72_18
	.p2align	6
.LBB72_17:                              ;   in Loop: Header=BB72_15 Depth=3
                                        ; implicit-def: $vgpr8
.LBB72_18:                              ;   in Loop: Header=BB72_15 Depth=3
	v_add_nc_u32_e32 v8, v15, v16
	s_branch .LBB72_14
.LBB72_19:                              ;   in Loop: Header=BB72_8 Depth=1
	s_waitcnt lgkmcnt(1)
	ds_bpermute_b32 v8, v10, v6
	s_waitcnt lgkmcnt(1)
	ds_bpermute_b32 v9, v10, v7
	s_waitcnt lgkmcnt(0)
	v_add_f64 v[6:7], v[6:7], v[8:9]
	ds_bpermute_b32 v8, v11, v6
	ds_bpermute_b32 v9, v11, v7
	s_waitcnt lgkmcnt(0)
	v_add_f64 v[6:7], v[6:7], v[8:9]
	ds_bpermute_b32 v8, v12, v6
	;; [unrolled: 4-line block ×3, first 2 shown]
	ds_bpermute_b32 v9, v14, v7
	s_and_saveexec_b32 s6, s2
	s_cbranch_execz .LBB72_7
; %bb.20:                               ;   in Loop: Header=BB72_8 Depth=1
	s_waitcnt lgkmcnt(0)
	v_add_f64 v[6:7], v[6:7], v[8:9]
	v_add_nc_u32_e32 v8, s21, v5
	v_ashrrev_i32_e32 v9, 31, v8
	v_mul_f64 v[6:7], v[1:2], v[6:7]
	s_and_saveexec_b32 s7, s0
	s_xor_b32 s7, exec_lo, s7
	s_cbranch_execz .LBB72_22
; %bb.21:                               ;   in Loop: Header=BB72_8 Depth=1
	v_lshlrev_b64 v[8:9], 3, v[8:9]
	v_add_co_u32 v8, vcc_lo, s4, v8
	v_add_co_ci_u32_e64 v9, null, s5, v9, vcc_lo
	global_store_dwordx2 v[8:9], v[6:7], off
                                        ; implicit-def: $vgpr8
                                        ; implicit-def: $vgpr6_vgpr7
.LBB72_22:                              ;   in Loop: Header=BB72_8 Depth=1
	s_andn2_saveexec_b32 s7, s7
	s_cbranch_execz .LBB72_7
; %bb.23:                               ;   in Loop: Header=BB72_8 Depth=1
	v_lshlrev_b64 v[8:9], 3, v[8:9]
	v_add_co_u32 v8, vcc_lo, s4, v8
	v_add_co_ci_u32_e64 v9, null, s5, v9, vcc_lo
	global_load_dwordx2 v[15:16], v[8:9], off
	s_waitcnt vmcnt(0)
	v_fma_f64 v[6:7], v[3:4], v[15:16], v[6:7]
	global_store_dwordx2 v[8:9], v[6:7], off
	s_branch .LBB72_7
.LBB72_24:
	s_endpgm
	.section	.rodata,"a",@progbits
	.p2align	6, 0x0
	.amdhsa_kernel _ZN9rocsparseL23gebsrmvn_general_kernelILj48ELj16EdEEvi20rocsparse_direction_NS_24const_host_device_scalarIT1_EEPKiS6_PKS3_iiS8_S4_PS3_21rocsparse_index_base_b
		.amdhsa_group_segment_fixed_size 0
		.amdhsa_private_segment_fixed_size 0
		.amdhsa_kernarg_size 80
		.amdhsa_user_sgpr_count 6
		.amdhsa_user_sgpr_private_segment_buffer 1
		.amdhsa_user_sgpr_dispatch_ptr 0
		.amdhsa_user_sgpr_queue_ptr 0
		.amdhsa_user_sgpr_kernarg_segment_ptr 1
		.amdhsa_user_sgpr_dispatch_id 0
		.amdhsa_user_sgpr_flat_scratch_init 0
		.amdhsa_user_sgpr_private_segment_size 0
		.amdhsa_wavefront_size32 1
		.amdhsa_uses_dynamic_stack 0
		.amdhsa_system_sgpr_private_segment_wavefront_offset 0
		.amdhsa_system_sgpr_workgroup_id_x 1
		.amdhsa_system_sgpr_workgroup_id_y 0
		.amdhsa_system_sgpr_workgroup_id_z 0
		.amdhsa_system_sgpr_workgroup_info 0
		.amdhsa_system_vgpr_workitem_id 0
		.amdhsa_next_free_vgpr 19
		.amdhsa_next_free_sgpr 28
		.amdhsa_reserve_vcc 1
		.amdhsa_reserve_flat_scratch 0
		.amdhsa_float_round_mode_32 0
		.amdhsa_float_round_mode_16_64 0
		.amdhsa_float_denorm_mode_32 3
		.amdhsa_float_denorm_mode_16_64 3
		.amdhsa_dx10_clamp 1
		.amdhsa_ieee_mode 1
		.amdhsa_fp16_overflow 0
		.amdhsa_workgroup_processor_mode 1
		.amdhsa_memory_ordered 1
		.amdhsa_forward_progress 1
		.amdhsa_shared_vgpr_count 0
		.amdhsa_exception_fp_ieee_invalid_op 0
		.amdhsa_exception_fp_denorm_src 0
		.amdhsa_exception_fp_ieee_div_zero 0
		.amdhsa_exception_fp_ieee_overflow 0
		.amdhsa_exception_fp_ieee_underflow 0
		.amdhsa_exception_fp_ieee_inexact 0
		.amdhsa_exception_int_div_zero 0
	.end_amdhsa_kernel
	.section	.text._ZN9rocsparseL23gebsrmvn_general_kernelILj48ELj16EdEEvi20rocsparse_direction_NS_24const_host_device_scalarIT1_EEPKiS6_PKS3_iiS8_S4_PS3_21rocsparse_index_base_b,"axG",@progbits,_ZN9rocsparseL23gebsrmvn_general_kernelILj48ELj16EdEEvi20rocsparse_direction_NS_24const_host_device_scalarIT1_EEPKiS6_PKS3_iiS8_S4_PS3_21rocsparse_index_base_b,comdat
.Lfunc_end72:
	.size	_ZN9rocsparseL23gebsrmvn_general_kernelILj48ELj16EdEEvi20rocsparse_direction_NS_24const_host_device_scalarIT1_EEPKiS6_PKS3_iiS8_S4_PS3_21rocsparse_index_base_b, .Lfunc_end72-_ZN9rocsparseL23gebsrmvn_general_kernelILj48ELj16EdEEvi20rocsparse_direction_NS_24const_host_device_scalarIT1_EEPKiS6_PKS3_iiS8_S4_PS3_21rocsparse_index_base_b
                                        ; -- End function
	.set _ZN9rocsparseL23gebsrmvn_general_kernelILj48ELj16EdEEvi20rocsparse_direction_NS_24const_host_device_scalarIT1_EEPKiS6_PKS3_iiS8_S4_PS3_21rocsparse_index_base_b.num_vgpr, 19
	.set _ZN9rocsparseL23gebsrmvn_general_kernelILj48ELj16EdEEvi20rocsparse_direction_NS_24const_host_device_scalarIT1_EEPKiS6_PKS3_iiS8_S4_PS3_21rocsparse_index_base_b.num_agpr, 0
	.set _ZN9rocsparseL23gebsrmvn_general_kernelILj48ELj16EdEEvi20rocsparse_direction_NS_24const_host_device_scalarIT1_EEPKiS6_PKS3_iiS8_S4_PS3_21rocsparse_index_base_b.numbered_sgpr, 28
	.set _ZN9rocsparseL23gebsrmvn_general_kernelILj48ELj16EdEEvi20rocsparse_direction_NS_24const_host_device_scalarIT1_EEPKiS6_PKS3_iiS8_S4_PS3_21rocsparse_index_base_b.num_named_barrier, 0
	.set _ZN9rocsparseL23gebsrmvn_general_kernelILj48ELj16EdEEvi20rocsparse_direction_NS_24const_host_device_scalarIT1_EEPKiS6_PKS3_iiS8_S4_PS3_21rocsparse_index_base_b.private_seg_size, 0
	.set _ZN9rocsparseL23gebsrmvn_general_kernelILj48ELj16EdEEvi20rocsparse_direction_NS_24const_host_device_scalarIT1_EEPKiS6_PKS3_iiS8_S4_PS3_21rocsparse_index_base_b.uses_vcc, 1
	.set _ZN9rocsparseL23gebsrmvn_general_kernelILj48ELj16EdEEvi20rocsparse_direction_NS_24const_host_device_scalarIT1_EEPKiS6_PKS3_iiS8_S4_PS3_21rocsparse_index_base_b.uses_flat_scratch, 0
	.set _ZN9rocsparseL23gebsrmvn_general_kernelILj48ELj16EdEEvi20rocsparse_direction_NS_24const_host_device_scalarIT1_EEPKiS6_PKS3_iiS8_S4_PS3_21rocsparse_index_base_b.has_dyn_sized_stack, 0
	.set _ZN9rocsparseL23gebsrmvn_general_kernelILj48ELj16EdEEvi20rocsparse_direction_NS_24const_host_device_scalarIT1_EEPKiS6_PKS3_iiS8_S4_PS3_21rocsparse_index_base_b.has_recursion, 0
	.set _ZN9rocsparseL23gebsrmvn_general_kernelILj48ELj16EdEEvi20rocsparse_direction_NS_24const_host_device_scalarIT1_EEPKiS6_PKS3_iiS8_S4_PS3_21rocsparse_index_base_b.has_indirect_call, 0
	.section	.AMDGPU.csdata,"",@progbits
; Kernel info:
; codeLenInByte = 1032
; TotalNumSgprs: 30
; NumVgprs: 19
; ScratchSize: 0
; MemoryBound: 0
; FloatMode: 240
; IeeeMode: 1
; LDSByteSize: 0 bytes/workgroup (compile time only)
; SGPRBlocks: 0
; VGPRBlocks: 2
; NumSGPRsForWavesPerEU: 30
; NumVGPRsForWavesPerEU: 19
; Occupancy: 16
; WaveLimiterHint : 1
; COMPUTE_PGM_RSRC2:SCRATCH_EN: 0
; COMPUTE_PGM_RSRC2:USER_SGPR: 6
; COMPUTE_PGM_RSRC2:TRAP_HANDLER: 0
; COMPUTE_PGM_RSRC2:TGID_X_EN: 1
; COMPUTE_PGM_RSRC2:TGID_Y_EN: 0
; COMPUTE_PGM_RSRC2:TGID_Z_EN: 0
; COMPUTE_PGM_RSRC2:TIDIG_COMP_CNT: 0
	.section	.text._ZN9rocsparseL23gebsrmvn_general_kernelILj96ELj32EdEEvi20rocsparse_direction_NS_24const_host_device_scalarIT1_EEPKiS6_PKS3_iiS8_S4_PS3_21rocsparse_index_base_b,"axG",@progbits,_ZN9rocsparseL23gebsrmvn_general_kernelILj96ELj32EdEEvi20rocsparse_direction_NS_24const_host_device_scalarIT1_EEPKiS6_PKS3_iiS8_S4_PS3_21rocsparse_index_base_b,comdat
	.globl	_ZN9rocsparseL23gebsrmvn_general_kernelILj96ELj32EdEEvi20rocsparse_direction_NS_24const_host_device_scalarIT1_EEPKiS6_PKS3_iiS8_S4_PS3_21rocsparse_index_base_b ; -- Begin function _ZN9rocsparseL23gebsrmvn_general_kernelILj96ELj32EdEEvi20rocsparse_direction_NS_24const_host_device_scalarIT1_EEPKiS6_PKS3_iiS8_S4_PS3_21rocsparse_index_base_b
	.p2align	8
	.type	_ZN9rocsparseL23gebsrmvn_general_kernelILj96ELj32EdEEvi20rocsparse_direction_NS_24const_host_device_scalarIT1_EEPKiS6_PKS3_iiS8_S4_PS3_21rocsparse_index_base_b,@function
_ZN9rocsparseL23gebsrmvn_general_kernelILj96ELj32EdEEvi20rocsparse_direction_NS_24const_host_device_scalarIT1_EEPKiS6_PKS3_iiS8_S4_PS3_21rocsparse_index_base_b: ; @_ZN9rocsparseL23gebsrmvn_general_kernelILj96ELj32EdEEvi20rocsparse_direction_NS_24const_host_device_scalarIT1_EEPKiS6_PKS3_iiS8_S4_PS3_21rocsparse_index_base_b
; %bb.0:
	s_clause 0x2
	s_load_dwordx2 s[12:13], s[4:5], 0x48
	s_load_dwordx2 s[2:3], s[4:5], 0x8
	;; [unrolled: 1-line block ×3, first 2 shown]
	s_waitcnt lgkmcnt(0)
	s_bitcmp1_b32 s13, 0
	v_mov_b32_e32 v1, s2
	v_mov_b32_e32 v2, s3
	s_cselect_b32 s7, -1, 0
	s_and_b32 vcc_lo, exec_lo, s7
	s_xor_b32 s7, s7, -1
	s_cbranch_vccnz .LBB73_2
; %bb.1:
	v_mov_b32_e32 v1, s2
	v_mov_b32_e32 v2, s3
	flat_load_dwordx2 v[1:2], v[1:2]
.LBB73_2:
	v_mov_b32_e32 v4, s1
	v_mov_b32_e32 v3, s0
	s_andn2_b32 vcc_lo, exec_lo, s7
	s_cbranch_vccnz .LBB73_4
; %bb.3:
	v_mov_b32_e32 v4, s1
	v_mov_b32_e32 v3, s0
	flat_load_dwordx2 v[3:4], v[3:4]
.LBB73_4:
	s_waitcnt vmcnt(0) lgkmcnt(0)
	v_cmp_neq_f64_e32 vcc_lo, 0, v[1:2]
	v_cmp_neq_f64_e64 s0, 1.0, v[3:4]
	s_or_b32 s0, vcc_lo, s0
	s_and_saveexec_b32 s1, s0
	s_cbranch_execz .LBB73_24
; %bb.5:
	s_load_dwordx2 s[14:15], s[4:5], 0x28
	v_lshrrev_b32_e32 v5, 5, v0
	s_waitcnt lgkmcnt(0)
	v_cmp_gt_i32_e32 vcc_lo, s14, v5
	s_and_b32 exec_lo, exec_lo, vcc_lo
	s_cbranch_execz .LBB73_24
; %bb.6:
	s_clause 0x1
	s_load_dwordx4 s[8:11], s[4:5], 0x10
	s_load_dword s2, s[4:5], 0x4
	v_mbcnt_lo_u32_b32 v8, -1, 0
	s_ashr_i32 s7, s6, 31
	v_and_b32_e32 v0, 31, v0
	s_lshl_b64 s[0:1], s[6:7], 2
	s_mov_b32 s3, 0
	v_xor_b32_e32 v6, 16, v8
	v_xor_b32_e32 v7, 8, v8
	;; [unrolled: 1-line block ×5, first 2 shown]
	v_cmp_gt_i32_e32 vcc_lo, 32, v6
	s_mul_i32 s22, s15, 3
	s_mul_i32 s23, s15, s14
	v_cndmask_b32_e32 v12, v8, v6, vcc_lo
	v_cmp_gt_i32_e32 vcc_lo, 32, v7
	s_waitcnt lgkmcnt(0)
	s_add_u32 s0, s8, s0
	s_addc_u32 s1, s9, s1
	s_load_dwordx2 s[20:21], s[0:1], 0x0
	s_clause 0x2
	s_load_dwordx2 s[8:9], s[4:5], 0x20
	s_load_dwordx2 s[16:17], s[4:5], 0x30
	;; [unrolled: 1-line block ×3, first 2 shown]
	v_cndmask_b32_e32 v13, v8, v7, vcc_lo
	v_cmp_gt_i32_e32 vcc_lo, 32, v9
	v_cmp_eq_f64_e64 s0, 0, v[3:4]
	v_cmp_gt_i32_e64 s1, s15, v0
	v_cndmask_b32_e32 v9, v8, v9, vcc_lo
	v_cmp_gt_i32_e32 vcc_lo, 32, v10
	v_cndmask_b32_e32 v14, v8, v10, vcc_lo
	v_cmp_gt_i32_e32 vcc_lo, 32, v11
	v_lshlrev_b32_e32 v10, 2, v12
	v_lshlrev_b32_e32 v12, 2, v9
	s_waitcnt lgkmcnt(0)
	s_sub_i32 s13, s20, s12
	s_sub_i32 s18, s21, s12
	v_mad_u64_u32 v[6:7], null, s14, s13, v[5:6]
	v_cndmask_b32_e32 v7, v8, v11, vcc_lo
	v_lshlrev_b32_e32 v11, 2, v13
	v_lshlrev_b32_e32 v13, 2, v14
	s_cmp_lt_i32 s20, s21
	s_mul_i32 s21, s14, s6
	s_cselect_b32 s19, -1, 0
	v_mul_lo_u32 v14, s15, v6
	s_cmp_lg_u32 s2, 0
	v_lshlrev_b32_e32 v15, 2, v7
	v_cmp_eq_u32_e64 s2, 31, v0
	s_cselect_b32 s20, -1, 0
	s_branch .LBB73_8
.LBB73_7:                               ;   in Loop: Header=BB73_8 Depth=1
	s_or_b32 exec_lo, exec_lo, s6
	v_add_nc_u32_e32 v5, 3, v5
	v_add_nc_u32_e32 v14, s22, v14
	v_cmp_le_i32_e32 vcc_lo, s14, v5
	s_or_b32 s3, vcc_lo, s3
	s_andn2_b32 exec_lo, exec_lo, s3
	s_cbranch_execz .LBB73_24
.LBB73_8:                               ; =>This Loop Header: Depth=1
                                        ;     Child Loop BB73_12 Depth 2
                                        ;       Child Loop BB73_15 Depth 3
	v_mov_b32_e32 v6, 0
	v_mov_b32_e32 v7, 0
	s_andn2_b32 vcc_lo, exec_lo, s19
	s_cbranch_vccnz .LBB73_19
; %bb.9:                                ;   in Loop: Header=BB73_8 Depth=1
	v_mov_b32_e32 v6, 0
	v_mov_b32_e32 v7, 0
	;; [unrolled: 1-line block ×3, first 2 shown]
	s_mov_b32 s6, s13
	s_branch .LBB73_12
.LBB73_10:                              ;   in Loop: Header=BB73_12 Depth=2
	s_inst_prefetch 0x2
	s_or_b32 exec_lo, exec_lo, s25
.LBB73_11:                              ;   in Loop: Header=BB73_12 Depth=2
	s_or_b32 exec_lo, exec_lo, s24
	v_add_nc_u32_e32 v16, s23, v16
	s_add_i32 s6, s6, 1
	s_cmp_ge_i32 s6, s18
	s_cbranch_scc1 .LBB73_19
.LBB73_12:                              ;   Parent Loop BB73_8 Depth=1
                                        ; =>  This Loop Header: Depth=2
                                        ;       Child Loop BB73_15 Depth 3
	s_and_saveexec_b32 s24, s1
	s_cbranch_execz .LBB73_11
; %bb.13:                               ;   in Loop: Header=BB73_12 Depth=2
	s_ashr_i32 s7, s6, 31
	v_mov_b32_e32 v17, v0
	s_lshl_b64 s[26:27], s[6:7], 2
	s_mov_b32 s25, 0
	s_add_u32 s26, s10, s26
	s_addc_u32 s27, s11, s27
	s_load_dword s7, s[26:27], 0x0
	s_waitcnt lgkmcnt(0)
	s_sub_i32 s26, s7, s12
	s_mul_i32 s7, s6, s15
	s_mul_i32 s26, s26, s15
	s_inst_prefetch 0x1
	s_branch .LBB73_15
	.p2align	6
.LBB73_14:                              ;   in Loop: Header=BB73_15 Depth=3
	v_add_nc_u32_e32 v18, s26, v17
	v_ashrrev_i32_e32 v9, 31, v8
	v_add_nc_u32_e32 v17, 32, v17
	v_ashrrev_i32_e32 v19, 31, v18
	v_lshlrev_b64 v[8:9], 3, v[8:9]
	v_lshlrev_b64 v[18:19], 3, v[18:19]
	v_add_co_u32 v8, vcc_lo, s8, v8
	v_add_co_ci_u32_e64 v9, null, s9, v9, vcc_lo
	v_add_co_u32 v18, vcc_lo, s16, v18
	v_add_co_ci_u32_e64 v19, null, s17, v19, vcc_lo
	v_cmp_le_i32_e32 vcc_lo, s15, v17
	global_load_dwordx2 v[8:9], v[8:9], off
	global_load_dwordx2 v[18:19], v[18:19], off
	s_or_b32 s25, vcc_lo, s25
	s_waitcnt vmcnt(0)
	v_fma_f64 v[6:7], v[8:9], v[18:19], v[6:7]
	s_andn2_b32 exec_lo, exec_lo, s25
	s_cbranch_execz .LBB73_10
.LBB73_15:                              ;   Parent Loop BB73_8 Depth=1
                                        ;     Parent Loop BB73_12 Depth=2
                                        ; =>    This Inner Loop Header: Depth=3
	s_and_b32 vcc_lo, exec_lo, s20
	s_cbranch_vccz .LBB73_17
; %bb.16:                               ;   in Loop: Header=BB73_15 Depth=3
	v_add_nc_u32_e32 v8, s7, v17
	v_mad_u64_u32 v[8:9], null, v8, s14, v[5:6]
	s_cbranch_execnz .LBB73_14
	s_branch .LBB73_18
	.p2align	6
.LBB73_17:                              ;   in Loop: Header=BB73_15 Depth=3
                                        ; implicit-def: $vgpr8
.LBB73_18:                              ;   in Loop: Header=BB73_15 Depth=3
	v_add_nc_u32_e32 v8, v16, v17
	s_branch .LBB73_14
.LBB73_19:                              ;   in Loop: Header=BB73_8 Depth=1
	s_waitcnt lgkmcnt(1)
	ds_bpermute_b32 v8, v10, v6
	s_waitcnt lgkmcnt(1)
	ds_bpermute_b32 v9, v10, v7
	s_waitcnt lgkmcnt(0)
	v_add_f64 v[6:7], v[6:7], v[8:9]
	ds_bpermute_b32 v8, v11, v6
	ds_bpermute_b32 v9, v11, v7
	s_waitcnt lgkmcnt(0)
	v_add_f64 v[6:7], v[6:7], v[8:9]
	ds_bpermute_b32 v8, v12, v6
	;; [unrolled: 4-line block ×4, first 2 shown]
	ds_bpermute_b32 v9, v15, v7
	s_and_saveexec_b32 s6, s2
	s_cbranch_execz .LBB73_7
; %bb.20:                               ;   in Loop: Header=BB73_8 Depth=1
	s_waitcnt lgkmcnt(0)
	v_add_f64 v[6:7], v[6:7], v[8:9]
	v_add_nc_u32_e32 v8, s21, v5
	v_ashrrev_i32_e32 v9, 31, v8
	v_mul_f64 v[6:7], v[1:2], v[6:7]
	s_and_saveexec_b32 s7, s0
	s_xor_b32 s7, exec_lo, s7
	s_cbranch_execz .LBB73_22
; %bb.21:                               ;   in Loop: Header=BB73_8 Depth=1
	v_lshlrev_b64 v[8:9], 3, v[8:9]
	v_add_co_u32 v8, vcc_lo, s4, v8
	v_add_co_ci_u32_e64 v9, null, s5, v9, vcc_lo
	global_store_dwordx2 v[8:9], v[6:7], off
                                        ; implicit-def: $vgpr8
                                        ; implicit-def: $vgpr6_vgpr7
.LBB73_22:                              ;   in Loop: Header=BB73_8 Depth=1
	s_andn2_saveexec_b32 s7, s7
	s_cbranch_execz .LBB73_7
; %bb.23:                               ;   in Loop: Header=BB73_8 Depth=1
	v_lshlrev_b64 v[8:9], 3, v[8:9]
	v_add_co_u32 v8, vcc_lo, s4, v8
	v_add_co_ci_u32_e64 v9, null, s5, v9, vcc_lo
	global_load_dwordx2 v[16:17], v[8:9], off
	s_waitcnt vmcnt(0)
	v_fma_f64 v[6:7], v[3:4], v[16:17], v[6:7]
	global_store_dwordx2 v[8:9], v[6:7], off
	s_branch .LBB73_7
.LBB73_24:
	s_endpgm
	.section	.rodata,"a",@progbits
	.p2align	6, 0x0
	.amdhsa_kernel _ZN9rocsparseL23gebsrmvn_general_kernelILj96ELj32EdEEvi20rocsparse_direction_NS_24const_host_device_scalarIT1_EEPKiS6_PKS3_iiS8_S4_PS3_21rocsparse_index_base_b
		.amdhsa_group_segment_fixed_size 0
		.amdhsa_private_segment_fixed_size 0
		.amdhsa_kernarg_size 80
		.amdhsa_user_sgpr_count 6
		.amdhsa_user_sgpr_private_segment_buffer 1
		.amdhsa_user_sgpr_dispatch_ptr 0
		.amdhsa_user_sgpr_queue_ptr 0
		.amdhsa_user_sgpr_kernarg_segment_ptr 1
		.amdhsa_user_sgpr_dispatch_id 0
		.amdhsa_user_sgpr_flat_scratch_init 0
		.amdhsa_user_sgpr_private_segment_size 0
		.amdhsa_wavefront_size32 1
		.amdhsa_uses_dynamic_stack 0
		.amdhsa_system_sgpr_private_segment_wavefront_offset 0
		.amdhsa_system_sgpr_workgroup_id_x 1
		.amdhsa_system_sgpr_workgroup_id_y 0
		.amdhsa_system_sgpr_workgroup_id_z 0
		.amdhsa_system_sgpr_workgroup_info 0
		.amdhsa_system_vgpr_workitem_id 0
		.amdhsa_next_free_vgpr 20
		.amdhsa_next_free_sgpr 28
		.amdhsa_reserve_vcc 1
		.amdhsa_reserve_flat_scratch 0
		.amdhsa_float_round_mode_32 0
		.amdhsa_float_round_mode_16_64 0
		.amdhsa_float_denorm_mode_32 3
		.amdhsa_float_denorm_mode_16_64 3
		.amdhsa_dx10_clamp 1
		.amdhsa_ieee_mode 1
		.amdhsa_fp16_overflow 0
		.amdhsa_workgroup_processor_mode 1
		.amdhsa_memory_ordered 1
		.amdhsa_forward_progress 1
		.amdhsa_shared_vgpr_count 0
		.amdhsa_exception_fp_ieee_invalid_op 0
		.amdhsa_exception_fp_denorm_src 0
		.amdhsa_exception_fp_ieee_div_zero 0
		.amdhsa_exception_fp_ieee_overflow 0
		.amdhsa_exception_fp_ieee_underflow 0
		.amdhsa_exception_fp_ieee_inexact 0
		.amdhsa_exception_int_div_zero 0
	.end_amdhsa_kernel
	.section	.text._ZN9rocsparseL23gebsrmvn_general_kernelILj96ELj32EdEEvi20rocsparse_direction_NS_24const_host_device_scalarIT1_EEPKiS6_PKS3_iiS8_S4_PS3_21rocsparse_index_base_b,"axG",@progbits,_ZN9rocsparseL23gebsrmvn_general_kernelILj96ELj32EdEEvi20rocsparse_direction_NS_24const_host_device_scalarIT1_EEPKiS6_PKS3_iiS8_S4_PS3_21rocsparse_index_base_b,comdat
.Lfunc_end73:
	.size	_ZN9rocsparseL23gebsrmvn_general_kernelILj96ELj32EdEEvi20rocsparse_direction_NS_24const_host_device_scalarIT1_EEPKiS6_PKS3_iiS8_S4_PS3_21rocsparse_index_base_b, .Lfunc_end73-_ZN9rocsparseL23gebsrmvn_general_kernelILj96ELj32EdEEvi20rocsparse_direction_NS_24const_host_device_scalarIT1_EEPKiS6_PKS3_iiS8_S4_PS3_21rocsparse_index_base_b
                                        ; -- End function
	.set _ZN9rocsparseL23gebsrmvn_general_kernelILj96ELj32EdEEvi20rocsparse_direction_NS_24const_host_device_scalarIT1_EEPKiS6_PKS3_iiS8_S4_PS3_21rocsparse_index_base_b.num_vgpr, 20
	.set _ZN9rocsparseL23gebsrmvn_general_kernelILj96ELj32EdEEvi20rocsparse_direction_NS_24const_host_device_scalarIT1_EEPKiS6_PKS3_iiS8_S4_PS3_21rocsparse_index_base_b.num_agpr, 0
	.set _ZN9rocsparseL23gebsrmvn_general_kernelILj96ELj32EdEEvi20rocsparse_direction_NS_24const_host_device_scalarIT1_EEPKiS6_PKS3_iiS8_S4_PS3_21rocsparse_index_base_b.numbered_sgpr, 28
	.set _ZN9rocsparseL23gebsrmvn_general_kernelILj96ELj32EdEEvi20rocsparse_direction_NS_24const_host_device_scalarIT1_EEPKiS6_PKS3_iiS8_S4_PS3_21rocsparse_index_base_b.num_named_barrier, 0
	.set _ZN9rocsparseL23gebsrmvn_general_kernelILj96ELj32EdEEvi20rocsparse_direction_NS_24const_host_device_scalarIT1_EEPKiS6_PKS3_iiS8_S4_PS3_21rocsparse_index_base_b.private_seg_size, 0
	.set _ZN9rocsparseL23gebsrmvn_general_kernelILj96ELj32EdEEvi20rocsparse_direction_NS_24const_host_device_scalarIT1_EEPKiS6_PKS3_iiS8_S4_PS3_21rocsparse_index_base_b.uses_vcc, 1
	.set _ZN9rocsparseL23gebsrmvn_general_kernelILj96ELj32EdEEvi20rocsparse_direction_NS_24const_host_device_scalarIT1_EEPKiS6_PKS3_iiS8_S4_PS3_21rocsparse_index_base_b.uses_flat_scratch, 0
	.set _ZN9rocsparseL23gebsrmvn_general_kernelILj96ELj32EdEEvi20rocsparse_direction_NS_24const_host_device_scalarIT1_EEPKiS6_PKS3_iiS8_S4_PS3_21rocsparse_index_base_b.has_dyn_sized_stack, 0
	.set _ZN9rocsparseL23gebsrmvn_general_kernelILj96ELj32EdEEvi20rocsparse_direction_NS_24const_host_device_scalarIT1_EEPKiS6_PKS3_iiS8_S4_PS3_21rocsparse_index_base_b.has_recursion, 0
	.set _ZN9rocsparseL23gebsrmvn_general_kernelILj96ELj32EdEEvi20rocsparse_direction_NS_24const_host_device_scalarIT1_EEPKiS6_PKS3_iiS8_S4_PS3_21rocsparse_index_base_b.has_indirect_call, 0
	.section	.AMDGPU.csdata,"",@progbits
; Kernel info:
; codeLenInByte = 1060
; TotalNumSgprs: 30
; NumVgprs: 20
; ScratchSize: 0
; MemoryBound: 0
; FloatMode: 240
; IeeeMode: 1
; LDSByteSize: 0 bytes/workgroup (compile time only)
; SGPRBlocks: 0
; VGPRBlocks: 2
; NumSGPRsForWavesPerEU: 30
; NumVGPRsForWavesPerEU: 20
; Occupancy: 16
; WaveLimiterHint : 1
; COMPUTE_PGM_RSRC2:SCRATCH_EN: 0
; COMPUTE_PGM_RSRC2:USER_SGPR: 6
; COMPUTE_PGM_RSRC2:TRAP_HANDLER: 0
; COMPUTE_PGM_RSRC2:TGID_X_EN: 1
; COMPUTE_PGM_RSRC2:TGID_Y_EN: 0
; COMPUTE_PGM_RSRC2:TGID_Z_EN: 0
; COMPUTE_PGM_RSRC2:TIDIG_COMP_CNT: 0
	.section	.text._ZN9rocsparseL19gebsrmvn_3xn_kernelILj128ELj1ELj4E21rocsparse_complex_numIfEEEvi20rocsparse_direction_NS_24const_host_device_scalarIT2_EEPKiS8_PKS5_SA_S6_PS5_21rocsparse_index_base_b,"axG",@progbits,_ZN9rocsparseL19gebsrmvn_3xn_kernelILj128ELj1ELj4E21rocsparse_complex_numIfEEEvi20rocsparse_direction_NS_24const_host_device_scalarIT2_EEPKiS8_PKS5_SA_S6_PS5_21rocsparse_index_base_b,comdat
	.globl	_ZN9rocsparseL19gebsrmvn_3xn_kernelILj128ELj1ELj4E21rocsparse_complex_numIfEEEvi20rocsparse_direction_NS_24const_host_device_scalarIT2_EEPKiS8_PKS5_SA_S6_PS5_21rocsparse_index_base_b ; -- Begin function _ZN9rocsparseL19gebsrmvn_3xn_kernelILj128ELj1ELj4E21rocsparse_complex_numIfEEEvi20rocsparse_direction_NS_24const_host_device_scalarIT2_EEPKiS8_PKS5_SA_S6_PS5_21rocsparse_index_base_b
	.p2align	8
	.type	_ZN9rocsparseL19gebsrmvn_3xn_kernelILj128ELj1ELj4E21rocsparse_complex_numIfEEEvi20rocsparse_direction_NS_24const_host_device_scalarIT2_EEPKiS8_PKS5_SA_S6_PS5_21rocsparse_index_base_b,@function
_ZN9rocsparseL19gebsrmvn_3xn_kernelILj128ELj1ELj4E21rocsparse_complex_numIfEEEvi20rocsparse_direction_NS_24const_host_device_scalarIT2_EEPKiS8_PKS5_SA_S6_PS5_21rocsparse_index_base_b: ; @_ZN9rocsparseL19gebsrmvn_3xn_kernelILj128ELj1ELj4E21rocsparse_complex_numIfEEEvi20rocsparse_direction_NS_24const_host_device_scalarIT2_EEPKiS8_PKS5_SA_S6_PS5_21rocsparse_index_base_b
; %bb.0:
	s_clause 0x2
	s_load_dwordx2 s[2:3], s[4:5], 0x40
	s_load_dwordx2 s[0:1], s[4:5], 0x8
	;; [unrolled: 1-line block ×3, first 2 shown]
	s_add_u32 s7, s4, 8
	s_addc_u32 s10, s5, 0
	s_add_u32 s11, s4, 48
	s_addc_u32 s12, s5, 0
	s_waitcnt lgkmcnt(0)
	s_bitcmp1_b32 s3, 0
	s_cselect_b32 s0, s7, s0
	s_cselect_b32 s1, s10, s1
	v_mov_b32_e32 v1, s0
	v_mov_b32_e32 v2, s1
	s_cselect_b32 s0, s11, s8
	s_cselect_b32 s1, s12, s9
	v_mov_b32_e32 v3, s0
	v_mov_b32_e32 v4, s1
	flat_load_dwordx2 v[1:2], v[1:2]
	flat_load_dwordx2 v[3:4], v[3:4]
	s_waitcnt vmcnt(1) lgkmcnt(1)
	v_cmp_eq_f32_e32 vcc_lo, 0, v1
	v_cmp_eq_f32_e64 s0, 0, v2
	s_and_b32 s3, vcc_lo, s0
	s_mov_b32 s0, -1
	s_and_saveexec_b32 s1, s3
	s_cbranch_execz .LBB74_2
; %bb.1:
	s_waitcnt vmcnt(0) lgkmcnt(0)
	v_cmp_neq_f32_e32 vcc_lo, 1.0, v3
	v_cmp_neq_f32_e64 s0, 0, v4
	s_or_b32 s0, vcc_lo, s0
	s_orn2_b32 s0, s0, exec_lo
.LBB74_2:
	s_or_b32 exec_lo, exec_lo, s1
	s_and_saveexec_b32 s1, s0
	s_cbranch_execz .LBB74_21
; %bb.3:
	s_load_dwordx2 s[0:1], s[4:5], 0x0
	v_lshrrev_b32_e32 v5, 2, v0
	v_lshl_or_b32 v5, s6, 5, v5
	s_waitcnt lgkmcnt(0)
	v_cmp_gt_i32_e32 vcc_lo, s0, v5
	s_and_b32 exec_lo, exec_lo, vcc_lo
	s_cbranch_execz .LBB74_21
; %bb.4:
	s_load_dwordx8 s[8:15], s[4:5], 0x10
	v_ashrrev_i32_e32 v6, 31, v5
	v_and_b32_e32 v0, 3, v0
	s_cmp_lg_u32 s1, 0
	v_lshlrev_b64 v[6:7], 2, v[5:6]
	s_waitcnt lgkmcnt(0)
	v_add_co_u32 v6, vcc_lo, s8, v6
	v_add_co_ci_u32_e64 v7, null, s9, v7, vcc_lo
	global_load_dwordx2 v[6:7], v[6:7], off
	s_waitcnt vmcnt(0)
	v_subrev_nc_u32_e32 v6, s2, v6
	v_subrev_nc_u32_e32 v17, s2, v7
	v_add_nc_u32_e32 v6, v6, v0
	v_cmp_lt_i32_e64 s0, v6, v17
	s_cbranch_scc0 .LBB74_10
; %bb.5:
	v_mov_b32_e32 v11, 0
	v_mov_b32_e32 v12, 0
	;; [unrolled: 1-line block ×6, first 2 shown]
	s_and_saveexec_b32 s1, s0
	s_cbranch_execz .LBB74_9
; %bb.6:
	v_mov_b32_e32 v8, 0
	v_lshl_add_u32 v7, v6, 1, v6
	v_mov_b32_e32 v9, v6
	s_mov_b32 s3, 0
	v_mov_b32_e32 v11, v8
	v_mov_b32_e32 v12, v8
	;; [unrolled: 1-line block ×6, first 2 shown]
.LBB74_7:                               ; =>This Inner Loop Header: Depth=1
	v_ashrrev_i32_e32 v10, 31, v9
	v_add_nc_u32_e32 v20, 2, v7
	v_mov_b32_e32 v21, v8
	v_lshlrev_b64 v[22:23], 3, v[7:8]
	v_mov_b32_e32 v24, v8
	v_lshlrev_b64 v[18:19], 2, v[9:10]
	v_add_nc_u32_e32 v9, 4, v9
	v_lshlrev_b64 v[20:21], 3, v[20:21]
	v_add_co_u32 v18, vcc_lo, s10, v18
	v_add_co_ci_u32_e64 v19, null, s11, v19, vcc_lo
	v_add_co_u32 v22, vcc_lo, s12, v22
	v_add_co_ci_u32_e64 v23, null, s13, v23, vcc_lo
	global_load_dword v10, v[18:19], off
	v_add_nc_u32_e32 v18, 1, v7
	v_mov_b32_e32 v19, v8
	v_add_nc_u32_e32 v7, 12, v7
	v_lshlrev_b64 v[18:19], 3, v[18:19]
	v_add_co_u32 v18, vcc_lo, s12, v18
	v_add_co_ci_u32_e64 v19, null, s13, v19, vcc_lo
	v_add_co_u32 v20, vcc_lo, s12, v20
	v_add_co_ci_u32_e64 v21, null, s13, v21, vcc_lo
	s_clause 0x2
	global_load_dwordx2 v[25:26], v[22:23], off
	global_load_dwordx2 v[18:19], v[18:19], off
	;; [unrolled: 1-line block ×3, first 2 shown]
	s_waitcnt vmcnt(3)
	v_subrev_nc_u32_e32 v23, s2, v10
	v_lshlrev_b64 v[22:23], 3, v[23:24]
	v_add_co_u32 v22, vcc_lo, s14, v22
	v_add_co_ci_u32_e64 v23, null, s15, v23, vcc_lo
	v_cmp_ge_i32_e32 vcc_lo, v9, v17
	global_load_dwordx2 v[22:23], v[22:23], off
	s_or_b32 s3, vcc_lo, s3
	s_waitcnt vmcnt(0)
	v_fmac_f32_e32 v12, v25, v22
	v_fmac_f32_e32 v11, v26, v22
	;; [unrolled: 1-line block ×6, first 2 shown]
	v_fma_f32 v12, -v26, v23, v12
	v_fmac_f32_e32 v11, v25, v23
	v_fma_f32 v15, -v19, v23, v15
	v_fmac_f32_e32 v16, v18, v23
	;; [unrolled: 2-line block ×3, first 2 shown]
	s_andn2_b32 exec_lo, exec_lo, s3
	s_cbranch_execnz .LBB74_7
; %bb.8:
	s_or_b32 exec_lo, exec_lo, s3
.LBB74_9:
	s_or_b32 exec_lo, exec_lo, s1
	s_cbranch_execz .LBB74_11
	s_branch .LBB74_16
.LBB74_10:
                                        ; implicit-def: $vgpr11
                                        ; implicit-def: $vgpr12
                                        ; implicit-def: $vgpr13
                                        ; implicit-def: $vgpr14
                                        ; implicit-def: $vgpr15
                                        ; implicit-def: $vgpr16
.LBB74_11:
	v_mov_b32_e32 v11, 0
	v_mov_b32_e32 v12, 0
	;; [unrolled: 1-line block ×6, first 2 shown]
	s_and_saveexec_b32 s1, s0
	s_cbranch_execz .LBB74_15
; %bb.12:
	v_mov_b32_e32 v9, 0
	v_lshl_add_u32 v8, v6, 1, v6
	s_mov_b32 s0, 0
	v_mov_b32_e32 v11, v9
	v_mov_b32_e32 v12, v9
	;; [unrolled: 1-line block ×6, first 2 shown]
.LBB74_13:                              ; =>This Inner Loop Header: Depth=1
	v_ashrrev_i32_e32 v7, 31, v6
	v_add_nc_u32_e32 v20, 2, v8
	v_mov_b32_e32 v21, v9
	v_lshlrev_b64 v[22:23], 3, v[8:9]
	v_mov_b32_e32 v24, v9
	v_lshlrev_b64 v[18:19], 2, v[6:7]
	v_add_nc_u32_e32 v6, 4, v6
	v_lshlrev_b64 v[20:21], 3, v[20:21]
	v_add_co_u32 v18, vcc_lo, s10, v18
	v_add_co_ci_u32_e64 v19, null, s11, v19, vcc_lo
	v_add_co_u32 v22, vcc_lo, s12, v22
	v_add_co_ci_u32_e64 v23, null, s13, v23, vcc_lo
	global_load_dword v7, v[18:19], off
	v_add_nc_u32_e32 v18, 1, v8
	v_mov_b32_e32 v19, v9
	v_add_nc_u32_e32 v8, 12, v8
	v_lshlrev_b64 v[18:19], 3, v[18:19]
	v_add_co_u32 v18, vcc_lo, s12, v18
	v_add_co_ci_u32_e64 v19, null, s13, v19, vcc_lo
	v_add_co_u32 v20, vcc_lo, s12, v20
	v_add_co_ci_u32_e64 v21, null, s13, v21, vcc_lo
	s_clause 0x2
	global_load_dwordx2 v[25:26], v[22:23], off
	global_load_dwordx2 v[18:19], v[18:19], off
	;; [unrolled: 1-line block ×3, first 2 shown]
	s_waitcnt vmcnt(3)
	v_subrev_nc_u32_e32 v23, s2, v7
	v_lshlrev_b64 v[22:23], 3, v[23:24]
	v_add_co_u32 v22, vcc_lo, s14, v22
	v_add_co_ci_u32_e64 v23, null, s15, v23, vcc_lo
	v_cmp_ge_i32_e32 vcc_lo, v6, v17
	global_load_dwordx2 v[22:23], v[22:23], off
	s_or_b32 s0, vcc_lo, s0
	s_waitcnt vmcnt(0)
	v_fmac_f32_e32 v12, v25, v22
	v_fmac_f32_e32 v11, v26, v22
	;; [unrolled: 1-line block ×6, first 2 shown]
	v_fma_f32 v12, -v26, v23, v12
	v_fmac_f32_e32 v11, v25, v23
	v_fma_f32 v15, -v19, v23, v15
	v_fmac_f32_e32 v16, v18, v23
	;; [unrolled: 2-line block ×3, first 2 shown]
	s_andn2_b32 exec_lo, exec_lo, s0
	s_cbranch_execnz .LBB74_13
; %bb.14:
	s_or_b32 exec_lo, exec_lo, s0
.LBB74_15:
	s_or_b32 exec_lo, exec_lo, s1
.LBB74_16:
	v_mbcnt_lo_u32_b32 v6, -1, 0
	v_xor_b32_e32 v7, 2, v6
	v_cmp_gt_i32_e32 vcc_lo, 32, v7
	v_cndmask_b32_e32 v7, v6, v7, vcc_lo
	v_lshlrev_b32_e32 v7, 2, v7
	ds_bpermute_b32 v8, v7, v12
	ds_bpermute_b32 v9, v7, v11
	;; [unrolled: 1-line block ×6, first 2 shown]
	v_xor_b32_e32 v7, 1, v6
	v_cmp_gt_i32_e32 vcc_lo, 32, v7
	v_cndmask_b32_e32 v6, v6, v7, vcc_lo
	v_cmp_eq_u32_e32 vcc_lo, 3, v0
	v_lshlrev_b32_e32 v20, 2, v6
	s_waitcnt lgkmcnt(5)
	v_add_f32_e32 v6, v12, v8
	s_waitcnt lgkmcnt(4)
	v_add_f32_e32 v9, v11, v9
	;; [unrolled: 2-line block ×6, first 2 shown]
	ds_bpermute_b32 v10, v20, v6
	ds_bpermute_b32 v15, v20, v9
	;; [unrolled: 1-line block ×6, first 2 shown]
	s_and_b32 exec_lo, exec_lo, vcc_lo
	s_cbranch_execz .LBB74_21
; %bb.17:
	s_load_dwordx2 s[2:3], s[4:5], 0x38
	v_cmp_eq_f32_e32 vcc_lo, 0, v3
	v_cmp_eq_f32_e64 s0, 0, v4
	s_waitcnt lgkmcnt(0)
	v_add_f32_e32 v0, v6, v10
	v_add_f32_e32 v10, v9, v15
	;; [unrolled: 1-line block ×6, first 2 shown]
	s_and_b32 s0, vcc_lo, s0
	s_and_saveexec_b32 s1, s0
	s_xor_b32 s0, exec_lo, s1
	s_cbranch_execz .LBB74_19
; %bb.18:
	v_lshl_add_u32 v3, v5, 1, v5
	v_mul_f32_e64 v11, v10, -v2
	v_mul_f32_e32 v12, v1, v10
	v_mul_f32_e64 v13, v9, -v2
	v_mul_f32_e32 v14, v1, v9
	v_ashrrev_i32_e32 v4, 31, v3
	v_mul_f32_e64 v9, v8, -v2
	v_mul_f32_e32 v10, v1, v8
	v_fmac_f32_e32 v11, v1, v0
	v_fmac_f32_e32 v12, v2, v0
	v_lshlrev_b64 v[3:4], 3, v[3:4]
	v_fmac_f32_e32 v13, v1, v6
	v_fmac_f32_e32 v14, v2, v6
	v_fmac_f32_e32 v9, v1, v7
	v_fmac_f32_e32 v10, v2, v7
                                        ; implicit-def: $vgpr5
                                        ; implicit-def: $vgpr0
                                        ; implicit-def: $vgpr6
                                        ; implicit-def: $vgpr7
                                        ; implicit-def: $vgpr8
                                        ; implicit-def: $vgpr1_vgpr2
	v_add_co_u32 v3, vcc_lo, s2, v3
	v_add_co_ci_u32_e64 v4, null, s3, v4, vcc_lo
	global_store_dwordx4 v[3:4], v[11:14], off
	global_store_dwordx2 v[3:4], v[9:10], off offset:16
                                        ; implicit-def: $vgpr10
                                        ; implicit-def: $vgpr9
                                        ; implicit-def: $vgpr3_vgpr4
.LBB74_19:
	s_andn2_saveexec_b32 s0, s0
	s_cbranch_execz .LBB74_21
; %bb.20:
	v_lshl_add_u32 v11, v5, 1, v5
	v_mul_f32_e64 v15, v10, -v2
	v_mul_f32_e32 v16, v1, v10
	v_mul_f32_e64 v10, v9, -v2
	v_mul_f32_e32 v18, v1, v9
	v_ashrrev_i32_e32 v12, 31, v11
	v_mul_f32_e64 v9, v8, -v2
	v_mul_f32_e32 v5, v1, v8
	v_fmac_f32_e32 v15, v1, v0
	v_fmac_f32_e32 v16, v2, v0
	v_lshlrev_b64 v[11:12], 3, v[11:12]
	v_fmac_f32_e32 v10, v1, v6
	v_fmac_f32_e32 v18, v2, v6
	;; [unrolled: 1-line block ×4, first 2 shown]
	v_add_co_u32 v19, vcc_lo, s2, v11
	v_add_co_ci_u32_e64 v20, null, s3, v12, vcc_lo
	s_clause 0x1
	global_load_dwordx4 v[11:14], v[19:20], off
	global_load_dwordx2 v[21:22], v[19:20], off offset:16
	s_waitcnt vmcnt(1)
	v_fmac_f32_e32 v15, v3, v11
	v_fmac_f32_e32 v16, v4, v11
	;; [unrolled: 1-line block ×4, first 2 shown]
	s_waitcnt vmcnt(0)
	v_fmac_f32_e32 v9, v3, v21
	v_fmac_f32_e32 v5, v4, v21
	v_fma_f32 v15, -v4, v12, v15
	v_fmac_f32_e32 v16, v3, v12
	v_fma_f32 v17, -v4, v14, v10
	;; [unrolled: 2-line block ×3, first 2 shown]
	v_fmac_f32_e32 v5, v3, v22
	global_store_dwordx4 v[19:20], v[15:18], off
	global_store_dwordx2 v[19:20], v[4:5], off offset:16
.LBB74_21:
	s_endpgm
	.section	.rodata,"a",@progbits
	.p2align	6, 0x0
	.amdhsa_kernel _ZN9rocsparseL19gebsrmvn_3xn_kernelILj128ELj1ELj4E21rocsparse_complex_numIfEEEvi20rocsparse_direction_NS_24const_host_device_scalarIT2_EEPKiS8_PKS5_SA_S6_PS5_21rocsparse_index_base_b
		.amdhsa_group_segment_fixed_size 0
		.amdhsa_private_segment_fixed_size 0
		.amdhsa_kernarg_size 72
		.amdhsa_user_sgpr_count 6
		.amdhsa_user_sgpr_private_segment_buffer 1
		.amdhsa_user_sgpr_dispatch_ptr 0
		.amdhsa_user_sgpr_queue_ptr 0
		.amdhsa_user_sgpr_kernarg_segment_ptr 1
		.amdhsa_user_sgpr_dispatch_id 0
		.amdhsa_user_sgpr_flat_scratch_init 0
		.amdhsa_user_sgpr_private_segment_size 0
		.amdhsa_wavefront_size32 1
		.amdhsa_uses_dynamic_stack 0
		.amdhsa_system_sgpr_private_segment_wavefront_offset 0
		.amdhsa_system_sgpr_workgroup_id_x 1
		.amdhsa_system_sgpr_workgroup_id_y 0
		.amdhsa_system_sgpr_workgroup_id_z 0
		.amdhsa_system_sgpr_workgroup_info 0
		.amdhsa_system_vgpr_workitem_id 0
		.amdhsa_next_free_vgpr 27
		.amdhsa_next_free_sgpr 16
		.amdhsa_reserve_vcc 1
		.amdhsa_reserve_flat_scratch 0
		.amdhsa_float_round_mode_32 0
		.amdhsa_float_round_mode_16_64 0
		.amdhsa_float_denorm_mode_32 3
		.amdhsa_float_denorm_mode_16_64 3
		.amdhsa_dx10_clamp 1
		.amdhsa_ieee_mode 1
		.amdhsa_fp16_overflow 0
		.amdhsa_workgroup_processor_mode 1
		.amdhsa_memory_ordered 1
		.amdhsa_forward_progress 1
		.amdhsa_shared_vgpr_count 0
		.amdhsa_exception_fp_ieee_invalid_op 0
		.amdhsa_exception_fp_denorm_src 0
		.amdhsa_exception_fp_ieee_div_zero 0
		.amdhsa_exception_fp_ieee_overflow 0
		.amdhsa_exception_fp_ieee_underflow 0
		.amdhsa_exception_fp_ieee_inexact 0
		.amdhsa_exception_int_div_zero 0
	.end_amdhsa_kernel
	.section	.text._ZN9rocsparseL19gebsrmvn_3xn_kernelILj128ELj1ELj4E21rocsparse_complex_numIfEEEvi20rocsparse_direction_NS_24const_host_device_scalarIT2_EEPKiS8_PKS5_SA_S6_PS5_21rocsparse_index_base_b,"axG",@progbits,_ZN9rocsparseL19gebsrmvn_3xn_kernelILj128ELj1ELj4E21rocsparse_complex_numIfEEEvi20rocsparse_direction_NS_24const_host_device_scalarIT2_EEPKiS8_PKS5_SA_S6_PS5_21rocsparse_index_base_b,comdat
.Lfunc_end74:
	.size	_ZN9rocsparseL19gebsrmvn_3xn_kernelILj128ELj1ELj4E21rocsparse_complex_numIfEEEvi20rocsparse_direction_NS_24const_host_device_scalarIT2_EEPKiS8_PKS5_SA_S6_PS5_21rocsparse_index_base_b, .Lfunc_end74-_ZN9rocsparseL19gebsrmvn_3xn_kernelILj128ELj1ELj4E21rocsparse_complex_numIfEEEvi20rocsparse_direction_NS_24const_host_device_scalarIT2_EEPKiS8_PKS5_SA_S6_PS5_21rocsparse_index_base_b
                                        ; -- End function
	.set _ZN9rocsparseL19gebsrmvn_3xn_kernelILj128ELj1ELj4E21rocsparse_complex_numIfEEEvi20rocsparse_direction_NS_24const_host_device_scalarIT2_EEPKiS8_PKS5_SA_S6_PS5_21rocsparse_index_base_b.num_vgpr, 27
	.set _ZN9rocsparseL19gebsrmvn_3xn_kernelILj128ELj1ELj4E21rocsparse_complex_numIfEEEvi20rocsparse_direction_NS_24const_host_device_scalarIT2_EEPKiS8_PKS5_SA_S6_PS5_21rocsparse_index_base_b.num_agpr, 0
	.set _ZN9rocsparseL19gebsrmvn_3xn_kernelILj128ELj1ELj4E21rocsparse_complex_numIfEEEvi20rocsparse_direction_NS_24const_host_device_scalarIT2_EEPKiS8_PKS5_SA_S6_PS5_21rocsparse_index_base_b.numbered_sgpr, 16
	.set _ZN9rocsparseL19gebsrmvn_3xn_kernelILj128ELj1ELj4E21rocsparse_complex_numIfEEEvi20rocsparse_direction_NS_24const_host_device_scalarIT2_EEPKiS8_PKS5_SA_S6_PS5_21rocsparse_index_base_b.num_named_barrier, 0
	.set _ZN9rocsparseL19gebsrmvn_3xn_kernelILj128ELj1ELj4E21rocsparse_complex_numIfEEEvi20rocsparse_direction_NS_24const_host_device_scalarIT2_EEPKiS8_PKS5_SA_S6_PS5_21rocsparse_index_base_b.private_seg_size, 0
	.set _ZN9rocsparseL19gebsrmvn_3xn_kernelILj128ELj1ELj4E21rocsparse_complex_numIfEEEvi20rocsparse_direction_NS_24const_host_device_scalarIT2_EEPKiS8_PKS5_SA_S6_PS5_21rocsparse_index_base_b.uses_vcc, 1
	.set _ZN9rocsparseL19gebsrmvn_3xn_kernelILj128ELj1ELj4E21rocsparse_complex_numIfEEEvi20rocsparse_direction_NS_24const_host_device_scalarIT2_EEPKiS8_PKS5_SA_S6_PS5_21rocsparse_index_base_b.uses_flat_scratch, 0
	.set _ZN9rocsparseL19gebsrmvn_3xn_kernelILj128ELj1ELj4E21rocsparse_complex_numIfEEEvi20rocsparse_direction_NS_24const_host_device_scalarIT2_EEPKiS8_PKS5_SA_S6_PS5_21rocsparse_index_base_b.has_dyn_sized_stack, 0
	.set _ZN9rocsparseL19gebsrmvn_3xn_kernelILj128ELj1ELj4E21rocsparse_complex_numIfEEEvi20rocsparse_direction_NS_24const_host_device_scalarIT2_EEPKiS8_PKS5_SA_S6_PS5_21rocsparse_index_base_b.has_recursion, 0
	.set _ZN9rocsparseL19gebsrmvn_3xn_kernelILj128ELj1ELj4E21rocsparse_complex_numIfEEEvi20rocsparse_direction_NS_24const_host_device_scalarIT2_EEPKiS8_PKS5_SA_S6_PS5_21rocsparse_index_base_b.has_indirect_call, 0
	.section	.AMDGPU.csdata,"",@progbits
; Kernel info:
; codeLenInByte = 1612
; TotalNumSgprs: 18
; NumVgprs: 27
; ScratchSize: 0
; MemoryBound: 0
; FloatMode: 240
; IeeeMode: 1
; LDSByteSize: 0 bytes/workgroup (compile time only)
; SGPRBlocks: 0
; VGPRBlocks: 3
; NumSGPRsForWavesPerEU: 18
; NumVGPRsForWavesPerEU: 27
; Occupancy: 16
; WaveLimiterHint : 1
; COMPUTE_PGM_RSRC2:SCRATCH_EN: 0
; COMPUTE_PGM_RSRC2:USER_SGPR: 6
; COMPUTE_PGM_RSRC2:TRAP_HANDLER: 0
; COMPUTE_PGM_RSRC2:TGID_X_EN: 1
; COMPUTE_PGM_RSRC2:TGID_Y_EN: 0
; COMPUTE_PGM_RSRC2:TGID_Z_EN: 0
; COMPUTE_PGM_RSRC2:TIDIG_COMP_CNT: 0
	.section	.text._ZN9rocsparseL19gebsrmvn_3xn_kernelILj128ELj1ELj8E21rocsparse_complex_numIfEEEvi20rocsparse_direction_NS_24const_host_device_scalarIT2_EEPKiS8_PKS5_SA_S6_PS5_21rocsparse_index_base_b,"axG",@progbits,_ZN9rocsparseL19gebsrmvn_3xn_kernelILj128ELj1ELj8E21rocsparse_complex_numIfEEEvi20rocsparse_direction_NS_24const_host_device_scalarIT2_EEPKiS8_PKS5_SA_S6_PS5_21rocsparse_index_base_b,comdat
	.globl	_ZN9rocsparseL19gebsrmvn_3xn_kernelILj128ELj1ELj8E21rocsparse_complex_numIfEEEvi20rocsparse_direction_NS_24const_host_device_scalarIT2_EEPKiS8_PKS5_SA_S6_PS5_21rocsparse_index_base_b ; -- Begin function _ZN9rocsparseL19gebsrmvn_3xn_kernelILj128ELj1ELj8E21rocsparse_complex_numIfEEEvi20rocsparse_direction_NS_24const_host_device_scalarIT2_EEPKiS8_PKS5_SA_S6_PS5_21rocsparse_index_base_b
	.p2align	8
	.type	_ZN9rocsparseL19gebsrmvn_3xn_kernelILj128ELj1ELj8E21rocsparse_complex_numIfEEEvi20rocsparse_direction_NS_24const_host_device_scalarIT2_EEPKiS8_PKS5_SA_S6_PS5_21rocsparse_index_base_b,@function
_ZN9rocsparseL19gebsrmvn_3xn_kernelILj128ELj1ELj8E21rocsparse_complex_numIfEEEvi20rocsparse_direction_NS_24const_host_device_scalarIT2_EEPKiS8_PKS5_SA_S6_PS5_21rocsparse_index_base_b: ; @_ZN9rocsparseL19gebsrmvn_3xn_kernelILj128ELj1ELj8E21rocsparse_complex_numIfEEEvi20rocsparse_direction_NS_24const_host_device_scalarIT2_EEPKiS8_PKS5_SA_S6_PS5_21rocsparse_index_base_b
; %bb.0:
	s_clause 0x2
	s_load_dwordx2 s[2:3], s[4:5], 0x40
	s_load_dwordx2 s[0:1], s[4:5], 0x8
	;; [unrolled: 1-line block ×3, first 2 shown]
	s_add_u32 s7, s4, 8
	s_addc_u32 s10, s5, 0
	s_add_u32 s11, s4, 48
	s_addc_u32 s12, s5, 0
	s_waitcnt lgkmcnt(0)
	s_bitcmp1_b32 s3, 0
	s_cselect_b32 s0, s7, s0
	s_cselect_b32 s1, s10, s1
	v_mov_b32_e32 v1, s0
	v_mov_b32_e32 v2, s1
	s_cselect_b32 s0, s11, s8
	s_cselect_b32 s1, s12, s9
	v_mov_b32_e32 v3, s0
	v_mov_b32_e32 v4, s1
	flat_load_dwordx2 v[1:2], v[1:2]
	flat_load_dwordx2 v[3:4], v[3:4]
	s_waitcnt vmcnt(1) lgkmcnt(1)
	v_cmp_eq_f32_e32 vcc_lo, 0, v1
	v_cmp_eq_f32_e64 s0, 0, v2
	s_and_b32 s3, vcc_lo, s0
	s_mov_b32 s0, -1
	s_and_saveexec_b32 s1, s3
	s_cbranch_execz .LBB75_2
; %bb.1:
	s_waitcnt vmcnt(0) lgkmcnt(0)
	v_cmp_neq_f32_e32 vcc_lo, 1.0, v3
	v_cmp_neq_f32_e64 s0, 0, v4
	s_or_b32 s0, vcc_lo, s0
	s_orn2_b32 s0, s0, exec_lo
.LBB75_2:
	s_or_b32 exec_lo, exec_lo, s1
	s_and_saveexec_b32 s1, s0
	s_cbranch_execz .LBB75_21
; %bb.3:
	s_load_dwordx2 s[0:1], s[4:5], 0x0
	v_lshrrev_b32_e32 v5, 3, v0
	v_lshl_or_b32 v5, s6, 4, v5
	s_waitcnt lgkmcnt(0)
	v_cmp_gt_i32_e32 vcc_lo, s0, v5
	s_and_b32 exec_lo, exec_lo, vcc_lo
	s_cbranch_execz .LBB75_21
; %bb.4:
	s_load_dwordx8 s[8:15], s[4:5], 0x10
	v_ashrrev_i32_e32 v6, 31, v5
	v_and_b32_e32 v0, 7, v0
	s_cmp_lg_u32 s1, 0
	v_lshlrev_b64 v[6:7], 2, v[5:6]
	s_waitcnt lgkmcnt(0)
	v_add_co_u32 v6, vcc_lo, s8, v6
	v_add_co_ci_u32_e64 v7, null, s9, v7, vcc_lo
	global_load_dwordx2 v[6:7], v[6:7], off
	s_waitcnt vmcnt(0)
	v_subrev_nc_u32_e32 v6, s2, v6
	v_subrev_nc_u32_e32 v17, s2, v7
	v_add_nc_u32_e32 v6, v6, v0
	v_cmp_lt_i32_e64 s0, v6, v17
	s_cbranch_scc0 .LBB75_10
; %bb.5:
	v_mov_b32_e32 v11, 0
	v_mov_b32_e32 v12, 0
	v_mov_b32_e32 v13, 0
	v_mov_b32_e32 v14, 0
	v_mov_b32_e32 v15, 0
	v_mov_b32_e32 v16, 0
	s_and_saveexec_b32 s1, s0
	s_cbranch_execz .LBB75_9
; %bb.6:
	v_mov_b32_e32 v8, 0
	v_lshl_add_u32 v7, v6, 1, v6
	v_mov_b32_e32 v9, v6
	s_mov_b32 s3, 0
	v_mov_b32_e32 v11, v8
	v_mov_b32_e32 v12, v8
	;; [unrolled: 1-line block ×6, first 2 shown]
.LBB75_7:                               ; =>This Inner Loop Header: Depth=1
	v_ashrrev_i32_e32 v10, 31, v9
	v_add_nc_u32_e32 v20, 2, v7
	v_mov_b32_e32 v21, v8
	v_lshlrev_b64 v[22:23], 3, v[7:8]
	v_mov_b32_e32 v24, v8
	v_lshlrev_b64 v[18:19], 2, v[9:10]
	v_add_nc_u32_e32 v9, 8, v9
	v_lshlrev_b64 v[20:21], 3, v[20:21]
	v_add_co_u32 v18, vcc_lo, s10, v18
	v_add_co_ci_u32_e64 v19, null, s11, v19, vcc_lo
	v_add_co_u32 v22, vcc_lo, s12, v22
	v_add_co_ci_u32_e64 v23, null, s13, v23, vcc_lo
	global_load_dword v10, v[18:19], off
	v_add_nc_u32_e32 v18, 1, v7
	v_mov_b32_e32 v19, v8
	v_add_nc_u32_e32 v7, 24, v7
	v_lshlrev_b64 v[18:19], 3, v[18:19]
	v_add_co_u32 v18, vcc_lo, s12, v18
	v_add_co_ci_u32_e64 v19, null, s13, v19, vcc_lo
	v_add_co_u32 v20, vcc_lo, s12, v20
	v_add_co_ci_u32_e64 v21, null, s13, v21, vcc_lo
	s_clause 0x2
	global_load_dwordx2 v[25:26], v[22:23], off
	global_load_dwordx2 v[18:19], v[18:19], off
	;; [unrolled: 1-line block ×3, first 2 shown]
	s_waitcnt vmcnt(3)
	v_subrev_nc_u32_e32 v23, s2, v10
	v_lshlrev_b64 v[22:23], 3, v[23:24]
	v_add_co_u32 v22, vcc_lo, s14, v22
	v_add_co_ci_u32_e64 v23, null, s15, v23, vcc_lo
	v_cmp_ge_i32_e32 vcc_lo, v9, v17
	global_load_dwordx2 v[22:23], v[22:23], off
	s_or_b32 s3, vcc_lo, s3
	s_waitcnt vmcnt(0)
	v_fmac_f32_e32 v12, v25, v22
	v_fmac_f32_e32 v11, v26, v22
	;; [unrolled: 1-line block ×6, first 2 shown]
	v_fma_f32 v12, -v26, v23, v12
	v_fmac_f32_e32 v11, v25, v23
	v_fma_f32 v15, -v19, v23, v15
	v_fmac_f32_e32 v16, v18, v23
	;; [unrolled: 2-line block ×3, first 2 shown]
	s_andn2_b32 exec_lo, exec_lo, s3
	s_cbranch_execnz .LBB75_7
; %bb.8:
	s_or_b32 exec_lo, exec_lo, s3
.LBB75_9:
	s_or_b32 exec_lo, exec_lo, s1
	s_cbranch_execz .LBB75_11
	s_branch .LBB75_16
.LBB75_10:
                                        ; implicit-def: $vgpr11
                                        ; implicit-def: $vgpr12
                                        ; implicit-def: $vgpr13
                                        ; implicit-def: $vgpr14
                                        ; implicit-def: $vgpr15
                                        ; implicit-def: $vgpr16
.LBB75_11:
	v_mov_b32_e32 v11, 0
	v_mov_b32_e32 v12, 0
	;; [unrolled: 1-line block ×6, first 2 shown]
	s_and_saveexec_b32 s1, s0
	s_cbranch_execz .LBB75_15
; %bb.12:
	v_mov_b32_e32 v9, 0
	v_lshl_add_u32 v8, v6, 1, v6
	s_mov_b32 s0, 0
	v_mov_b32_e32 v11, v9
	v_mov_b32_e32 v12, v9
	v_mov_b32_e32 v13, v9
	v_mov_b32_e32 v14, v9
	v_mov_b32_e32 v15, v9
	v_mov_b32_e32 v16, v9
.LBB75_13:                              ; =>This Inner Loop Header: Depth=1
	v_ashrrev_i32_e32 v7, 31, v6
	v_add_nc_u32_e32 v20, 2, v8
	v_mov_b32_e32 v21, v9
	v_lshlrev_b64 v[22:23], 3, v[8:9]
	v_mov_b32_e32 v24, v9
	v_lshlrev_b64 v[18:19], 2, v[6:7]
	v_add_nc_u32_e32 v6, 8, v6
	v_lshlrev_b64 v[20:21], 3, v[20:21]
	v_add_co_u32 v18, vcc_lo, s10, v18
	v_add_co_ci_u32_e64 v19, null, s11, v19, vcc_lo
	v_add_co_u32 v22, vcc_lo, s12, v22
	v_add_co_ci_u32_e64 v23, null, s13, v23, vcc_lo
	global_load_dword v7, v[18:19], off
	v_add_nc_u32_e32 v18, 1, v8
	v_mov_b32_e32 v19, v9
	v_add_nc_u32_e32 v8, 24, v8
	v_lshlrev_b64 v[18:19], 3, v[18:19]
	v_add_co_u32 v18, vcc_lo, s12, v18
	v_add_co_ci_u32_e64 v19, null, s13, v19, vcc_lo
	v_add_co_u32 v20, vcc_lo, s12, v20
	v_add_co_ci_u32_e64 v21, null, s13, v21, vcc_lo
	s_clause 0x2
	global_load_dwordx2 v[25:26], v[22:23], off
	global_load_dwordx2 v[18:19], v[18:19], off
	global_load_dwordx2 v[20:21], v[20:21], off
	s_waitcnt vmcnt(3)
	v_subrev_nc_u32_e32 v23, s2, v7
	v_lshlrev_b64 v[22:23], 3, v[23:24]
	v_add_co_u32 v22, vcc_lo, s14, v22
	v_add_co_ci_u32_e64 v23, null, s15, v23, vcc_lo
	v_cmp_ge_i32_e32 vcc_lo, v6, v17
	global_load_dwordx2 v[22:23], v[22:23], off
	s_or_b32 s0, vcc_lo, s0
	s_waitcnt vmcnt(0)
	v_fmac_f32_e32 v12, v25, v22
	v_fmac_f32_e32 v11, v26, v22
	;; [unrolled: 1-line block ×6, first 2 shown]
	v_fma_f32 v12, -v26, v23, v12
	v_fmac_f32_e32 v11, v25, v23
	v_fma_f32 v15, -v19, v23, v15
	v_fmac_f32_e32 v16, v18, v23
	v_fma_f32 v13, -v21, v23, v13
	v_fmac_f32_e32 v14, v20, v23
	s_andn2_b32 exec_lo, exec_lo, s0
	s_cbranch_execnz .LBB75_13
; %bb.14:
	s_or_b32 exec_lo, exec_lo, s0
.LBB75_15:
	s_or_b32 exec_lo, exec_lo, s1
.LBB75_16:
	v_mbcnt_lo_u32_b32 v6, -1, 0
	v_xor_b32_e32 v7, 4, v6
	v_xor_b32_e32 v19, 2, v6
	v_cmp_gt_i32_e32 vcc_lo, 32, v7
	v_cndmask_b32_e32 v7, v6, v7, vcc_lo
	v_cmp_gt_i32_e32 vcc_lo, 32, v19
	v_lshlrev_b32_e32 v7, 2, v7
	v_cndmask_b32_e32 v19, v6, v19, vcc_lo
	ds_bpermute_b32 v8, v7, v12
	ds_bpermute_b32 v9, v7, v11
	;; [unrolled: 1-line block ×6, first 2 shown]
	v_lshlrev_b32_e32 v19, 2, v19
	s_waitcnt lgkmcnt(5)
	v_add_f32_e32 v8, v12, v8
	s_waitcnt lgkmcnt(4)
	v_add_f32_e32 v9, v11, v9
	;; [unrolled: 2-line block ×6, first 2 shown]
	ds_bpermute_b32 v7, v19, v8
	ds_bpermute_b32 v11, v19, v9
	;; [unrolled: 1-line block ×6, first 2 shown]
	v_xor_b32_e32 v19, 1, v6
	v_cmp_gt_i32_e32 vcc_lo, 32, v19
	v_cndmask_b32_e32 v6, v6, v19, vcc_lo
	v_cmp_eq_u32_e32 vcc_lo, 7, v0
	v_lshlrev_b32_e32 v19, 2, v6
	s_waitcnt lgkmcnt(5)
	v_add_f32_e32 v6, v8, v7
	s_waitcnt lgkmcnt(4)
	v_add_f32_e32 v9, v9, v11
	;; [unrolled: 2-line block ×6, first 2 shown]
	ds_bpermute_b32 v10, v19, v6
	ds_bpermute_b32 v15, v19, v9
	;; [unrolled: 1-line block ×6, first 2 shown]
	s_and_b32 exec_lo, exec_lo, vcc_lo
	s_cbranch_execz .LBB75_21
; %bb.17:
	s_load_dwordx2 s[2:3], s[4:5], 0x38
	v_cmp_eq_f32_e32 vcc_lo, 0, v3
	v_cmp_eq_f32_e64 s0, 0, v4
	s_waitcnt lgkmcnt(0)
	v_add_f32_e32 v0, v6, v10
	v_add_f32_e32 v10, v9, v15
	;; [unrolled: 1-line block ×6, first 2 shown]
	s_and_b32 s0, vcc_lo, s0
	s_and_saveexec_b32 s1, s0
	s_xor_b32 s0, exec_lo, s1
	s_cbranch_execz .LBB75_19
; %bb.18:
	v_lshl_add_u32 v3, v5, 1, v5
	v_mul_f32_e64 v11, v10, -v2
	v_mul_f32_e32 v12, v1, v10
	v_mul_f32_e64 v13, v9, -v2
	v_mul_f32_e32 v14, v1, v9
	v_ashrrev_i32_e32 v4, 31, v3
	v_mul_f32_e64 v9, v8, -v2
	v_mul_f32_e32 v10, v1, v8
	v_fmac_f32_e32 v11, v1, v0
	v_fmac_f32_e32 v12, v2, v0
	v_lshlrev_b64 v[3:4], 3, v[3:4]
	v_fmac_f32_e32 v13, v1, v6
	v_fmac_f32_e32 v14, v2, v6
	v_fmac_f32_e32 v9, v1, v7
	v_fmac_f32_e32 v10, v2, v7
                                        ; implicit-def: $vgpr5
                                        ; implicit-def: $vgpr0
                                        ; implicit-def: $vgpr6
                                        ; implicit-def: $vgpr7
                                        ; implicit-def: $vgpr8
                                        ; implicit-def: $vgpr1_vgpr2
	v_add_co_u32 v3, vcc_lo, s2, v3
	v_add_co_ci_u32_e64 v4, null, s3, v4, vcc_lo
	global_store_dwordx4 v[3:4], v[11:14], off
	global_store_dwordx2 v[3:4], v[9:10], off offset:16
                                        ; implicit-def: $vgpr10
                                        ; implicit-def: $vgpr9
                                        ; implicit-def: $vgpr3_vgpr4
.LBB75_19:
	s_andn2_saveexec_b32 s0, s0
	s_cbranch_execz .LBB75_21
; %bb.20:
	v_lshl_add_u32 v11, v5, 1, v5
	v_mul_f32_e64 v15, v10, -v2
	v_mul_f32_e32 v16, v1, v10
	v_mul_f32_e64 v10, v9, -v2
	v_mul_f32_e32 v18, v1, v9
	v_ashrrev_i32_e32 v12, 31, v11
	v_mul_f32_e64 v9, v8, -v2
	v_mul_f32_e32 v5, v1, v8
	v_fmac_f32_e32 v15, v1, v0
	v_fmac_f32_e32 v16, v2, v0
	v_lshlrev_b64 v[11:12], 3, v[11:12]
	v_fmac_f32_e32 v10, v1, v6
	v_fmac_f32_e32 v18, v2, v6
	;; [unrolled: 1-line block ×4, first 2 shown]
	v_add_co_u32 v19, vcc_lo, s2, v11
	v_add_co_ci_u32_e64 v20, null, s3, v12, vcc_lo
	s_clause 0x1
	global_load_dwordx4 v[11:14], v[19:20], off
	global_load_dwordx2 v[21:22], v[19:20], off offset:16
	s_waitcnt vmcnt(1)
	v_fmac_f32_e32 v15, v3, v11
	v_fmac_f32_e32 v16, v4, v11
	v_fmac_f32_e32 v10, v3, v13
	v_fmac_f32_e32 v18, v4, v13
	s_waitcnt vmcnt(0)
	v_fmac_f32_e32 v9, v3, v21
	v_fmac_f32_e32 v5, v4, v21
	v_fma_f32 v15, -v4, v12, v15
	v_fmac_f32_e32 v16, v3, v12
	v_fma_f32 v17, -v4, v14, v10
	;; [unrolled: 2-line block ×3, first 2 shown]
	v_fmac_f32_e32 v5, v3, v22
	global_store_dwordx4 v[19:20], v[15:18], off
	global_store_dwordx2 v[19:20], v[4:5], off offset:16
.LBB75_21:
	s_endpgm
	.section	.rodata,"a",@progbits
	.p2align	6, 0x0
	.amdhsa_kernel _ZN9rocsparseL19gebsrmvn_3xn_kernelILj128ELj1ELj8E21rocsparse_complex_numIfEEEvi20rocsparse_direction_NS_24const_host_device_scalarIT2_EEPKiS8_PKS5_SA_S6_PS5_21rocsparse_index_base_b
		.amdhsa_group_segment_fixed_size 0
		.amdhsa_private_segment_fixed_size 0
		.amdhsa_kernarg_size 72
		.amdhsa_user_sgpr_count 6
		.amdhsa_user_sgpr_private_segment_buffer 1
		.amdhsa_user_sgpr_dispatch_ptr 0
		.amdhsa_user_sgpr_queue_ptr 0
		.amdhsa_user_sgpr_kernarg_segment_ptr 1
		.amdhsa_user_sgpr_dispatch_id 0
		.amdhsa_user_sgpr_flat_scratch_init 0
		.amdhsa_user_sgpr_private_segment_size 0
		.amdhsa_wavefront_size32 1
		.amdhsa_uses_dynamic_stack 0
		.amdhsa_system_sgpr_private_segment_wavefront_offset 0
		.amdhsa_system_sgpr_workgroup_id_x 1
		.amdhsa_system_sgpr_workgroup_id_y 0
		.amdhsa_system_sgpr_workgroup_id_z 0
		.amdhsa_system_sgpr_workgroup_info 0
		.amdhsa_system_vgpr_workitem_id 0
		.amdhsa_next_free_vgpr 27
		.amdhsa_next_free_sgpr 16
		.amdhsa_reserve_vcc 1
		.amdhsa_reserve_flat_scratch 0
		.amdhsa_float_round_mode_32 0
		.amdhsa_float_round_mode_16_64 0
		.amdhsa_float_denorm_mode_32 3
		.amdhsa_float_denorm_mode_16_64 3
		.amdhsa_dx10_clamp 1
		.amdhsa_ieee_mode 1
		.amdhsa_fp16_overflow 0
		.amdhsa_workgroup_processor_mode 1
		.amdhsa_memory_ordered 1
		.amdhsa_forward_progress 1
		.amdhsa_shared_vgpr_count 0
		.amdhsa_exception_fp_ieee_invalid_op 0
		.amdhsa_exception_fp_denorm_src 0
		.amdhsa_exception_fp_ieee_div_zero 0
		.amdhsa_exception_fp_ieee_overflow 0
		.amdhsa_exception_fp_ieee_underflow 0
		.amdhsa_exception_fp_ieee_inexact 0
		.amdhsa_exception_int_div_zero 0
	.end_amdhsa_kernel
	.section	.text._ZN9rocsparseL19gebsrmvn_3xn_kernelILj128ELj1ELj8E21rocsparse_complex_numIfEEEvi20rocsparse_direction_NS_24const_host_device_scalarIT2_EEPKiS8_PKS5_SA_S6_PS5_21rocsparse_index_base_b,"axG",@progbits,_ZN9rocsparseL19gebsrmvn_3xn_kernelILj128ELj1ELj8E21rocsparse_complex_numIfEEEvi20rocsparse_direction_NS_24const_host_device_scalarIT2_EEPKiS8_PKS5_SA_S6_PS5_21rocsparse_index_base_b,comdat
.Lfunc_end75:
	.size	_ZN9rocsparseL19gebsrmvn_3xn_kernelILj128ELj1ELj8E21rocsparse_complex_numIfEEEvi20rocsparse_direction_NS_24const_host_device_scalarIT2_EEPKiS8_PKS5_SA_S6_PS5_21rocsparse_index_base_b, .Lfunc_end75-_ZN9rocsparseL19gebsrmvn_3xn_kernelILj128ELj1ELj8E21rocsparse_complex_numIfEEEvi20rocsparse_direction_NS_24const_host_device_scalarIT2_EEPKiS8_PKS5_SA_S6_PS5_21rocsparse_index_base_b
                                        ; -- End function
	.set _ZN9rocsparseL19gebsrmvn_3xn_kernelILj128ELj1ELj8E21rocsparse_complex_numIfEEEvi20rocsparse_direction_NS_24const_host_device_scalarIT2_EEPKiS8_PKS5_SA_S6_PS5_21rocsparse_index_base_b.num_vgpr, 27
	.set _ZN9rocsparseL19gebsrmvn_3xn_kernelILj128ELj1ELj8E21rocsparse_complex_numIfEEEvi20rocsparse_direction_NS_24const_host_device_scalarIT2_EEPKiS8_PKS5_SA_S6_PS5_21rocsparse_index_base_b.num_agpr, 0
	.set _ZN9rocsparseL19gebsrmvn_3xn_kernelILj128ELj1ELj8E21rocsparse_complex_numIfEEEvi20rocsparse_direction_NS_24const_host_device_scalarIT2_EEPKiS8_PKS5_SA_S6_PS5_21rocsparse_index_base_b.numbered_sgpr, 16
	.set _ZN9rocsparseL19gebsrmvn_3xn_kernelILj128ELj1ELj8E21rocsparse_complex_numIfEEEvi20rocsparse_direction_NS_24const_host_device_scalarIT2_EEPKiS8_PKS5_SA_S6_PS5_21rocsparse_index_base_b.num_named_barrier, 0
	.set _ZN9rocsparseL19gebsrmvn_3xn_kernelILj128ELj1ELj8E21rocsparse_complex_numIfEEEvi20rocsparse_direction_NS_24const_host_device_scalarIT2_EEPKiS8_PKS5_SA_S6_PS5_21rocsparse_index_base_b.private_seg_size, 0
	.set _ZN9rocsparseL19gebsrmvn_3xn_kernelILj128ELj1ELj8E21rocsparse_complex_numIfEEEvi20rocsparse_direction_NS_24const_host_device_scalarIT2_EEPKiS8_PKS5_SA_S6_PS5_21rocsparse_index_base_b.uses_vcc, 1
	.set _ZN9rocsparseL19gebsrmvn_3xn_kernelILj128ELj1ELj8E21rocsparse_complex_numIfEEEvi20rocsparse_direction_NS_24const_host_device_scalarIT2_EEPKiS8_PKS5_SA_S6_PS5_21rocsparse_index_base_b.uses_flat_scratch, 0
	.set _ZN9rocsparseL19gebsrmvn_3xn_kernelILj128ELj1ELj8E21rocsparse_complex_numIfEEEvi20rocsparse_direction_NS_24const_host_device_scalarIT2_EEPKiS8_PKS5_SA_S6_PS5_21rocsparse_index_base_b.has_dyn_sized_stack, 0
	.set _ZN9rocsparseL19gebsrmvn_3xn_kernelILj128ELj1ELj8E21rocsparse_complex_numIfEEEvi20rocsparse_direction_NS_24const_host_device_scalarIT2_EEPKiS8_PKS5_SA_S6_PS5_21rocsparse_index_base_b.has_recursion, 0
	.set _ZN9rocsparseL19gebsrmvn_3xn_kernelILj128ELj1ELj8E21rocsparse_complex_numIfEEEvi20rocsparse_direction_NS_24const_host_device_scalarIT2_EEPKiS8_PKS5_SA_S6_PS5_21rocsparse_index_base_b.has_indirect_call, 0
	.section	.AMDGPU.csdata,"",@progbits
; Kernel info:
; codeLenInByte = 1724
; TotalNumSgprs: 18
; NumVgprs: 27
; ScratchSize: 0
; MemoryBound: 0
; FloatMode: 240
; IeeeMode: 1
; LDSByteSize: 0 bytes/workgroup (compile time only)
; SGPRBlocks: 0
; VGPRBlocks: 3
; NumSGPRsForWavesPerEU: 18
; NumVGPRsForWavesPerEU: 27
; Occupancy: 16
; WaveLimiterHint : 1
; COMPUTE_PGM_RSRC2:SCRATCH_EN: 0
; COMPUTE_PGM_RSRC2:USER_SGPR: 6
; COMPUTE_PGM_RSRC2:TRAP_HANDLER: 0
; COMPUTE_PGM_RSRC2:TGID_X_EN: 1
; COMPUTE_PGM_RSRC2:TGID_Y_EN: 0
; COMPUTE_PGM_RSRC2:TGID_Z_EN: 0
; COMPUTE_PGM_RSRC2:TIDIG_COMP_CNT: 0
	.section	.text._ZN9rocsparseL19gebsrmvn_3xn_kernelILj128ELj1ELj16E21rocsparse_complex_numIfEEEvi20rocsparse_direction_NS_24const_host_device_scalarIT2_EEPKiS8_PKS5_SA_S6_PS5_21rocsparse_index_base_b,"axG",@progbits,_ZN9rocsparseL19gebsrmvn_3xn_kernelILj128ELj1ELj16E21rocsparse_complex_numIfEEEvi20rocsparse_direction_NS_24const_host_device_scalarIT2_EEPKiS8_PKS5_SA_S6_PS5_21rocsparse_index_base_b,comdat
	.globl	_ZN9rocsparseL19gebsrmvn_3xn_kernelILj128ELj1ELj16E21rocsparse_complex_numIfEEEvi20rocsparse_direction_NS_24const_host_device_scalarIT2_EEPKiS8_PKS5_SA_S6_PS5_21rocsparse_index_base_b ; -- Begin function _ZN9rocsparseL19gebsrmvn_3xn_kernelILj128ELj1ELj16E21rocsparse_complex_numIfEEEvi20rocsparse_direction_NS_24const_host_device_scalarIT2_EEPKiS8_PKS5_SA_S6_PS5_21rocsparse_index_base_b
	.p2align	8
	.type	_ZN9rocsparseL19gebsrmvn_3xn_kernelILj128ELj1ELj16E21rocsparse_complex_numIfEEEvi20rocsparse_direction_NS_24const_host_device_scalarIT2_EEPKiS8_PKS5_SA_S6_PS5_21rocsparse_index_base_b,@function
_ZN9rocsparseL19gebsrmvn_3xn_kernelILj128ELj1ELj16E21rocsparse_complex_numIfEEEvi20rocsparse_direction_NS_24const_host_device_scalarIT2_EEPKiS8_PKS5_SA_S6_PS5_21rocsparse_index_base_b: ; @_ZN9rocsparseL19gebsrmvn_3xn_kernelILj128ELj1ELj16E21rocsparse_complex_numIfEEEvi20rocsparse_direction_NS_24const_host_device_scalarIT2_EEPKiS8_PKS5_SA_S6_PS5_21rocsparse_index_base_b
; %bb.0:
	s_clause 0x2
	s_load_dwordx2 s[2:3], s[4:5], 0x40
	s_load_dwordx2 s[0:1], s[4:5], 0x8
	s_load_dwordx2 s[8:9], s[4:5], 0x30
	s_add_u32 s7, s4, 8
	s_addc_u32 s10, s5, 0
	s_add_u32 s11, s4, 48
	s_addc_u32 s12, s5, 0
	s_waitcnt lgkmcnt(0)
	s_bitcmp1_b32 s3, 0
	s_cselect_b32 s0, s7, s0
	s_cselect_b32 s1, s10, s1
	v_mov_b32_e32 v1, s0
	v_mov_b32_e32 v2, s1
	s_cselect_b32 s0, s11, s8
	s_cselect_b32 s1, s12, s9
	v_mov_b32_e32 v3, s0
	v_mov_b32_e32 v4, s1
	flat_load_dwordx2 v[1:2], v[1:2]
	flat_load_dwordx2 v[3:4], v[3:4]
	s_waitcnt vmcnt(1) lgkmcnt(1)
	v_cmp_eq_f32_e32 vcc_lo, 0, v1
	v_cmp_eq_f32_e64 s0, 0, v2
	s_and_b32 s3, vcc_lo, s0
	s_mov_b32 s0, -1
	s_and_saveexec_b32 s1, s3
	s_cbranch_execz .LBB76_2
; %bb.1:
	s_waitcnt vmcnt(0) lgkmcnt(0)
	v_cmp_neq_f32_e32 vcc_lo, 1.0, v3
	v_cmp_neq_f32_e64 s0, 0, v4
	s_or_b32 s0, vcc_lo, s0
	s_orn2_b32 s0, s0, exec_lo
.LBB76_2:
	s_or_b32 exec_lo, exec_lo, s1
	s_and_saveexec_b32 s1, s0
	s_cbranch_execz .LBB76_21
; %bb.3:
	s_load_dwordx2 s[0:1], s[4:5], 0x0
	v_lshrrev_b32_e32 v5, 4, v0
	v_lshl_or_b32 v5, s6, 3, v5
	s_waitcnt lgkmcnt(0)
	v_cmp_gt_i32_e32 vcc_lo, s0, v5
	s_and_b32 exec_lo, exec_lo, vcc_lo
	s_cbranch_execz .LBB76_21
; %bb.4:
	s_load_dwordx8 s[8:15], s[4:5], 0x10
	v_ashrrev_i32_e32 v6, 31, v5
	v_and_b32_e32 v0, 15, v0
	s_cmp_lg_u32 s1, 0
	v_lshlrev_b64 v[6:7], 2, v[5:6]
	s_waitcnt lgkmcnt(0)
	v_add_co_u32 v6, vcc_lo, s8, v6
	v_add_co_ci_u32_e64 v7, null, s9, v7, vcc_lo
	global_load_dwordx2 v[6:7], v[6:7], off
	s_waitcnt vmcnt(0)
	v_subrev_nc_u32_e32 v6, s2, v6
	v_subrev_nc_u32_e32 v17, s2, v7
	v_add_nc_u32_e32 v6, v6, v0
	v_cmp_lt_i32_e64 s0, v6, v17
	s_cbranch_scc0 .LBB76_10
; %bb.5:
	v_mov_b32_e32 v11, 0
	v_mov_b32_e32 v12, 0
	;; [unrolled: 1-line block ×6, first 2 shown]
	s_and_saveexec_b32 s1, s0
	s_cbranch_execz .LBB76_9
; %bb.6:
	v_mov_b32_e32 v8, 0
	v_lshl_add_u32 v7, v6, 1, v6
	v_mov_b32_e32 v9, v6
	s_mov_b32 s3, 0
	v_mov_b32_e32 v11, v8
	v_mov_b32_e32 v12, v8
	;; [unrolled: 1-line block ×6, first 2 shown]
.LBB76_7:                               ; =>This Inner Loop Header: Depth=1
	v_ashrrev_i32_e32 v10, 31, v9
	v_add_nc_u32_e32 v20, 2, v7
	v_mov_b32_e32 v21, v8
	v_lshlrev_b64 v[22:23], 3, v[7:8]
	v_mov_b32_e32 v24, v8
	v_lshlrev_b64 v[18:19], 2, v[9:10]
	v_add_nc_u32_e32 v9, 16, v9
	v_lshlrev_b64 v[20:21], 3, v[20:21]
	v_add_co_u32 v18, vcc_lo, s10, v18
	v_add_co_ci_u32_e64 v19, null, s11, v19, vcc_lo
	v_add_co_u32 v22, vcc_lo, s12, v22
	v_add_co_ci_u32_e64 v23, null, s13, v23, vcc_lo
	global_load_dword v10, v[18:19], off
	v_add_nc_u32_e32 v18, 1, v7
	v_mov_b32_e32 v19, v8
	v_add_nc_u32_e32 v7, 48, v7
	v_lshlrev_b64 v[18:19], 3, v[18:19]
	v_add_co_u32 v18, vcc_lo, s12, v18
	v_add_co_ci_u32_e64 v19, null, s13, v19, vcc_lo
	v_add_co_u32 v20, vcc_lo, s12, v20
	v_add_co_ci_u32_e64 v21, null, s13, v21, vcc_lo
	s_clause 0x2
	global_load_dwordx2 v[25:26], v[22:23], off
	global_load_dwordx2 v[18:19], v[18:19], off
	global_load_dwordx2 v[20:21], v[20:21], off
	s_waitcnt vmcnt(3)
	v_subrev_nc_u32_e32 v23, s2, v10
	v_lshlrev_b64 v[22:23], 3, v[23:24]
	v_add_co_u32 v22, vcc_lo, s14, v22
	v_add_co_ci_u32_e64 v23, null, s15, v23, vcc_lo
	v_cmp_ge_i32_e32 vcc_lo, v9, v17
	global_load_dwordx2 v[22:23], v[22:23], off
	s_or_b32 s3, vcc_lo, s3
	s_waitcnt vmcnt(0)
	v_fmac_f32_e32 v12, v25, v22
	v_fmac_f32_e32 v11, v26, v22
	;; [unrolled: 1-line block ×6, first 2 shown]
	v_fma_f32 v12, -v26, v23, v12
	v_fmac_f32_e32 v11, v25, v23
	v_fma_f32 v15, -v19, v23, v15
	v_fmac_f32_e32 v16, v18, v23
	;; [unrolled: 2-line block ×3, first 2 shown]
	s_andn2_b32 exec_lo, exec_lo, s3
	s_cbranch_execnz .LBB76_7
; %bb.8:
	s_or_b32 exec_lo, exec_lo, s3
.LBB76_9:
	s_or_b32 exec_lo, exec_lo, s1
	s_cbranch_execz .LBB76_11
	s_branch .LBB76_16
.LBB76_10:
                                        ; implicit-def: $vgpr11
                                        ; implicit-def: $vgpr12
                                        ; implicit-def: $vgpr13
                                        ; implicit-def: $vgpr14
                                        ; implicit-def: $vgpr15
                                        ; implicit-def: $vgpr16
.LBB76_11:
	v_mov_b32_e32 v11, 0
	v_mov_b32_e32 v12, 0
	;; [unrolled: 1-line block ×6, first 2 shown]
	s_and_saveexec_b32 s1, s0
	s_cbranch_execz .LBB76_15
; %bb.12:
	v_mov_b32_e32 v9, 0
	v_lshl_add_u32 v8, v6, 1, v6
	s_mov_b32 s0, 0
	v_mov_b32_e32 v11, v9
	v_mov_b32_e32 v12, v9
	;; [unrolled: 1-line block ×6, first 2 shown]
.LBB76_13:                              ; =>This Inner Loop Header: Depth=1
	v_ashrrev_i32_e32 v7, 31, v6
	v_add_nc_u32_e32 v20, 2, v8
	v_mov_b32_e32 v21, v9
	v_lshlrev_b64 v[22:23], 3, v[8:9]
	v_mov_b32_e32 v24, v9
	v_lshlrev_b64 v[18:19], 2, v[6:7]
	v_add_nc_u32_e32 v6, 16, v6
	v_lshlrev_b64 v[20:21], 3, v[20:21]
	v_add_co_u32 v18, vcc_lo, s10, v18
	v_add_co_ci_u32_e64 v19, null, s11, v19, vcc_lo
	v_add_co_u32 v22, vcc_lo, s12, v22
	v_add_co_ci_u32_e64 v23, null, s13, v23, vcc_lo
	global_load_dword v7, v[18:19], off
	v_add_nc_u32_e32 v18, 1, v8
	v_mov_b32_e32 v19, v9
	v_add_nc_u32_e32 v8, 48, v8
	v_lshlrev_b64 v[18:19], 3, v[18:19]
	v_add_co_u32 v18, vcc_lo, s12, v18
	v_add_co_ci_u32_e64 v19, null, s13, v19, vcc_lo
	v_add_co_u32 v20, vcc_lo, s12, v20
	v_add_co_ci_u32_e64 v21, null, s13, v21, vcc_lo
	s_clause 0x2
	global_load_dwordx2 v[25:26], v[22:23], off
	global_load_dwordx2 v[18:19], v[18:19], off
	;; [unrolled: 1-line block ×3, first 2 shown]
	s_waitcnt vmcnt(3)
	v_subrev_nc_u32_e32 v23, s2, v7
	v_lshlrev_b64 v[22:23], 3, v[23:24]
	v_add_co_u32 v22, vcc_lo, s14, v22
	v_add_co_ci_u32_e64 v23, null, s15, v23, vcc_lo
	v_cmp_ge_i32_e32 vcc_lo, v6, v17
	global_load_dwordx2 v[22:23], v[22:23], off
	s_or_b32 s0, vcc_lo, s0
	s_waitcnt vmcnt(0)
	v_fmac_f32_e32 v12, v25, v22
	v_fmac_f32_e32 v11, v26, v22
	;; [unrolled: 1-line block ×6, first 2 shown]
	v_fma_f32 v12, -v26, v23, v12
	v_fmac_f32_e32 v11, v25, v23
	v_fma_f32 v15, -v19, v23, v15
	v_fmac_f32_e32 v16, v18, v23
	;; [unrolled: 2-line block ×3, first 2 shown]
	s_andn2_b32 exec_lo, exec_lo, s0
	s_cbranch_execnz .LBB76_13
; %bb.14:
	s_or_b32 exec_lo, exec_lo, s0
.LBB76_15:
	s_or_b32 exec_lo, exec_lo, s1
.LBB76_16:
	v_mbcnt_lo_u32_b32 v6, -1, 0
	v_xor_b32_e32 v7, 8, v6
	v_xor_b32_e32 v19, 4, v6
	v_cmp_gt_i32_e32 vcc_lo, 32, v7
	v_cndmask_b32_e32 v7, v6, v7, vcc_lo
	v_cmp_gt_i32_e32 vcc_lo, 32, v19
	v_lshlrev_b32_e32 v7, 2, v7
	v_cndmask_b32_e32 v19, v6, v19, vcc_lo
	ds_bpermute_b32 v8, v7, v12
	ds_bpermute_b32 v9, v7, v11
	;; [unrolled: 1-line block ×6, first 2 shown]
	v_lshlrev_b32_e32 v19, 2, v19
	s_waitcnt lgkmcnt(5)
	v_add_f32_e32 v8, v12, v8
	s_waitcnt lgkmcnt(4)
	v_add_f32_e32 v9, v11, v9
	;; [unrolled: 2-line block ×6, first 2 shown]
	ds_bpermute_b32 v13, v19, v8
	ds_bpermute_b32 v14, v19, v9
	;; [unrolled: 1-line block ×6, first 2 shown]
	v_xor_b32_e32 v19, 2, v6
	v_cmp_gt_i32_e32 vcc_lo, 32, v19
	v_cndmask_b32_e32 v19, v6, v19, vcc_lo
	s_waitcnt lgkmcnt(5)
	v_add_f32_e32 v8, v8, v13
	v_lshlrev_b32_e32 v19, 2, v19
	s_waitcnt lgkmcnt(4)
	v_add_f32_e32 v9, v9, v14
	s_waitcnt lgkmcnt(3)
	v_add_f32_e32 v10, v10, v15
	;; [unrolled: 2-line block ×5, first 2 shown]
	ds_bpermute_b32 v7, v19, v8
	ds_bpermute_b32 v11, v19, v9
	;; [unrolled: 1-line block ×6, first 2 shown]
	v_xor_b32_e32 v19, 1, v6
	v_cmp_gt_i32_e32 vcc_lo, 32, v19
	v_cndmask_b32_e32 v6, v6, v19, vcc_lo
	v_cmp_eq_u32_e32 vcc_lo, 15, v0
	v_lshlrev_b32_e32 v19, 2, v6
	s_waitcnt lgkmcnt(5)
	v_add_f32_e32 v6, v8, v7
	s_waitcnt lgkmcnt(4)
	v_add_f32_e32 v9, v9, v11
	;; [unrolled: 2-line block ×6, first 2 shown]
	ds_bpermute_b32 v10, v19, v6
	ds_bpermute_b32 v15, v19, v9
	ds_bpermute_b32 v16, v19, v11
	ds_bpermute_b32 v17, v19, v12
	ds_bpermute_b32 v13, v19, v7
	ds_bpermute_b32 v14, v19, v8
	s_and_b32 exec_lo, exec_lo, vcc_lo
	s_cbranch_execz .LBB76_21
; %bb.17:
	s_load_dwordx2 s[2:3], s[4:5], 0x38
	v_cmp_eq_f32_e32 vcc_lo, 0, v3
	v_cmp_eq_f32_e64 s0, 0, v4
	s_waitcnt lgkmcnt(0)
	v_add_f32_e32 v0, v6, v10
	v_add_f32_e32 v10, v9, v15
	v_add_f32_e32 v6, v11, v16
	v_add_f32_e32 v9, v12, v17
	v_add_f32_e32 v7, v7, v13
	v_add_f32_e32 v8, v8, v14
	s_and_b32 s0, vcc_lo, s0
	s_and_saveexec_b32 s1, s0
	s_xor_b32 s0, exec_lo, s1
	s_cbranch_execz .LBB76_19
; %bb.18:
	v_lshl_add_u32 v3, v5, 1, v5
	v_mul_f32_e64 v11, v10, -v2
	v_mul_f32_e32 v12, v1, v10
	v_mul_f32_e64 v13, v9, -v2
	v_mul_f32_e32 v14, v1, v9
	v_ashrrev_i32_e32 v4, 31, v3
	v_mul_f32_e64 v9, v8, -v2
	v_mul_f32_e32 v10, v1, v8
	v_fmac_f32_e32 v11, v1, v0
	v_fmac_f32_e32 v12, v2, v0
	v_lshlrev_b64 v[3:4], 3, v[3:4]
	v_fmac_f32_e32 v13, v1, v6
	v_fmac_f32_e32 v14, v2, v6
	;; [unrolled: 1-line block ×4, first 2 shown]
                                        ; implicit-def: $vgpr5
                                        ; implicit-def: $vgpr0
                                        ; implicit-def: $vgpr6
                                        ; implicit-def: $vgpr7
                                        ; implicit-def: $vgpr8
                                        ; implicit-def: $vgpr1_vgpr2
	v_add_co_u32 v3, vcc_lo, s2, v3
	v_add_co_ci_u32_e64 v4, null, s3, v4, vcc_lo
	global_store_dwordx4 v[3:4], v[11:14], off
	global_store_dwordx2 v[3:4], v[9:10], off offset:16
                                        ; implicit-def: $vgpr10
                                        ; implicit-def: $vgpr9
                                        ; implicit-def: $vgpr3_vgpr4
.LBB76_19:
	s_andn2_saveexec_b32 s0, s0
	s_cbranch_execz .LBB76_21
; %bb.20:
	v_lshl_add_u32 v11, v5, 1, v5
	v_mul_f32_e64 v15, v10, -v2
	v_mul_f32_e32 v16, v1, v10
	v_mul_f32_e64 v10, v9, -v2
	v_mul_f32_e32 v18, v1, v9
	v_ashrrev_i32_e32 v12, 31, v11
	v_mul_f32_e64 v9, v8, -v2
	v_mul_f32_e32 v5, v1, v8
	v_fmac_f32_e32 v15, v1, v0
	v_fmac_f32_e32 v16, v2, v0
	v_lshlrev_b64 v[11:12], 3, v[11:12]
	v_fmac_f32_e32 v10, v1, v6
	v_fmac_f32_e32 v18, v2, v6
	v_fmac_f32_e32 v9, v1, v7
	v_fmac_f32_e32 v5, v2, v7
	v_add_co_u32 v19, vcc_lo, s2, v11
	v_add_co_ci_u32_e64 v20, null, s3, v12, vcc_lo
	s_clause 0x1
	global_load_dwordx4 v[11:14], v[19:20], off
	global_load_dwordx2 v[21:22], v[19:20], off offset:16
	s_waitcnt vmcnt(1)
	v_fmac_f32_e32 v15, v3, v11
	v_fmac_f32_e32 v16, v4, v11
	;; [unrolled: 1-line block ×4, first 2 shown]
	s_waitcnt vmcnt(0)
	v_fmac_f32_e32 v9, v3, v21
	v_fmac_f32_e32 v5, v4, v21
	v_fma_f32 v15, -v4, v12, v15
	v_fmac_f32_e32 v16, v3, v12
	v_fma_f32 v17, -v4, v14, v10
	;; [unrolled: 2-line block ×3, first 2 shown]
	v_fmac_f32_e32 v5, v3, v22
	global_store_dwordx4 v[19:20], v[15:18], off
	global_store_dwordx2 v[19:20], v[4:5], off offset:16
.LBB76_21:
	s_endpgm
	.section	.rodata,"a",@progbits
	.p2align	6, 0x0
	.amdhsa_kernel _ZN9rocsparseL19gebsrmvn_3xn_kernelILj128ELj1ELj16E21rocsparse_complex_numIfEEEvi20rocsparse_direction_NS_24const_host_device_scalarIT2_EEPKiS8_PKS5_SA_S6_PS5_21rocsparse_index_base_b
		.amdhsa_group_segment_fixed_size 0
		.amdhsa_private_segment_fixed_size 0
		.amdhsa_kernarg_size 72
		.amdhsa_user_sgpr_count 6
		.amdhsa_user_sgpr_private_segment_buffer 1
		.amdhsa_user_sgpr_dispatch_ptr 0
		.amdhsa_user_sgpr_queue_ptr 0
		.amdhsa_user_sgpr_kernarg_segment_ptr 1
		.amdhsa_user_sgpr_dispatch_id 0
		.amdhsa_user_sgpr_flat_scratch_init 0
		.amdhsa_user_sgpr_private_segment_size 0
		.amdhsa_wavefront_size32 1
		.amdhsa_uses_dynamic_stack 0
		.amdhsa_system_sgpr_private_segment_wavefront_offset 0
		.amdhsa_system_sgpr_workgroup_id_x 1
		.amdhsa_system_sgpr_workgroup_id_y 0
		.amdhsa_system_sgpr_workgroup_id_z 0
		.amdhsa_system_sgpr_workgroup_info 0
		.amdhsa_system_vgpr_workitem_id 0
		.amdhsa_next_free_vgpr 27
		.amdhsa_next_free_sgpr 16
		.amdhsa_reserve_vcc 1
		.amdhsa_reserve_flat_scratch 0
		.amdhsa_float_round_mode_32 0
		.amdhsa_float_round_mode_16_64 0
		.amdhsa_float_denorm_mode_32 3
		.amdhsa_float_denorm_mode_16_64 3
		.amdhsa_dx10_clamp 1
		.amdhsa_ieee_mode 1
		.amdhsa_fp16_overflow 0
		.amdhsa_workgroup_processor_mode 1
		.amdhsa_memory_ordered 1
		.amdhsa_forward_progress 1
		.amdhsa_shared_vgpr_count 0
		.amdhsa_exception_fp_ieee_invalid_op 0
		.amdhsa_exception_fp_denorm_src 0
		.amdhsa_exception_fp_ieee_div_zero 0
		.amdhsa_exception_fp_ieee_overflow 0
		.amdhsa_exception_fp_ieee_underflow 0
		.amdhsa_exception_fp_ieee_inexact 0
		.amdhsa_exception_int_div_zero 0
	.end_amdhsa_kernel
	.section	.text._ZN9rocsparseL19gebsrmvn_3xn_kernelILj128ELj1ELj16E21rocsparse_complex_numIfEEEvi20rocsparse_direction_NS_24const_host_device_scalarIT2_EEPKiS8_PKS5_SA_S6_PS5_21rocsparse_index_base_b,"axG",@progbits,_ZN9rocsparseL19gebsrmvn_3xn_kernelILj128ELj1ELj16E21rocsparse_complex_numIfEEEvi20rocsparse_direction_NS_24const_host_device_scalarIT2_EEPKiS8_PKS5_SA_S6_PS5_21rocsparse_index_base_b,comdat
.Lfunc_end76:
	.size	_ZN9rocsparseL19gebsrmvn_3xn_kernelILj128ELj1ELj16E21rocsparse_complex_numIfEEEvi20rocsparse_direction_NS_24const_host_device_scalarIT2_EEPKiS8_PKS5_SA_S6_PS5_21rocsparse_index_base_b, .Lfunc_end76-_ZN9rocsparseL19gebsrmvn_3xn_kernelILj128ELj1ELj16E21rocsparse_complex_numIfEEEvi20rocsparse_direction_NS_24const_host_device_scalarIT2_EEPKiS8_PKS5_SA_S6_PS5_21rocsparse_index_base_b
                                        ; -- End function
	.set _ZN9rocsparseL19gebsrmvn_3xn_kernelILj128ELj1ELj16E21rocsparse_complex_numIfEEEvi20rocsparse_direction_NS_24const_host_device_scalarIT2_EEPKiS8_PKS5_SA_S6_PS5_21rocsparse_index_base_b.num_vgpr, 27
	.set _ZN9rocsparseL19gebsrmvn_3xn_kernelILj128ELj1ELj16E21rocsparse_complex_numIfEEEvi20rocsparse_direction_NS_24const_host_device_scalarIT2_EEPKiS8_PKS5_SA_S6_PS5_21rocsparse_index_base_b.num_agpr, 0
	.set _ZN9rocsparseL19gebsrmvn_3xn_kernelILj128ELj1ELj16E21rocsparse_complex_numIfEEEvi20rocsparse_direction_NS_24const_host_device_scalarIT2_EEPKiS8_PKS5_SA_S6_PS5_21rocsparse_index_base_b.numbered_sgpr, 16
	.set _ZN9rocsparseL19gebsrmvn_3xn_kernelILj128ELj1ELj16E21rocsparse_complex_numIfEEEvi20rocsparse_direction_NS_24const_host_device_scalarIT2_EEPKiS8_PKS5_SA_S6_PS5_21rocsparse_index_base_b.num_named_barrier, 0
	.set _ZN9rocsparseL19gebsrmvn_3xn_kernelILj128ELj1ELj16E21rocsparse_complex_numIfEEEvi20rocsparse_direction_NS_24const_host_device_scalarIT2_EEPKiS8_PKS5_SA_S6_PS5_21rocsparse_index_base_b.private_seg_size, 0
	.set _ZN9rocsparseL19gebsrmvn_3xn_kernelILj128ELj1ELj16E21rocsparse_complex_numIfEEEvi20rocsparse_direction_NS_24const_host_device_scalarIT2_EEPKiS8_PKS5_SA_S6_PS5_21rocsparse_index_base_b.uses_vcc, 1
	.set _ZN9rocsparseL19gebsrmvn_3xn_kernelILj128ELj1ELj16E21rocsparse_complex_numIfEEEvi20rocsparse_direction_NS_24const_host_device_scalarIT2_EEPKiS8_PKS5_SA_S6_PS5_21rocsparse_index_base_b.uses_flat_scratch, 0
	.set _ZN9rocsparseL19gebsrmvn_3xn_kernelILj128ELj1ELj16E21rocsparse_complex_numIfEEEvi20rocsparse_direction_NS_24const_host_device_scalarIT2_EEPKiS8_PKS5_SA_S6_PS5_21rocsparse_index_base_b.has_dyn_sized_stack, 0
	.set _ZN9rocsparseL19gebsrmvn_3xn_kernelILj128ELj1ELj16E21rocsparse_complex_numIfEEEvi20rocsparse_direction_NS_24const_host_device_scalarIT2_EEPKiS8_PKS5_SA_S6_PS5_21rocsparse_index_base_b.has_recursion, 0
	.set _ZN9rocsparseL19gebsrmvn_3xn_kernelILj128ELj1ELj16E21rocsparse_complex_numIfEEEvi20rocsparse_direction_NS_24const_host_device_scalarIT2_EEPKiS8_PKS5_SA_S6_PS5_21rocsparse_index_base_b.has_indirect_call, 0
	.section	.AMDGPU.csdata,"",@progbits
; Kernel info:
; codeLenInByte = 1836
; TotalNumSgprs: 18
; NumVgprs: 27
; ScratchSize: 0
; MemoryBound: 0
; FloatMode: 240
; IeeeMode: 1
; LDSByteSize: 0 bytes/workgroup (compile time only)
; SGPRBlocks: 0
; VGPRBlocks: 3
; NumSGPRsForWavesPerEU: 18
; NumVGPRsForWavesPerEU: 27
; Occupancy: 16
; WaveLimiterHint : 1
; COMPUTE_PGM_RSRC2:SCRATCH_EN: 0
; COMPUTE_PGM_RSRC2:USER_SGPR: 6
; COMPUTE_PGM_RSRC2:TRAP_HANDLER: 0
; COMPUTE_PGM_RSRC2:TGID_X_EN: 1
; COMPUTE_PGM_RSRC2:TGID_Y_EN: 0
; COMPUTE_PGM_RSRC2:TGID_Z_EN: 0
; COMPUTE_PGM_RSRC2:TIDIG_COMP_CNT: 0
	.section	.text._ZN9rocsparseL19gebsrmvn_3xn_kernelILj128ELj1ELj32E21rocsparse_complex_numIfEEEvi20rocsparse_direction_NS_24const_host_device_scalarIT2_EEPKiS8_PKS5_SA_S6_PS5_21rocsparse_index_base_b,"axG",@progbits,_ZN9rocsparseL19gebsrmvn_3xn_kernelILj128ELj1ELj32E21rocsparse_complex_numIfEEEvi20rocsparse_direction_NS_24const_host_device_scalarIT2_EEPKiS8_PKS5_SA_S6_PS5_21rocsparse_index_base_b,comdat
	.globl	_ZN9rocsparseL19gebsrmvn_3xn_kernelILj128ELj1ELj32E21rocsparse_complex_numIfEEEvi20rocsparse_direction_NS_24const_host_device_scalarIT2_EEPKiS8_PKS5_SA_S6_PS5_21rocsparse_index_base_b ; -- Begin function _ZN9rocsparseL19gebsrmvn_3xn_kernelILj128ELj1ELj32E21rocsparse_complex_numIfEEEvi20rocsparse_direction_NS_24const_host_device_scalarIT2_EEPKiS8_PKS5_SA_S6_PS5_21rocsparse_index_base_b
	.p2align	8
	.type	_ZN9rocsparseL19gebsrmvn_3xn_kernelILj128ELj1ELj32E21rocsparse_complex_numIfEEEvi20rocsparse_direction_NS_24const_host_device_scalarIT2_EEPKiS8_PKS5_SA_S6_PS5_21rocsparse_index_base_b,@function
_ZN9rocsparseL19gebsrmvn_3xn_kernelILj128ELj1ELj32E21rocsparse_complex_numIfEEEvi20rocsparse_direction_NS_24const_host_device_scalarIT2_EEPKiS8_PKS5_SA_S6_PS5_21rocsparse_index_base_b: ; @_ZN9rocsparseL19gebsrmvn_3xn_kernelILj128ELj1ELj32E21rocsparse_complex_numIfEEEvi20rocsparse_direction_NS_24const_host_device_scalarIT2_EEPKiS8_PKS5_SA_S6_PS5_21rocsparse_index_base_b
; %bb.0:
	s_clause 0x2
	s_load_dwordx2 s[2:3], s[4:5], 0x40
	s_load_dwordx2 s[0:1], s[4:5], 0x8
	;; [unrolled: 1-line block ×3, first 2 shown]
	s_add_u32 s7, s4, 8
	s_addc_u32 s10, s5, 0
	s_add_u32 s11, s4, 48
	s_addc_u32 s12, s5, 0
	s_waitcnt lgkmcnt(0)
	s_bitcmp1_b32 s3, 0
	s_cselect_b32 s0, s7, s0
	s_cselect_b32 s1, s10, s1
	v_mov_b32_e32 v1, s0
	v_mov_b32_e32 v2, s1
	s_cselect_b32 s0, s11, s8
	s_cselect_b32 s1, s12, s9
	v_mov_b32_e32 v3, s0
	v_mov_b32_e32 v4, s1
	flat_load_dwordx2 v[1:2], v[1:2]
	flat_load_dwordx2 v[3:4], v[3:4]
	s_waitcnt vmcnt(1) lgkmcnt(1)
	v_cmp_eq_f32_e32 vcc_lo, 0, v1
	v_cmp_eq_f32_e64 s0, 0, v2
	s_and_b32 s3, vcc_lo, s0
	s_mov_b32 s0, -1
	s_and_saveexec_b32 s1, s3
	s_cbranch_execz .LBB77_2
; %bb.1:
	s_waitcnt vmcnt(0) lgkmcnt(0)
	v_cmp_neq_f32_e32 vcc_lo, 1.0, v3
	v_cmp_neq_f32_e64 s0, 0, v4
	s_or_b32 s0, vcc_lo, s0
	s_orn2_b32 s0, s0, exec_lo
.LBB77_2:
	s_or_b32 exec_lo, exec_lo, s1
	s_and_saveexec_b32 s1, s0
	s_cbranch_execz .LBB77_21
; %bb.3:
	s_load_dwordx2 s[0:1], s[4:5], 0x0
	v_lshrrev_b32_e32 v5, 5, v0
	v_lshl_or_b32 v5, s6, 2, v5
	s_waitcnt lgkmcnt(0)
	v_cmp_gt_i32_e32 vcc_lo, s0, v5
	s_and_b32 exec_lo, exec_lo, vcc_lo
	s_cbranch_execz .LBB77_21
; %bb.4:
	s_load_dwordx8 s[8:15], s[4:5], 0x10
	v_ashrrev_i32_e32 v6, 31, v5
	v_and_b32_e32 v0, 31, v0
	s_cmp_lg_u32 s1, 0
	v_lshlrev_b64 v[6:7], 2, v[5:6]
	s_waitcnt lgkmcnt(0)
	v_add_co_u32 v6, vcc_lo, s8, v6
	v_add_co_ci_u32_e64 v7, null, s9, v7, vcc_lo
	global_load_dwordx2 v[6:7], v[6:7], off
	s_waitcnt vmcnt(0)
	v_subrev_nc_u32_e32 v6, s2, v6
	v_subrev_nc_u32_e32 v17, s2, v7
	v_add_nc_u32_e32 v6, v6, v0
	v_cmp_lt_i32_e64 s0, v6, v17
	s_cbranch_scc0 .LBB77_10
; %bb.5:
	v_mov_b32_e32 v11, 0
	v_mov_b32_e32 v12, 0
	;; [unrolled: 1-line block ×6, first 2 shown]
	s_and_saveexec_b32 s1, s0
	s_cbranch_execz .LBB77_9
; %bb.6:
	v_mov_b32_e32 v8, 0
	v_lshl_add_u32 v7, v6, 1, v6
	v_mov_b32_e32 v9, v6
	s_mov_b32 s3, 0
	v_mov_b32_e32 v11, v8
	v_mov_b32_e32 v12, v8
	;; [unrolled: 1-line block ×6, first 2 shown]
.LBB77_7:                               ; =>This Inner Loop Header: Depth=1
	v_ashrrev_i32_e32 v10, 31, v9
	v_add_nc_u32_e32 v20, 2, v7
	v_mov_b32_e32 v21, v8
	v_lshlrev_b64 v[22:23], 3, v[7:8]
	v_mov_b32_e32 v24, v8
	v_lshlrev_b64 v[18:19], 2, v[9:10]
	v_add_nc_u32_e32 v9, 32, v9
	v_lshlrev_b64 v[20:21], 3, v[20:21]
	v_add_co_u32 v18, vcc_lo, s10, v18
	v_add_co_ci_u32_e64 v19, null, s11, v19, vcc_lo
	v_add_co_u32 v22, vcc_lo, s12, v22
	v_add_co_ci_u32_e64 v23, null, s13, v23, vcc_lo
	global_load_dword v10, v[18:19], off
	v_add_nc_u32_e32 v18, 1, v7
	v_mov_b32_e32 v19, v8
	v_add_nc_u32_e32 v7, 0x60, v7
	v_lshlrev_b64 v[18:19], 3, v[18:19]
	v_add_co_u32 v18, vcc_lo, s12, v18
	v_add_co_ci_u32_e64 v19, null, s13, v19, vcc_lo
	v_add_co_u32 v20, vcc_lo, s12, v20
	v_add_co_ci_u32_e64 v21, null, s13, v21, vcc_lo
	s_clause 0x2
	global_load_dwordx2 v[25:26], v[22:23], off
	global_load_dwordx2 v[18:19], v[18:19], off
	;; [unrolled: 1-line block ×3, first 2 shown]
	s_waitcnt vmcnt(3)
	v_subrev_nc_u32_e32 v23, s2, v10
	v_lshlrev_b64 v[22:23], 3, v[23:24]
	v_add_co_u32 v22, vcc_lo, s14, v22
	v_add_co_ci_u32_e64 v23, null, s15, v23, vcc_lo
	v_cmp_ge_i32_e32 vcc_lo, v9, v17
	global_load_dwordx2 v[22:23], v[22:23], off
	s_or_b32 s3, vcc_lo, s3
	s_waitcnt vmcnt(0)
	v_fmac_f32_e32 v12, v25, v22
	v_fmac_f32_e32 v11, v26, v22
	v_fmac_f32_e32 v15, v18, v22
	v_fmac_f32_e32 v16, v19, v22
	v_fmac_f32_e32 v13, v20, v22
	v_fmac_f32_e32 v14, v21, v22
	v_fma_f32 v12, -v26, v23, v12
	v_fmac_f32_e32 v11, v25, v23
	v_fma_f32 v15, -v19, v23, v15
	v_fmac_f32_e32 v16, v18, v23
	;; [unrolled: 2-line block ×3, first 2 shown]
	s_andn2_b32 exec_lo, exec_lo, s3
	s_cbranch_execnz .LBB77_7
; %bb.8:
	s_or_b32 exec_lo, exec_lo, s3
.LBB77_9:
	s_or_b32 exec_lo, exec_lo, s1
	s_cbranch_execz .LBB77_11
	s_branch .LBB77_16
.LBB77_10:
                                        ; implicit-def: $vgpr11
                                        ; implicit-def: $vgpr12
                                        ; implicit-def: $vgpr13
                                        ; implicit-def: $vgpr14
                                        ; implicit-def: $vgpr15
                                        ; implicit-def: $vgpr16
.LBB77_11:
	v_mov_b32_e32 v11, 0
	v_mov_b32_e32 v12, 0
	;; [unrolled: 1-line block ×6, first 2 shown]
	s_and_saveexec_b32 s1, s0
	s_cbranch_execz .LBB77_15
; %bb.12:
	v_mov_b32_e32 v9, 0
	v_lshl_add_u32 v8, v6, 1, v6
	s_mov_b32 s0, 0
	v_mov_b32_e32 v11, v9
	v_mov_b32_e32 v12, v9
	;; [unrolled: 1-line block ×6, first 2 shown]
.LBB77_13:                              ; =>This Inner Loop Header: Depth=1
	v_ashrrev_i32_e32 v7, 31, v6
	v_add_nc_u32_e32 v20, 2, v8
	v_mov_b32_e32 v21, v9
	v_lshlrev_b64 v[22:23], 3, v[8:9]
	v_mov_b32_e32 v24, v9
	v_lshlrev_b64 v[18:19], 2, v[6:7]
	v_add_nc_u32_e32 v6, 32, v6
	v_lshlrev_b64 v[20:21], 3, v[20:21]
	v_add_co_u32 v18, vcc_lo, s10, v18
	v_add_co_ci_u32_e64 v19, null, s11, v19, vcc_lo
	v_add_co_u32 v22, vcc_lo, s12, v22
	v_add_co_ci_u32_e64 v23, null, s13, v23, vcc_lo
	global_load_dword v7, v[18:19], off
	v_add_nc_u32_e32 v18, 1, v8
	v_mov_b32_e32 v19, v9
	v_add_nc_u32_e32 v8, 0x60, v8
	v_lshlrev_b64 v[18:19], 3, v[18:19]
	v_add_co_u32 v18, vcc_lo, s12, v18
	v_add_co_ci_u32_e64 v19, null, s13, v19, vcc_lo
	v_add_co_u32 v20, vcc_lo, s12, v20
	v_add_co_ci_u32_e64 v21, null, s13, v21, vcc_lo
	s_clause 0x2
	global_load_dwordx2 v[25:26], v[22:23], off
	global_load_dwordx2 v[18:19], v[18:19], off
	;; [unrolled: 1-line block ×3, first 2 shown]
	s_waitcnt vmcnt(3)
	v_subrev_nc_u32_e32 v23, s2, v7
	v_lshlrev_b64 v[22:23], 3, v[23:24]
	v_add_co_u32 v22, vcc_lo, s14, v22
	v_add_co_ci_u32_e64 v23, null, s15, v23, vcc_lo
	v_cmp_ge_i32_e32 vcc_lo, v6, v17
	global_load_dwordx2 v[22:23], v[22:23], off
	s_or_b32 s0, vcc_lo, s0
	s_waitcnt vmcnt(0)
	v_fmac_f32_e32 v12, v25, v22
	v_fmac_f32_e32 v11, v26, v22
	;; [unrolled: 1-line block ×6, first 2 shown]
	v_fma_f32 v12, -v26, v23, v12
	v_fmac_f32_e32 v11, v25, v23
	v_fma_f32 v15, -v19, v23, v15
	v_fmac_f32_e32 v16, v18, v23
	;; [unrolled: 2-line block ×3, first 2 shown]
	s_andn2_b32 exec_lo, exec_lo, s0
	s_cbranch_execnz .LBB77_13
; %bb.14:
	s_or_b32 exec_lo, exec_lo, s0
.LBB77_15:
	s_or_b32 exec_lo, exec_lo, s1
.LBB77_16:
	v_mbcnt_lo_u32_b32 v6, -1, 0
	v_xor_b32_e32 v7, 16, v6
	v_xor_b32_e32 v19, 8, v6
	v_cmp_gt_i32_e32 vcc_lo, 32, v7
	v_cndmask_b32_e32 v7, v6, v7, vcc_lo
	v_cmp_gt_i32_e32 vcc_lo, 32, v19
	v_lshlrev_b32_e32 v7, 2, v7
	v_cndmask_b32_e32 v19, v6, v19, vcc_lo
	ds_bpermute_b32 v8, v7, v12
	ds_bpermute_b32 v9, v7, v11
	;; [unrolled: 1-line block ×6, first 2 shown]
	v_lshlrev_b32_e32 v19, 2, v19
	s_waitcnt lgkmcnt(5)
	v_add_f32_e32 v8, v12, v8
	s_waitcnt lgkmcnt(4)
	v_add_f32_e32 v9, v11, v9
	;; [unrolled: 2-line block ×6, first 2 shown]
	ds_bpermute_b32 v13, v19, v8
	ds_bpermute_b32 v14, v19, v9
	;; [unrolled: 1-line block ×6, first 2 shown]
	v_xor_b32_e32 v19, 4, v6
	v_cmp_gt_i32_e32 vcc_lo, 32, v19
	v_cndmask_b32_e32 v19, v6, v19, vcc_lo
	s_waitcnt lgkmcnt(5)
	v_add_f32_e32 v8, v8, v13
	v_lshlrev_b32_e32 v19, 2, v19
	s_waitcnt lgkmcnt(4)
	v_add_f32_e32 v9, v9, v14
	s_waitcnt lgkmcnt(3)
	v_add_f32_e32 v10, v10, v15
	;; [unrolled: 2-line block ×5, first 2 shown]
	ds_bpermute_b32 v13, v19, v8
	ds_bpermute_b32 v14, v19, v9
	;; [unrolled: 1-line block ×6, first 2 shown]
	v_xor_b32_e32 v19, 2, v6
	v_cmp_gt_i32_e32 vcc_lo, 32, v19
	v_cndmask_b32_e32 v19, v6, v19, vcc_lo
	s_waitcnt lgkmcnt(5)
	v_add_f32_e32 v8, v8, v13
	v_lshlrev_b32_e32 v19, 2, v19
	s_waitcnt lgkmcnt(4)
	v_add_f32_e32 v9, v9, v14
	s_waitcnt lgkmcnt(3)
	v_add_f32_e32 v10, v10, v15
	;; [unrolled: 2-line block ×5, first 2 shown]
	ds_bpermute_b32 v7, v19, v8
	ds_bpermute_b32 v11, v19, v9
	;; [unrolled: 1-line block ×6, first 2 shown]
	v_xor_b32_e32 v19, 1, v6
	v_cmp_gt_i32_e32 vcc_lo, 32, v19
	v_cndmask_b32_e32 v6, v6, v19, vcc_lo
	v_cmp_eq_u32_e32 vcc_lo, 31, v0
	v_lshlrev_b32_e32 v19, 2, v6
	s_waitcnt lgkmcnt(5)
	v_add_f32_e32 v6, v8, v7
	s_waitcnt lgkmcnt(4)
	v_add_f32_e32 v9, v9, v11
	;; [unrolled: 2-line block ×6, first 2 shown]
	ds_bpermute_b32 v10, v19, v6
	ds_bpermute_b32 v15, v19, v9
	;; [unrolled: 1-line block ×6, first 2 shown]
	s_and_b32 exec_lo, exec_lo, vcc_lo
	s_cbranch_execz .LBB77_21
; %bb.17:
	s_load_dwordx2 s[2:3], s[4:5], 0x38
	v_cmp_eq_f32_e32 vcc_lo, 0, v3
	v_cmp_eq_f32_e64 s0, 0, v4
	s_waitcnt lgkmcnt(0)
	v_add_f32_e32 v0, v6, v10
	v_add_f32_e32 v10, v9, v15
	;; [unrolled: 1-line block ×6, first 2 shown]
	s_and_b32 s0, vcc_lo, s0
	s_and_saveexec_b32 s1, s0
	s_xor_b32 s0, exec_lo, s1
	s_cbranch_execz .LBB77_19
; %bb.18:
	v_lshl_add_u32 v3, v5, 1, v5
	v_mul_f32_e64 v11, v10, -v2
	v_mul_f32_e32 v12, v1, v10
	v_mul_f32_e64 v13, v9, -v2
	v_mul_f32_e32 v14, v1, v9
	v_ashrrev_i32_e32 v4, 31, v3
	v_mul_f32_e64 v9, v8, -v2
	v_mul_f32_e32 v10, v1, v8
	v_fmac_f32_e32 v11, v1, v0
	v_fmac_f32_e32 v12, v2, v0
	v_lshlrev_b64 v[3:4], 3, v[3:4]
	v_fmac_f32_e32 v13, v1, v6
	v_fmac_f32_e32 v14, v2, v6
	;; [unrolled: 1-line block ×4, first 2 shown]
                                        ; implicit-def: $vgpr5
                                        ; implicit-def: $vgpr0
                                        ; implicit-def: $vgpr6
                                        ; implicit-def: $vgpr7
                                        ; implicit-def: $vgpr8
                                        ; implicit-def: $vgpr1_vgpr2
	v_add_co_u32 v3, vcc_lo, s2, v3
	v_add_co_ci_u32_e64 v4, null, s3, v4, vcc_lo
	global_store_dwordx4 v[3:4], v[11:14], off
	global_store_dwordx2 v[3:4], v[9:10], off offset:16
                                        ; implicit-def: $vgpr10
                                        ; implicit-def: $vgpr9
                                        ; implicit-def: $vgpr3_vgpr4
.LBB77_19:
	s_andn2_saveexec_b32 s0, s0
	s_cbranch_execz .LBB77_21
; %bb.20:
	v_lshl_add_u32 v11, v5, 1, v5
	v_mul_f32_e64 v15, v10, -v2
	v_mul_f32_e32 v16, v1, v10
	v_mul_f32_e64 v10, v9, -v2
	v_mul_f32_e32 v18, v1, v9
	v_ashrrev_i32_e32 v12, 31, v11
	v_mul_f32_e64 v9, v8, -v2
	v_mul_f32_e32 v5, v1, v8
	v_fmac_f32_e32 v15, v1, v0
	v_fmac_f32_e32 v16, v2, v0
	v_lshlrev_b64 v[11:12], 3, v[11:12]
	v_fmac_f32_e32 v10, v1, v6
	v_fmac_f32_e32 v18, v2, v6
	;; [unrolled: 1-line block ×4, first 2 shown]
	v_add_co_u32 v19, vcc_lo, s2, v11
	v_add_co_ci_u32_e64 v20, null, s3, v12, vcc_lo
	s_clause 0x1
	global_load_dwordx4 v[11:14], v[19:20], off
	global_load_dwordx2 v[21:22], v[19:20], off offset:16
	s_waitcnt vmcnt(1)
	v_fmac_f32_e32 v15, v3, v11
	v_fmac_f32_e32 v16, v4, v11
	;; [unrolled: 1-line block ×4, first 2 shown]
	s_waitcnt vmcnt(0)
	v_fmac_f32_e32 v9, v3, v21
	v_fmac_f32_e32 v5, v4, v21
	v_fma_f32 v15, -v4, v12, v15
	v_fmac_f32_e32 v16, v3, v12
	v_fma_f32 v17, -v4, v14, v10
	;; [unrolled: 2-line block ×3, first 2 shown]
	v_fmac_f32_e32 v5, v3, v22
	global_store_dwordx4 v[19:20], v[15:18], off
	global_store_dwordx2 v[19:20], v[4:5], off offset:16
.LBB77_21:
	s_endpgm
	.section	.rodata,"a",@progbits
	.p2align	6, 0x0
	.amdhsa_kernel _ZN9rocsparseL19gebsrmvn_3xn_kernelILj128ELj1ELj32E21rocsparse_complex_numIfEEEvi20rocsparse_direction_NS_24const_host_device_scalarIT2_EEPKiS8_PKS5_SA_S6_PS5_21rocsparse_index_base_b
		.amdhsa_group_segment_fixed_size 0
		.amdhsa_private_segment_fixed_size 0
		.amdhsa_kernarg_size 72
		.amdhsa_user_sgpr_count 6
		.amdhsa_user_sgpr_private_segment_buffer 1
		.amdhsa_user_sgpr_dispatch_ptr 0
		.amdhsa_user_sgpr_queue_ptr 0
		.amdhsa_user_sgpr_kernarg_segment_ptr 1
		.amdhsa_user_sgpr_dispatch_id 0
		.amdhsa_user_sgpr_flat_scratch_init 0
		.amdhsa_user_sgpr_private_segment_size 0
		.amdhsa_wavefront_size32 1
		.amdhsa_uses_dynamic_stack 0
		.amdhsa_system_sgpr_private_segment_wavefront_offset 0
		.amdhsa_system_sgpr_workgroup_id_x 1
		.amdhsa_system_sgpr_workgroup_id_y 0
		.amdhsa_system_sgpr_workgroup_id_z 0
		.amdhsa_system_sgpr_workgroup_info 0
		.amdhsa_system_vgpr_workitem_id 0
		.amdhsa_next_free_vgpr 27
		.amdhsa_next_free_sgpr 16
		.amdhsa_reserve_vcc 1
		.amdhsa_reserve_flat_scratch 0
		.amdhsa_float_round_mode_32 0
		.amdhsa_float_round_mode_16_64 0
		.amdhsa_float_denorm_mode_32 3
		.amdhsa_float_denorm_mode_16_64 3
		.amdhsa_dx10_clamp 1
		.amdhsa_ieee_mode 1
		.amdhsa_fp16_overflow 0
		.amdhsa_workgroup_processor_mode 1
		.amdhsa_memory_ordered 1
		.amdhsa_forward_progress 1
		.amdhsa_shared_vgpr_count 0
		.amdhsa_exception_fp_ieee_invalid_op 0
		.amdhsa_exception_fp_denorm_src 0
		.amdhsa_exception_fp_ieee_div_zero 0
		.amdhsa_exception_fp_ieee_overflow 0
		.amdhsa_exception_fp_ieee_underflow 0
		.amdhsa_exception_fp_ieee_inexact 0
		.amdhsa_exception_int_div_zero 0
	.end_amdhsa_kernel
	.section	.text._ZN9rocsparseL19gebsrmvn_3xn_kernelILj128ELj1ELj32E21rocsparse_complex_numIfEEEvi20rocsparse_direction_NS_24const_host_device_scalarIT2_EEPKiS8_PKS5_SA_S6_PS5_21rocsparse_index_base_b,"axG",@progbits,_ZN9rocsparseL19gebsrmvn_3xn_kernelILj128ELj1ELj32E21rocsparse_complex_numIfEEEvi20rocsparse_direction_NS_24const_host_device_scalarIT2_EEPKiS8_PKS5_SA_S6_PS5_21rocsparse_index_base_b,comdat
.Lfunc_end77:
	.size	_ZN9rocsparseL19gebsrmvn_3xn_kernelILj128ELj1ELj32E21rocsparse_complex_numIfEEEvi20rocsparse_direction_NS_24const_host_device_scalarIT2_EEPKiS8_PKS5_SA_S6_PS5_21rocsparse_index_base_b, .Lfunc_end77-_ZN9rocsparseL19gebsrmvn_3xn_kernelILj128ELj1ELj32E21rocsparse_complex_numIfEEEvi20rocsparse_direction_NS_24const_host_device_scalarIT2_EEPKiS8_PKS5_SA_S6_PS5_21rocsparse_index_base_b
                                        ; -- End function
	.set _ZN9rocsparseL19gebsrmvn_3xn_kernelILj128ELj1ELj32E21rocsparse_complex_numIfEEEvi20rocsparse_direction_NS_24const_host_device_scalarIT2_EEPKiS8_PKS5_SA_S6_PS5_21rocsparse_index_base_b.num_vgpr, 27
	.set _ZN9rocsparseL19gebsrmvn_3xn_kernelILj128ELj1ELj32E21rocsparse_complex_numIfEEEvi20rocsparse_direction_NS_24const_host_device_scalarIT2_EEPKiS8_PKS5_SA_S6_PS5_21rocsparse_index_base_b.num_agpr, 0
	.set _ZN9rocsparseL19gebsrmvn_3xn_kernelILj128ELj1ELj32E21rocsparse_complex_numIfEEEvi20rocsparse_direction_NS_24const_host_device_scalarIT2_EEPKiS8_PKS5_SA_S6_PS5_21rocsparse_index_base_b.numbered_sgpr, 16
	.set _ZN9rocsparseL19gebsrmvn_3xn_kernelILj128ELj1ELj32E21rocsparse_complex_numIfEEEvi20rocsparse_direction_NS_24const_host_device_scalarIT2_EEPKiS8_PKS5_SA_S6_PS5_21rocsparse_index_base_b.num_named_barrier, 0
	.set _ZN9rocsparseL19gebsrmvn_3xn_kernelILj128ELj1ELj32E21rocsparse_complex_numIfEEEvi20rocsparse_direction_NS_24const_host_device_scalarIT2_EEPKiS8_PKS5_SA_S6_PS5_21rocsparse_index_base_b.private_seg_size, 0
	.set _ZN9rocsparseL19gebsrmvn_3xn_kernelILj128ELj1ELj32E21rocsparse_complex_numIfEEEvi20rocsparse_direction_NS_24const_host_device_scalarIT2_EEPKiS8_PKS5_SA_S6_PS5_21rocsparse_index_base_b.uses_vcc, 1
	.set _ZN9rocsparseL19gebsrmvn_3xn_kernelILj128ELj1ELj32E21rocsparse_complex_numIfEEEvi20rocsparse_direction_NS_24const_host_device_scalarIT2_EEPKiS8_PKS5_SA_S6_PS5_21rocsparse_index_base_b.uses_flat_scratch, 0
	.set _ZN9rocsparseL19gebsrmvn_3xn_kernelILj128ELj1ELj32E21rocsparse_complex_numIfEEEvi20rocsparse_direction_NS_24const_host_device_scalarIT2_EEPKiS8_PKS5_SA_S6_PS5_21rocsparse_index_base_b.has_dyn_sized_stack, 0
	.set _ZN9rocsparseL19gebsrmvn_3xn_kernelILj128ELj1ELj32E21rocsparse_complex_numIfEEEvi20rocsparse_direction_NS_24const_host_device_scalarIT2_EEPKiS8_PKS5_SA_S6_PS5_21rocsparse_index_base_b.has_recursion, 0
	.set _ZN9rocsparseL19gebsrmvn_3xn_kernelILj128ELj1ELj32E21rocsparse_complex_numIfEEEvi20rocsparse_direction_NS_24const_host_device_scalarIT2_EEPKiS8_PKS5_SA_S6_PS5_21rocsparse_index_base_b.has_indirect_call, 0
	.section	.AMDGPU.csdata,"",@progbits
; Kernel info:
; codeLenInByte = 1956
; TotalNumSgprs: 18
; NumVgprs: 27
; ScratchSize: 0
; MemoryBound: 0
; FloatMode: 240
; IeeeMode: 1
; LDSByteSize: 0 bytes/workgroup (compile time only)
; SGPRBlocks: 0
; VGPRBlocks: 3
; NumSGPRsForWavesPerEU: 18
; NumVGPRsForWavesPerEU: 27
; Occupancy: 16
; WaveLimiterHint : 1
; COMPUTE_PGM_RSRC2:SCRATCH_EN: 0
; COMPUTE_PGM_RSRC2:USER_SGPR: 6
; COMPUTE_PGM_RSRC2:TRAP_HANDLER: 0
; COMPUTE_PGM_RSRC2:TGID_X_EN: 1
; COMPUTE_PGM_RSRC2:TGID_Y_EN: 0
; COMPUTE_PGM_RSRC2:TGID_Z_EN: 0
; COMPUTE_PGM_RSRC2:TIDIG_COMP_CNT: 0
	.section	.text._ZN9rocsparseL19gebsrmvn_3xn_kernelILj128ELj1ELj64E21rocsparse_complex_numIfEEEvi20rocsparse_direction_NS_24const_host_device_scalarIT2_EEPKiS8_PKS5_SA_S6_PS5_21rocsparse_index_base_b,"axG",@progbits,_ZN9rocsparseL19gebsrmvn_3xn_kernelILj128ELj1ELj64E21rocsparse_complex_numIfEEEvi20rocsparse_direction_NS_24const_host_device_scalarIT2_EEPKiS8_PKS5_SA_S6_PS5_21rocsparse_index_base_b,comdat
	.globl	_ZN9rocsparseL19gebsrmvn_3xn_kernelILj128ELj1ELj64E21rocsparse_complex_numIfEEEvi20rocsparse_direction_NS_24const_host_device_scalarIT2_EEPKiS8_PKS5_SA_S6_PS5_21rocsparse_index_base_b ; -- Begin function _ZN9rocsparseL19gebsrmvn_3xn_kernelILj128ELj1ELj64E21rocsparse_complex_numIfEEEvi20rocsparse_direction_NS_24const_host_device_scalarIT2_EEPKiS8_PKS5_SA_S6_PS5_21rocsparse_index_base_b
	.p2align	8
	.type	_ZN9rocsparseL19gebsrmvn_3xn_kernelILj128ELj1ELj64E21rocsparse_complex_numIfEEEvi20rocsparse_direction_NS_24const_host_device_scalarIT2_EEPKiS8_PKS5_SA_S6_PS5_21rocsparse_index_base_b,@function
_ZN9rocsparseL19gebsrmvn_3xn_kernelILj128ELj1ELj64E21rocsparse_complex_numIfEEEvi20rocsparse_direction_NS_24const_host_device_scalarIT2_EEPKiS8_PKS5_SA_S6_PS5_21rocsparse_index_base_b: ; @_ZN9rocsparseL19gebsrmvn_3xn_kernelILj128ELj1ELj64E21rocsparse_complex_numIfEEEvi20rocsparse_direction_NS_24const_host_device_scalarIT2_EEPKiS8_PKS5_SA_S6_PS5_21rocsparse_index_base_b
; %bb.0:
	s_clause 0x2
	s_load_dwordx2 s[2:3], s[4:5], 0x40
	s_load_dwordx2 s[0:1], s[4:5], 0x8
	;; [unrolled: 1-line block ×3, first 2 shown]
	s_add_u32 s7, s4, 8
	s_addc_u32 s10, s5, 0
	s_add_u32 s11, s4, 48
	s_addc_u32 s12, s5, 0
	s_waitcnt lgkmcnt(0)
	s_bitcmp1_b32 s3, 0
	s_cselect_b32 s0, s7, s0
	s_cselect_b32 s1, s10, s1
	v_mov_b32_e32 v1, s0
	v_mov_b32_e32 v2, s1
	s_cselect_b32 s0, s11, s8
	s_cselect_b32 s1, s12, s9
	v_mov_b32_e32 v3, s0
	v_mov_b32_e32 v4, s1
	flat_load_dwordx2 v[1:2], v[1:2]
	flat_load_dwordx2 v[3:4], v[3:4]
	s_waitcnt vmcnt(1) lgkmcnt(1)
	v_cmp_eq_f32_e32 vcc_lo, 0, v1
	v_cmp_eq_f32_e64 s0, 0, v2
	s_and_b32 s3, vcc_lo, s0
	s_mov_b32 s0, -1
	s_and_saveexec_b32 s1, s3
	s_cbranch_execz .LBB78_2
; %bb.1:
	s_waitcnt vmcnt(0) lgkmcnt(0)
	v_cmp_neq_f32_e32 vcc_lo, 1.0, v3
	v_cmp_neq_f32_e64 s0, 0, v4
	s_or_b32 s0, vcc_lo, s0
	s_orn2_b32 s0, s0, exec_lo
.LBB78_2:
	s_or_b32 exec_lo, exec_lo, s1
	s_and_saveexec_b32 s1, s0
	s_cbranch_execz .LBB78_21
; %bb.3:
	s_load_dwordx2 s[0:1], s[4:5], 0x0
	v_lshrrev_b32_e32 v5, 6, v0
	v_lshl_or_b32 v5, s6, 1, v5
	s_waitcnt lgkmcnt(0)
	v_cmp_gt_i32_e32 vcc_lo, s0, v5
	s_and_b32 exec_lo, exec_lo, vcc_lo
	s_cbranch_execz .LBB78_21
; %bb.4:
	s_load_dwordx8 s[8:15], s[4:5], 0x10
	v_ashrrev_i32_e32 v6, 31, v5
	v_and_b32_e32 v0, 63, v0
	s_cmp_lg_u32 s1, 0
	v_lshlrev_b64 v[6:7], 2, v[5:6]
	s_waitcnt lgkmcnt(0)
	v_add_co_u32 v6, vcc_lo, s8, v6
	v_add_co_ci_u32_e64 v7, null, s9, v7, vcc_lo
	global_load_dwordx2 v[6:7], v[6:7], off
	s_waitcnt vmcnt(0)
	v_subrev_nc_u32_e32 v6, s2, v6
	v_subrev_nc_u32_e32 v17, s2, v7
	v_add_nc_u32_e32 v6, v6, v0
	v_cmp_lt_i32_e64 s0, v6, v17
	s_cbranch_scc0 .LBB78_10
; %bb.5:
	v_mov_b32_e32 v11, 0
	v_mov_b32_e32 v12, 0
	;; [unrolled: 1-line block ×6, first 2 shown]
	s_and_saveexec_b32 s1, s0
	s_cbranch_execz .LBB78_9
; %bb.6:
	v_mov_b32_e32 v8, 0
	v_lshl_add_u32 v7, v6, 1, v6
	v_mov_b32_e32 v9, v6
	s_mov_b32 s3, 0
	v_mov_b32_e32 v11, v8
	v_mov_b32_e32 v12, v8
	;; [unrolled: 1-line block ×6, first 2 shown]
.LBB78_7:                               ; =>This Inner Loop Header: Depth=1
	v_ashrrev_i32_e32 v10, 31, v9
	v_add_nc_u32_e32 v20, 2, v7
	v_mov_b32_e32 v21, v8
	v_lshlrev_b64 v[22:23], 3, v[7:8]
	v_mov_b32_e32 v24, v8
	v_lshlrev_b64 v[18:19], 2, v[9:10]
	v_add_nc_u32_e32 v9, 64, v9
	v_lshlrev_b64 v[20:21], 3, v[20:21]
	v_add_co_u32 v18, vcc_lo, s10, v18
	v_add_co_ci_u32_e64 v19, null, s11, v19, vcc_lo
	v_add_co_u32 v22, vcc_lo, s12, v22
	v_add_co_ci_u32_e64 v23, null, s13, v23, vcc_lo
	global_load_dword v10, v[18:19], off
	v_add_nc_u32_e32 v18, 1, v7
	v_mov_b32_e32 v19, v8
	v_add_nc_u32_e32 v7, 0xc0, v7
	v_lshlrev_b64 v[18:19], 3, v[18:19]
	v_add_co_u32 v18, vcc_lo, s12, v18
	v_add_co_ci_u32_e64 v19, null, s13, v19, vcc_lo
	v_add_co_u32 v20, vcc_lo, s12, v20
	v_add_co_ci_u32_e64 v21, null, s13, v21, vcc_lo
	s_clause 0x2
	global_load_dwordx2 v[25:26], v[22:23], off
	global_load_dwordx2 v[18:19], v[18:19], off
	;; [unrolled: 1-line block ×3, first 2 shown]
	s_waitcnt vmcnt(3)
	v_subrev_nc_u32_e32 v23, s2, v10
	v_lshlrev_b64 v[22:23], 3, v[23:24]
	v_add_co_u32 v22, vcc_lo, s14, v22
	v_add_co_ci_u32_e64 v23, null, s15, v23, vcc_lo
	v_cmp_ge_i32_e32 vcc_lo, v9, v17
	global_load_dwordx2 v[22:23], v[22:23], off
	s_or_b32 s3, vcc_lo, s3
	s_waitcnt vmcnt(0)
	v_fmac_f32_e32 v12, v25, v22
	v_fmac_f32_e32 v11, v26, v22
	;; [unrolled: 1-line block ×6, first 2 shown]
	v_fma_f32 v12, -v26, v23, v12
	v_fmac_f32_e32 v11, v25, v23
	v_fma_f32 v15, -v19, v23, v15
	v_fmac_f32_e32 v16, v18, v23
	;; [unrolled: 2-line block ×3, first 2 shown]
	s_andn2_b32 exec_lo, exec_lo, s3
	s_cbranch_execnz .LBB78_7
; %bb.8:
	s_or_b32 exec_lo, exec_lo, s3
.LBB78_9:
	s_or_b32 exec_lo, exec_lo, s1
	s_cbranch_execz .LBB78_11
	s_branch .LBB78_16
.LBB78_10:
                                        ; implicit-def: $vgpr11
                                        ; implicit-def: $vgpr12
                                        ; implicit-def: $vgpr13
                                        ; implicit-def: $vgpr14
                                        ; implicit-def: $vgpr15
                                        ; implicit-def: $vgpr16
.LBB78_11:
	v_mov_b32_e32 v11, 0
	v_mov_b32_e32 v12, 0
	;; [unrolled: 1-line block ×6, first 2 shown]
	s_and_saveexec_b32 s1, s0
	s_cbranch_execz .LBB78_15
; %bb.12:
	v_mov_b32_e32 v9, 0
	v_lshl_add_u32 v8, v6, 1, v6
	s_mov_b32 s0, 0
	v_mov_b32_e32 v11, v9
	v_mov_b32_e32 v12, v9
	;; [unrolled: 1-line block ×6, first 2 shown]
.LBB78_13:                              ; =>This Inner Loop Header: Depth=1
	v_ashrrev_i32_e32 v7, 31, v6
	v_add_nc_u32_e32 v20, 2, v8
	v_mov_b32_e32 v21, v9
	v_lshlrev_b64 v[22:23], 3, v[8:9]
	v_mov_b32_e32 v24, v9
	v_lshlrev_b64 v[18:19], 2, v[6:7]
	v_add_nc_u32_e32 v6, 64, v6
	v_lshlrev_b64 v[20:21], 3, v[20:21]
	v_add_co_u32 v18, vcc_lo, s10, v18
	v_add_co_ci_u32_e64 v19, null, s11, v19, vcc_lo
	v_add_co_u32 v22, vcc_lo, s12, v22
	v_add_co_ci_u32_e64 v23, null, s13, v23, vcc_lo
	global_load_dword v7, v[18:19], off
	v_add_nc_u32_e32 v18, 1, v8
	v_mov_b32_e32 v19, v9
	v_add_nc_u32_e32 v8, 0xc0, v8
	v_lshlrev_b64 v[18:19], 3, v[18:19]
	v_add_co_u32 v18, vcc_lo, s12, v18
	v_add_co_ci_u32_e64 v19, null, s13, v19, vcc_lo
	v_add_co_u32 v20, vcc_lo, s12, v20
	v_add_co_ci_u32_e64 v21, null, s13, v21, vcc_lo
	s_clause 0x2
	global_load_dwordx2 v[25:26], v[22:23], off
	global_load_dwordx2 v[18:19], v[18:19], off
	global_load_dwordx2 v[20:21], v[20:21], off
	s_waitcnt vmcnt(3)
	v_subrev_nc_u32_e32 v23, s2, v7
	v_lshlrev_b64 v[22:23], 3, v[23:24]
	v_add_co_u32 v22, vcc_lo, s14, v22
	v_add_co_ci_u32_e64 v23, null, s15, v23, vcc_lo
	v_cmp_ge_i32_e32 vcc_lo, v6, v17
	global_load_dwordx2 v[22:23], v[22:23], off
	s_or_b32 s0, vcc_lo, s0
	s_waitcnt vmcnt(0)
	v_fmac_f32_e32 v12, v25, v22
	v_fmac_f32_e32 v11, v26, v22
	;; [unrolled: 1-line block ×6, first 2 shown]
	v_fma_f32 v12, -v26, v23, v12
	v_fmac_f32_e32 v11, v25, v23
	v_fma_f32 v15, -v19, v23, v15
	v_fmac_f32_e32 v16, v18, v23
	;; [unrolled: 2-line block ×3, first 2 shown]
	s_andn2_b32 exec_lo, exec_lo, s0
	s_cbranch_execnz .LBB78_13
; %bb.14:
	s_or_b32 exec_lo, exec_lo, s0
.LBB78_15:
	s_or_b32 exec_lo, exec_lo, s1
.LBB78_16:
	v_mbcnt_lo_u32_b32 v6, -1, 0
	v_or_b32_e32 v7, 32, v6
	v_xor_b32_e32 v19, 16, v6
	v_cmp_gt_i32_e32 vcc_lo, 32, v7
	v_cndmask_b32_e32 v7, v6, v7, vcc_lo
	v_cmp_gt_i32_e32 vcc_lo, 32, v19
	v_lshlrev_b32_e32 v7, 2, v7
	v_cndmask_b32_e32 v19, v6, v19, vcc_lo
	ds_bpermute_b32 v8, v7, v12
	ds_bpermute_b32 v9, v7, v11
	;; [unrolled: 1-line block ×6, first 2 shown]
	v_lshlrev_b32_e32 v19, 2, v19
	s_waitcnt lgkmcnt(5)
	v_add_f32_e32 v8, v12, v8
	s_waitcnt lgkmcnt(4)
	v_add_f32_e32 v9, v11, v9
	;; [unrolled: 2-line block ×6, first 2 shown]
	ds_bpermute_b32 v13, v19, v8
	ds_bpermute_b32 v14, v19, v9
	ds_bpermute_b32 v15, v19, v10
	ds_bpermute_b32 v16, v19, v11
	ds_bpermute_b32 v17, v19, v12
	ds_bpermute_b32 v18, v19, v7
	v_xor_b32_e32 v19, 8, v6
	v_cmp_gt_i32_e32 vcc_lo, 32, v19
	v_cndmask_b32_e32 v19, v6, v19, vcc_lo
	s_waitcnt lgkmcnt(5)
	v_add_f32_e32 v8, v8, v13
	v_lshlrev_b32_e32 v19, 2, v19
	s_waitcnt lgkmcnt(4)
	v_add_f32_e32 v9, v9, v14
	s_waitcnt lgkmcnt(3)
	v_add_f32_e32 v10, v10, v15
	s_waitcnt lgkmcnt(2)
	v_add_f32_e32 v11, v11, v16
	s_waitcnt lgkmcnt(1)
	v_add_f32_e32 v12, v12, v17
	s_waitcnt lgkmcnt(0)
	v_add_f32_e32 v7, v7, v18
	ds_bpermute_b32 v13, v19, v8
	ds_bpermute_b32 v14, v19, v9
	ds_bpermute_b32 v15, v19, v10
	ds_bpermute_b32 v16, v19, v11
	ds_bpermute_b32 v17, v19, v12
	ds_bpermute_b32 v18, v19, v7
	v_xor_b32_e32 v19, 4, v6
	v_cmp_gt_i32_e32 vcc_lo, 32, v19
	v_cndmask_b32_e32 v19, v6, v19, vcc_lo
	s_waitcnt lgkmcnt(5)
	v_add_f32_e32 v8, v8, v13
	v_lshlrev_b32_e32 v19, 2, v19
	s_waitcnt lgkmcnt(4)
	v_add_f32_e32 v9, v9, v14
	s_waitcnt lgkmcnt(3)
	v_add_f32_e32 v10, v10, v15
	s_waitcnt lgkmcnt(2)
	v_add_f32_e32 v11, v11, v16
	s_waitcnt lgkmcnt(1)
	v_add_f32_e32 v12, v12, v17
	s_waitcnt lgkmcnt(0)
	v_add_f32_e32 v7, v7, v18
	;; [unrolled: 22-line block ×3, first 2 shown]
	ds_bpermute_b32 v7, v19, v8
	ds_bpermute_b32 v11, v19, v9
	;; [unrolled: 1-line block ×6, first 2 shown]
	v_xor_b32_e32 v19, 1, v6
	v_cmp_gt_i32_e32 vcc_lo, 32, v19
	v_cndmask_b32_e32 v6, v6, v19, vcc_lo
	v_cmp_eq_u32_e32 vcc_lo, 63, v0
	v_lshlrev_b32_e32 v19, 2, v6
	s_waitcnt lgkmcnt(5)
	v_add_f32_e32 v6, v8, v7
	s_waitcnt lgkmcnt(4)
	v_add_f32_e32 v9, v9, v11
	;; [unrolled: 2-line block ×6, first 2 shown]
	ds_bpermute_b32 v10, v19, v6
	ds_bpermute_b32 v15, v19, v9
	;; [unrolled: 1-line block ×6, first 2 shown]
	s_and_b32 exec_lo, exec_lo, vcc_lo
	s_cbranch_execz .LBB78_21
; %bb.17:
	s_load_dwordx2 s[2:3], s[4:5], 0x38
	v_cmp_eq_f32_e32 vcc_lo, 0, v3
	v_cmp_eq_f32_e64 s0, 0, v4
	s_waitcnt lgkmcnt(0)
	v_add_f32_e32 v0, v6, v10
	v_add_f32_e32 v10, v9, v15
	;; [unrolled: 1-line block ×6, first 2 shown]
	s_and_b32 s0, vcc_lo, s0
	s_and_saveexec_b32 s1, s0
	s_xor_b32 s0, exec_lo, s1
	s_cbranch_execz .LBB78_19
; %bb.18:
	v_lshl_add_u32 v3, v5, 1, v5
	v_mul_f32_e64 v11, v10, -v2
	v_mul_f32_e32 v12, v1, v10
	v_mul_f32_e64 v13, v9, -v2
	v_mul_f32_e32 v14, v1, v9
	v_ashrrev_i32_e32 v4, 31, v3
	v_mul_f32_e64 v9, v8, -v2
	v_mul_f32_e32 v10, v1, v8
	v_fmac_f32_e32 v11, v1, v0
	v_fmac_f32_e32 v12, v2, v0
	v_lshlrev_b64 v[3:4], 3, v[3:4]
	v_fmac_f32_e32 v13, v1, v6
	v_fmac_f32_e32 v14, v2, v6
	;; [unrolled: 1-line block ×4, first 2 shown]
                                        ; implicit-def: $vgpr5
                                        ; implicit-def: $vgpr0
                                        ; implicit-def: $vgpr6
                                        ; implicit-def: $vgpr7
                                        ; implicit-def: $vgpr8
                                        ; implicit-def: $vgpr1_vgpr2
	v_add_co_u32 v3, vcc_lo, s2, v3
	v_add_co_ci_u32_e64 v4, null, s3, v4, vcc_lo
	global_store_dwordx4 v[3:4], v[11:14], off
	global_store_dwordx2 v[3:4], v[9:10], off offset:16
                                        ; implicit-def: $vgpr10
                                        ; implicit-def: $vgpr9
                                        ; implicit-def: $vgpr3_vgpr4
.LBB78_19:
	s_andn2_saveexec_b32 s0, s0
	s_cbranch_execz .LBB78_21
; %bb.20:
	v_lshl_add_u32 v11, v5, 1, v5
	v_mul_f32_e64 v15, v10, -v2
	v_mul_f32_e32 v16, v1, v10
	v_mul_f32_e64 v10, v9, -v2
	v_mul_f32_e32 v18, v1, v9
	v_ashrrev_i32_e32 v12, 31, v11
	v_mul_f32_e64 v9, v8, -v2
	v_mul_f32_e32 v5, v1, v8
	v_fmac_f32_e32 v15, v1, v0
	v_fmac_f32_e32 v16, v2, v0
	v_lshlrev_b64 v[11:12], 3, v[11:12]
	v_fmac_f32_e32 v10, v1, v6
	v_fmac_f32_e32 v18, v2, v6
	;; [unrolled: 1-line block ×4, first 2 shown]
	v_add_co_u32 v19, vcc_lo, s2, v11
	v_add_co_ci_u32_e64 v20, null, s3, v12, vcc_lo
	s_clause 0x1
	global_load_dwordx4 v[11:14], v[19:20], off
	global_load_dwordx2 v[21:22], v[19:20], off offset:16
	s_waitcnt vmcnt(1)
	v_fmac_f32_e32 v15, v3, v11
	v_fmac_f32_e32 v16, v4, v11
	;; [unrolled: 1-line block ×4, first 2 shown]
	s_waitcnt vmcnt(0)
	v_fmac_f32_e32 v9, v3, v21
	v_fmac_f32_e32 v5, v4, v21
	v_fma_f32 v15, -v4, v12, v15
	v_fmac_f32_e32 v16, v3, v12
	v_fma_f32 v17, -v4, v14, v10
	;; [unrolled: 2-line block ×3, first 2 shown]
	v_fmac_f32_e32 v5, v3, v22
	global_store_dwordx4 v[19:20], v[15:18], off
	global_store_dwordx2 v[19:20], v[4:5], off offset:16
.LBB78_21:
	s_endpgm
	.section	.rodata,"a",@progbits
	.p2align	6, 0x0
	.amdhsa_kernel _ZN9rocsparseL19gebsrmvn_3xn_kernelILj128ELj1ELj64E21rocsparse_complex_numIfEEEvi20rocsparse_direction_NS_24const_host_device_scalarIT2_EEPKiS8_PKS5_SA_S6_PS5_21rocsparse_index_base_b
		.amdhsa_group_segment_fixed_size 0
		.amdhsa_private_segment_fixed_size 0
		.amdhsa_kernarg_size 72
		.amdhsa_user_sgpr_count 6
		.amdhsa_user_sgpr_private_segment_buffer 1
		.amdhsa_user_sgpr_dispatch_ptr 0
		.amdhsa_user_sgpr_queue_ptr 0
		.amdhsa_user_sgpr_kernarg_segment_ptr 1
		.amdhsa_user_sgpr_dispatch_id 0
		.amdhsa_user_sgpr_flat_scratch_init 0
		.amdhsa_user_sgpr_private_segment_size 0
		.amdhsa_wavefront_size32 1
		.amdhsa_uses_dynamic_stack 0
		.amdhsa_system_sgpr_private_segment_wavefront_offset 0
		.amdhsa_system_sgpr_workgroup_id_x 1
		.amdhsa_system_sgpr_workgroup_id_y 0
		.amdhsa_system_sgpr_workgroup_id_z 0
		.amdhsa_system_sgpr_workgroup_info 0
		.amdhsa_system_vgpr_workitem_id 0
		.amdhsa_next_free_vgpr 27
		.amdhsa_next_free_sgpr 16
		.amdhsa_reserve_vcc 1
		.amdhsa_reserve_flat_scratch 0
		.amdhsa_float_round_mode_32 0
		.amdhsa_float_round_mode_16_64 0
		.amdhsa_float_denorm_mode_32 3
		.amdhsa_float_denorm_mode_16_64 3
		.amdhsa_dx10_clamp 1
		.amdhsa_ieee_mode 1
		.amdhsa_fp16_overflow 0
		.amdhsa_workgroup_processor_mode 1
		.amdhsa_memory_ordered 1
		.amdhsa_forward_progress 1
		.amdhsa_shared_vgpr_count 0
		.amdhsa_exception_fp_ieee_invalid_op 0
		.amdhsa_exception_fp_denorm_src 0
		.amdhsa_exception_fp_ieee_div_zero 0
		.amdhsa_exception_fp_ieee_overflow 0
		.amdhsa_exception_fp_ieee_underflow 0
		.amdhsa_exception_fp_ieee_inexact 0
		.amdhsa_exception_int_div_zero 0
	.end_amdhsa_kernel
	.section	.text._ZN9rocsparseL19gebsrmvn_3xn_kernelILj128ELj1ELj64E21rocsparse_complex_numIfEEEvi20rocsparse_direction_NS_24const_host_device_scalarIT2_EEPKiS8_PKS5_SA_S6_PS5_21rocsparse_index_base_b,"axG",@progbits,_ZN9rocsparseL19gebsrmvn_3xn_kernelILj128ELj1ELj64E21rocsparse_complex_numIfEEEvi20rocsparse_direction_NS_24const_host_device_scalarIT2_EEPKiS8_PKS5_SA_S6_PS5_21rocsparse_index_base_b,comdat
.Lfunc_end78:
	.size	_ZN9rocsparseL19gebsrmvn_3xn_kernelILj128ELj1ELj64E21rocsparse_complex_numIfEEEvi20rocsparse_direction_NS_24const_host_device_scalarIT2_EEPKiS8_PKS5_SA_S6_PS5_21rocsparse_index_base_b, .Lfunc_end78-_ZN9rocsparseL19gebsrmvn_3xn_kernelILj128ELj1ELj64E21rocsparse_complex_numIfEEEvi20rocsparse_direction_NS_24const_host_device_scalarIT2_EEPKiS8_PKS5_SA_S6_PS5_21rocsparse_index_base_b
                                        ; -- End function
	.set _ZN9rocsparseL19gebsrmvn_3xn_kernelILj128ELj1ELj64E21rocsparse_complex_numIfEEEvi20rocsparse_direction_NS_24const_host_device_scalarIT2_EEPKiS8_PKS5_SA_S6_PS5_21rocsparse_index_base_b.num_vgpr, 27
	.set _ZN9rocsparseL19gebsrmvn_3xn_kernelILj128ELj1ELj64E21rocsparse_complex_numIfEEEvi20rocsparse_direction_NS_24const_host_device_scalarIT2_EEPKiS8_PKS5_SA_S6_PS5_21rocsparse_index_base_b.num_agpr, 0
	.set _ZN9rocsparseL19gebsrmvn_3xn_kernelILj128ELj1ELj64E21rocsparse_complex_numIfEEEvi20rocsparse_direction_NS_24const_host_device_scalarIT2_EEPKiS8_PKS5_SA_S6_PS5_21rocsparse_index_base_b.numbered_sgpr, 16
	.set _ZN9rocsparseL19gebsrmvn_3xn_kernelILj128ELj1ELj64E21rocsparse_complex_numIfEEEvi20rocsparse_direction_NS_24const_host_device_scalarIT2_EEPKiS8_PKS5_SA_S6_PS5_21rocsparse_index_base_b.num_named_barrier, 0
	.set _ZN9rocsparseL19gebsrmvn_3xn_kernelILj128ELj1ELj64E21rocsparse_complex_numIfEEEvi20rocsparse_direction_NS_24const_host_device_scalarIT2_EEPKiS8_PKS5_SA_S6_PS5_21rocsparse_index_base_b.private_seg_size, 0
	.set _ZN9rocsparseL19gebsrmvn_3xn_kernelILj128ELj1ELj64E21rocsparse_complex_numIfEEEvi20rocsparse_direction_NS_24const_host_device_scalarIT2_EEPKiS8_PKS5_SA_S6_PS5_21rocsparse_index_base_b.uses_vcc, 1
	.set _ZN9rocsparseL19gebsrmvn_3xn_kernelILj128ELj1ELj64E21rocsparse_complex_numIfEEEvi20rocsparse_direction_NS_24const_host_device_scalarIT2_EEPKiS8_PKS5_SA_S6_PS5_21rocsparse_index_base_b.uses_flat_scratch, 0
	.set _ZN9rocsparseL19gebsrmvn_3xn_kernelILj128ELj1ELj64E21rocsparse_complex_numIfEEEvi20rocsparse_direction_NS_24const_host_device_scalarIT2_EEPKiS8_PKS5_SA_S6_PS5_21rocsparse_index_base_b.has_dyn_sized_stack, 0
	.set _ZN9rocsparseL19gebsrmvn_3xn_kernelILj128ELj1ELj64E21rocsparse_complex_numIfEEEvi20rocsparse_direction_NS_24const_host_device_scalarIT2_EEPKiS8_PKS5_SA_S6_PS5_21rocsparse_index_base_b.has_recursion, 0
	.set _ZN9rocsparseL19gebsrmvn_3xn_kernelILj128ELj1ELj64E21rocsparse_complex_numIfEEEvi20rocsparse_direction_NS_24const_host_device_scalarIT2_EEPKiS8_PKS5_SA_S6_PS5_21rocsparse_index_base_b.has_indirect_call, 0
	.section	.AMDGPU.csdata,"",@progbits
; Kernel info:
; codeLenInByte = 2068
; TotalNumSgprs: 18
; NumVgprs: 27
; ScratchSize: 0
; MemoryBound: 0
; FloatMode: 240
; IeeeMode: 1
; LDSByteSize: 0 bytes/workgroup (compile time only)
; SGPRBlocks: 0
; VGPRBlocks: 3
; NumSGPRsForWavesPerEU: 18
; NumVGPRsForWavesPerEU: 27
; Occupancy: 16
; WaveLimiterHint : 1
; COMPUTE_PGM_RSRC2:SCRATCH_EN: 0
; COMPUTE_PGM_RSRC2:USER_SGPR: 6
; COMPUTE_PGM_RSRC2:TRAP_HANDLER: 0
; COMPUTE_PGM_RSRC2:TGID_X_EN: 1
; COMPUTE_PGM_RSRC2:TGID_Y_EN: 0
; COMPUTE_PGM_RSRC2:TGID_Z_EN: 0
; COMPUTE_PGM_RSRC2:TIDIG_COMP_CNT: 0
	.section	.text._ZN9rocsparseL19gebsrmvn_3xn_kernelILj128ELj2ELj4E21rocsparse_complex_numIfEEEvi20rocsparse_direction_NS_24const_host_device_scalarIT2_EEPKiS8_PKS5_SA_S6_PS5_21rocsparse_index_base_b,"axG",@progbits,_ZN9rocsparseL19gebsrmvn_3xn_kernelILj128ELj2ELj4E21rocsparse_complex_numIfEEEvi20rocsparse_direction_NS_24const_host_device_scalarIT2_EEPKiS8_PKS5_SA_S6_PS5_21rocsparse_index_base_b,comdat
	.globl	_ZN9rocsparseL19gebsrmvn_3xn_kernelILj128ELj2ELj4E21rocsparse_complex_numIfEEEvi20rocsparse_direction_NS_24const_host_device_scalarIT2_EEPKiS8_PKS5_SA_S6_PS5_21rocsparse_index_base_b ; -- Begin function _ZN9rocsparseL19gebsrmvn_3xn_kernelILj128ELj2ELj4E21rocsparse_complex_numIfEEEvi20rocsparse_direction_NS_24const_host_device_scalarIT2_EEPKiS8_PKS5_SA_S6_PS5_21rocsparse_index_base_b
	.p2align	8
	.type	_ZN9rocsparseL19gebsrmvn_3xn_kernelILj128ELj2ELj4E21rocsparse_complex_numIfEEEvi20rocsparse_direction_NS_24const_host_device_scalarIT2_EEPKiS8_PKS5_SA_S6_PS5_21rocsparse_index_base_b,@function
_ZN9rocsparseL19gebsrmvn_3xn_kernelILj128ELj2ELj4E21rocsparse_complex_numIfEEEvi20rocsparse_direction_NS_24const_host_device_scalarIT2_EEPKiS8_PKS5_SA_S6_PS5_21rocsparse_index_base_b: ; @_ZN9rocsparseL19gebsrmvn_3xn_kernelILj128ELj2ELj4E21rocsparse_complex_numIfEEEvi20rocsparse_direction_NS_24const_host_device_scalarIT2_EEPKiS8_PKS5_SA_S6_PS5_21rocsparse_index_base_b
; %bb.0:
	s_clause 0x2
	s_load_dwordx2 s[2:3], s[4:5], 0x40
	s_load_dwordx2 s[0:1], s[4:5], 0x8
	;; [unrolled: 1-line block ×3, first 2 shown]
	s_add_u32 s7, s4, 8
	s_addc_u32 s10, s5, 0
	s_add_u32 s11, s4, 48
	s_addc_u32 s12, s5, 0
	s_waitcnt lgkmcnt(0)
	s_bitcmp1_b32 s3, 0
	s_cselect_b32 s0, s7, s0
	s_cselect_b32 s1, s10, s1
	v_mov_b32_e32 v1, s0
	v_mov_b32_e32 v2, s1
	s_cselect_b32 s0, s11, s8
	s_cselect_b32 s1, s12, s9
	v_mov_b32_e32 v3, s0
	v_mov_b32_e32 v4, s1
	flat_load_dwordx2 v[1:2], v[1:2]
	flat_load_dwordx2 v[3:4], v[3:4]
	s_waitcnt vmcnt(1) lgkmcnt(1)
	v_cmp_eq_f32_e32 vcc_lo, 0, v1
	v_cmp_eq_f32_e64 s0, 0, v2
	s_and_b32 s3, vcc_lo, s0
	s_mov_b32 s0, -1
	s_and_saveexec_b32 s1, s3
	s_cbranch_execz .LBB79_2
; %bb.1:
	s_waitcnt vmcnt(0) lgkmcnt(0)
	v_cmp_neq_f32_e32 vcc_lo, 1.0, v3
	v_cmp_neq_f32_e64 s0, 0, v4
	s_or_b32 s0, vcc_lo, s0
	s_orn2_b32 s0, s0, exec_lo
.LBB79_2:
	s_or_b32 exec_lo, exec_lo, s1
	s_and_saveexec_b32 s1, s0
	s_cbranch_execz .LBB79_21
; %bb.3:
	s_load_dwordx2 s[0:1], s[4:5], 0x0
	v_lshrrev_b32_e32 v5, 2, v0
	v_lshl_or_b32 v5, s6, 5, v5
	s_waitcnt lgkmcnt(0)
	v_cmp_gt_i32_e32 vcc_lo, s0, v5
	s_and_b32 exec_lo, exec_lo, vcc_lo
	s_cbranch_execz .LBB79_21
; %bb.4:
	s_load_dwordx8 s[8:15], s[4:5], 0x10
	v_ashrrev_i32_e32 v6, 31, v5
	v_and_b32_e32 v0, 3, v0
	s_cmp_lg_u32 s1, 0
	v_lshlrev_b64 v[6:7], 2, v[5:6]
	s_waitcnt lgkmcnt(0)
	v_add_co_u32 v6, vcc_lo, s8, v6
	v_add_co_ci_u32_e64 v7, null, s9, v7, vcc_lo
	global_load_dwordx2 v[6:7], v[6:7], off
	s_waitcnt vmcnt(0)
	v_subrev_nc_u32_e32 v6, s2, v6
	v_subrev_nc_u32_e32 v18, s2, v7
	v_add_nc_u32_e32 v6, v6, v0
	v_cmp_lt_i32_e64 s0, v6, v18
	s_cbranch_scc0 .LBB79_10
; %bb.5:
	v_mov_b32_e32 v13, 0
	v_mov_b32_e32 v16, 0
	;; [unrolled: 1-line block ×6, first 2 shown]
	s_and_saveexec_b32 s3, s0
	s_cbranch_execz .LBB79_9
; %bb.6:
	v_mad_u64_u32 v[7:8], null, v6, 6, 5
	v_mov_b32_e32 v10, 0
	v_mov_b32_e32 v11, v6
	;; [unrolled: 1-line block ×8, first 2 shown]
	s_mov_b32 s6, 0
.LBB79_7:                               ; =>This Inner Loop Header: Depth=1
	v_ashrrev_i32_e32 v12, 31, v11
	v_mov_b32_e32 v25, v10
	v_lshlrev_b64 v[8:9], 2, v[11:12]
	v_add_nc_u32_e32 v11, 4, v11
	v_add_co_u32 v8, vcc_lo, s10, v8
	v_add_co_ci_u32_e64 v9, null, s11, v9, vcc_lo
	global_load_dword v12, v[8:9], off
	v_add_nc_u32_e32 v9, -5, v7
	v_mov_b32_e32 v8, v10
	v_lshlrev_b64 v[20:21], 3, v[9:10]
	v_add_nc_u32_e32 v9, -3, v7
	v_lshlrev_b64 v[22:23], 3, v[7:8]
	v_lshlrev_b64 v[26:27], 3, v[9:10]
	v_add_nc_u32_e32 v9, -2, v7
	v_add_co_u32 v20, vcc_lo, s12, v20
	v_add_co_ci_u32_e64 v21, null, s13, v21, vcc_lo
	v_add_co_u32 v28, vcc_lo, s12, v22
	v_add_co_ci_u32_e64 v29, null, s13, v23, vcc_lo
	v_lshlrev_b64 v[30:31], 3, v[9:10]
	v_add_nc_u32_e32 v9, -1, v7
	v_add_co_u32 v26, vcc_lo, s12, v26
	v_add_co_ci_u32_e64 v27, null, s13, v27, vcc_lo
	v_lshlrev_b64 v[8:9], 3, v[9:10]
	global_load_dwordx4 v[20:23], v[20:21], off
	v_add_co_u32 v30, vcc_lo, s12, v30
	global_load_dwordx2 v[32:33], v[26:27], off
	v_add_co_ci_u32_e64 v31, null, s13, v31, vcc_lo
	v_add_co_u32 v8, vcc_lo, s12, v8
	v_add_co_ci_u32_e64 v9, null, s13, v9, vcc_lo
	v_cmp_ge_i32_e32 vcc_lo, v11, v18
	v_add_nc_u32_e32 v7, 24, v7
	s_or_b32 s6, vcc_lo, s6
	s_waitcnt vmcnt(2)
	v_subrev_nc_u32_e32 v12, s2, v12
	v_lshlrev_b32_e32 v24, 1, v12
	v_lshlrev_b64 v[24:25], 3, v[24:25]
	v_add_co_u32 v24, s1, s14, v24
	v_add_co_ci_u32_e64 v25, null, s15, v25, s1
	global_load_dwordx4 v[24:27], v[24:25], off
	s_clause 0x2
	global_load_dwordx2 v[30:31], v[30:31], off
	global_load_dwordx2 v[8:9], v[8:9], off
	;; [unrolled: 1-line block ×3, first 2 shown]
	s_waitcnt vmcnt(3)
	v_fmac_f32_e32 v16, v20, v24
	v_fmac_f32_e32 v13, v21, v24
	;; [unrolled: 1-line block ×6, first 2 shown]
	v_fma_f32 v12, -v21, v25, v16
	v_fmac_f32_e32 v13, v20, v25
	v_fma_f32 v19, -v23, v25, v19
	v_fmac_f32_e32 v15, v22, v25
	;; [unrolled: 2-line block ×3, first 2 shown]
	s_waitcnt vmcnt(2)
	v_fmac_f32_e32 v12, v30, v26
	v_fmac_f32_e32 v13, v31, v26
	s_waitcnt vmcnt(1)
	v_fmac_f32_e32 v19, v8, v26
	v_fmac_f32_e32 v15, v9, v26
	;; [unrolled: 3-line block ×3, first 2 shown]
	v_fma_f32 v16, -v31, v27, v12
	v_fmac_f32_e32 v13, v30, v27
	v_fma_f32 v19, -v9, v27, v19
	v_fmac_f32_e32 v15, v8, v27
	v_fma_f32 v17, -v29, v27, v17
	v_fmac_f32_e32 v14, v28, v27
	s_andn2_b32 exec_lo, exec_lo, s6
	s_cbranch_execnz .LBB79_7
; %bb.8:
	s_or_b32 exec_lo, exec_lo, s6
.LBB79_9:
	s_or_b32 exec_lo, exec_lo, s3
	s_cbranch_execz .LBB79_11
	s_branch .LBB79_16
.LBB79_10:
                                        ; implicit-def: $vgpr13
                                        ; implicit-def: $vgpr16
                                        ; implicit-def: $vgpr17
                                        ; implicit-def: $vgpr14
                                        ; implicit-def: $vgpr19
                                        ; implicit-def: $vgpr15
.LBB79_11:
	v_mov_b32_e32 v13, 0
	v_mov_b32_e32 v16, 0
	v_mov_b32_e32 v17, 0
	v_mov_b32_e32 v14, 0
	v_mov_b32_e32 v19, 0
	v_mov_b32_e32 v15, 0
	s_and_saveexec_b32 s1, s0
	s_cbranch_execz .LBB79_15
; %bb.12:
	v_mad_u64_u32 v[8:9], null, v6, 6, 5
	v_mov_b32_e32 v11, 0
	v_mov_b32_e32 v13, 0
	;; [unrolled: 1-line block ×7, first 2 shown]
	s_mov_b32 s3, 0
.LBB79_13:                              ; =>This Inner Loop Header: Depth=1
	v_ashrrev_i32_e32 v7, 31, v6
	v_add_nc_u32_e32 v20, -3, v8
	v_mov_b32_e32 v25, v11
	v_mov_b32_e32 v21, v11
	v_add_nc_u32_e32 v22, -1, v8
	v_lshlrev_b64 v[9:10], 2, v[6:7]
	v_mov_b32_e32 v23, v11
	v_add_nc_u32_e32 v6, 4, v6
	v_lshlrev_b64 v[20:21], 3, v[20:21]
	v_lshlrev_b64 v[22:23], 3, v[22:23]
	v_add_co_u32 v9, vcc_lo, s10, v9
	v_add_co_ci_u32_e64 v10, null, s11, v10, vcc_lo
	global_load_dword v7, v[9:10], off
	v_add_nc_u32_e32 v10, -5, v8
	v_mov_b32_e32 v9, v11
	v_lshlrev_b64 v[26:27], 3, v[10:11]
	v_add_nc_u32_e32 v10, -2, v8
	v_lshlrev_b64 v[28:29], 3, v[8:9]
	v_add_nc_u32_e32 v8, 24, v8
	v_add_co_u32 v26, vcc_lo, s12, v26
	v_add_co_ci_u32_e64 v27, null, s13, v27, vcc_lo
	v_add_co_u32 v30, vcc_lo, s12, v20
	v_add_co_ci_u32_e64 v31, null, s13, v21, vcc_lo
	v_add_co_u32 v32, vcc_lo, s12, v22
	v_lshlrev_b64 v[9:10], 3, v[10:11]
	v_add_co_ci_u32_e64 v33, null, s13, v23, vcc_lo
	s_clause 0x2
	global_load_dwordx4 v[20:23], v[26:27], off
	global_load_dwordx2 v[30:31], v[30:31], off
	global_load_dwordx2 v[32:33], v[32:33], off
	v_add_co_u32 v28, vcc_lo, s12, v28
	v_add_co_ci_u32_e64 v29, null, s13, v29, vcc_lo
	v_add_co_u32 v9, vcc_lo, s12, v9
	v_add_co_ci_u32_e64 v10, null, s13, v10, vcc_lo
	v_cmp_ge_i32_e32 vcc_lo, v6, v18
	s_or_b32 s3, vcc_lo, s3
	s_waitcnt vmcnt(3)
	v_subrev_nc_u32_e32 v7, s2, v7
	v_lshlrev_b32_e32 v24, 1, v7
	v_lshlrev_b64 v[24:25], 3, v[24:25]
	v_add_co_u32 v24, s0, s14, v24
	v_add_co_ci_u32_e64 v25, null, s15, v25, s0
	global_load_dwordx4 v[24:27], v[24:25], off
	s_clause 0x1
	global_load_dwordx2 v[9:10], v[9:10], off
	global_load_dwordx2 v[28:29], v[28:29], off
	s_waitcnt vmcnt(2)
	v_fmac_f32_e32 v16, v20, v24
	v_fmac_f32_e32 v13, v21, v24
	;; [unrolled: 1-line block ×6, first 2 shown]
	v_fma_f32 v7, -v21, v25, v16
	v_fmac_f32_e32 v13, v20, v25
	v_fma_f32 v12, -v31, v25, v19
	v_fmac_f32_e32 v15, v30, v25
	;; [unrolled: 2-line block ×3, first 2 shown]
	v_fmac_f32_e32 v7, v22, v26
	v_fmac_f32_e32 v13, v23, v26
	s_waitcnt vmcnt(1)
	v_fmac_f32_e32 v12, v9, v26
	v_fmac_f32_e32 v15, v10, v26
	s_waitcnt vmcnt(0)
	v_fmac_f32_e32 v17, v28, v26
	v_fmac_f32_e32 v14, v29, v26
	v_fma_f32 v16, -v23, v27, v7
	v_fmac_f32_e32 v13, v22, v27
	v_fma_f32 v19, -v10, v27, v12
	;; [unrolled: 2-line block ×3, first 2 shown]
	v_fmac_f32_e32 v14, v28, v27
	s_andn2_b32 exec_lo, exec_lo, s3
	s_cbranch_execnz .LBB79_13
; %bb.14:
	s_or_b32 exec_lo, exec_lo, s3
.LBB79_15:
	s_or_b32 exec_lo, exec_lo, s1
.LBB79_16:
	v_mbcnt_lo_u32_b32 v6, -1, 0
	v_xor_b32_e32 v7, 2, v6
	v_cmp_gt_i32_e32 vcc_lo, 32, v7
	v_cndmask_b32_e32 v7, v6, v7, vcc_lo
	v_lshlrev_b32_e32 v7, 2, v7
	ds_bpermute_b32 v8, v7, v16
	ds_bpermute_b32 v9, v7, v13
	;; [unrolled: 1-line block ×6, first 2 shown]
	v_xor_b32_e32 v7, 1, v6
	v_cmp_gt_i32_e32 vcc_lo, 32, v7
	v_cndmask_b32_e32 v6, v6, v7, vcc_lo
	v_cmp_eq_u32_e32 vcc_lo, 3, v0
	v_lshlrev_b32_e32 v21, 2, v6
	s_waitcnt lgkmcnt(5)
	v_add_f32_e32 v6, v16, v8
	s_waitcnt lgkmcnt(4)
	v_add_f32_e32 v9, v13, v9
	;; [unrolled: 2-line block ×6, first 2 shown]
	ds_bpermute_b32 v10, v21, v6
	ds_bpermute_b32 v15, v21, v9
	;; [unrolled: 1-line block ×6, first 2 shown]
	s_and_b32 exec_lo, exec_lo, vcc_lo
	s_cbranch_execz .LBB79_21
; %bb.17:
	s_load_dwordx2 s[2:3], s[4:5], 0x38
	v_cmp_eq_f32_e32 vcc_lo, 0, v3
	v_cmp_eq_f32_e64 s0, 0, v4
	s_waitcnt lgkmcnt(0)
	v_add_f32_e32 v0, v6, v10
	v_add_f32_e32 v10, v9, v15
	;; [unrolled: 1-line block ×6, first 2 shown]
	s_and_b32 s0, vcc_lo, s0
	s_and_saveexec_b32 s1, s0
	s_xor_b32 s0, exec_lo, s1
	s_cbranch_execz .LBB79_19
; %bb.18:
	v_lshl_add_u32 v3, v5, 1, v5
	v_mul_f32_e64 v11, v10, -v2
	v_mul_f32_e32 v12, v1, v10
	v_mul_f32_e64 v13, v9, -v2
	v_mul_f32_e32 v14, v1, v9
	v_ashrrev_i32_e32 v4, 31, v3
	v_mul_f32_e64 v9, v8, -v2
	v_mul_f32_e32 v10, v1, v8
	v_fmac_f32_e32 v11, v1, v0
	v_fmac_f32_e32 v12, v2, v0
	v_lshlrev_b64 v[3:4], 3, v[3:4]
	v_fmac_f32_e32 v13, v1, v6
	v_fmac_f32_e32 v14, v2, v6
	;; [unrolled: 1-line block ×4, first 2 shown]
                                        ; implicit-def: $vgpr5
                                        ; implicit-def: $vgpr0
                                        ; implicit-def: $vgpr6
                                        ; implicit-def: $vgpr7
                                        ; implicit-def: $vgpr8
                                        ; implicit-def: $vgpr1_vgpr2
	v_add_co_u32 v3, vcc_lo, s2, v3
	v_add_co_ci_u32_e64 v4, null, s3, v4, vcc_lo
	global_store_dwordx4 v[3:4], v[11:14], off
	global_store_dwordx2 v[3:4], v[9:10], off offset:16
                                        ; implicit-def: $vgpr10
                                        ; implicit-def: $vgpr9
                                        ; implicit-def: $vgpr3_vgpr4
.LBB79_19:
	s_andn2_saveexec_b32 s0, s0
	s_cbranch_execz .LBB79_21
; %bb.20:
	v_lshl_add_u32 v11, v5, 1, v5
	v_mul_f32_e64 v15, v10, -v2
	v_mul_f32_e32 v16, v1, v10
	v_mul_f32_e64 v10, v9, -v2
	v_mul_f32_e32 v18, v1, v9
	v_ashrrev_i32_e32 v12, 31, v11
	v_mul_f32_e64 v9, v8, -v2
	v_mul_f32_e32 v5, v1, v8
	v_fmac_f32_e32 v15, v1, v0
	v_fmac_f32_e32 v16, v2, v0
	v_lshlrev_b64 v[11:12], 3, v[11:12]
	v_fmac_f32_e32 v10, v1, v6
	v_fmac_f32_e32 v18, v2, v6
	;; [unrolled: 1-line block ×4, first 2 shown]
	v_add_co_u32 v19, vcc_lo, s2, v11
	v_add_co_ci_u32_e64 v20, null, s3, v12, vcc_lo
	s_clause 0x1
	global_load_dwordx4 v[11:14], v[19:20], off
	global_load_dwordx2 v[21:22], v[19:20], off offset:16
	s_waitcnt vmcnt(1)
	v_fmac_f32_e32 v15, v3, v11
	v_fmac_f32_e32 v16, v4, v11
	;; [unrolled: 1-line block ×4, first 2 shown]
	s_waitcnt vmcnt(0)
	v_fmac_f32_e32 v9, v3, v21
	v_fmac_f32_e32 v5, v4, v21
	v_fma_f32 v15, -v4, v12, v15
	v_fmac_f32_e32 v16, v3, v12
	v_fma_f32 v17, -v4, v14, v10
	v_fmac_f32_e32 v18, v3, v14
	v_fma_f32 v4, -v4, v22, v9
	v_fmac_f32_e32 v5, v3, v22
	global_store_dwordx4 v[19:20], v[15:18], off
	global_store_dwordx2 v[19:20], v[4:5], off offset:16
.LBB79_21:
	s_endpgm
	.section	.rodata,"a",@progbits
	.p2align	6, 0x0
	.amdhsa_kernel _ZN9rocsparseL19gebsrmvn_3xn_kernelILj128ELj2ELj4E21rocsparse_complex_numIfEEEvi20rocsparse_direction_NS_24const_host_device_scalarIT2_EEPKiS8_PKS5_SA_S6_PS5_21rocsparse_index_base_b
		.amdhsa_group_segment_fixed_size 0
		.amdhsa_private_segment_fixed_size 0
		.amdhsa_kernarg_size 72
		.amdhsa_user_sgpr_count 6
		.amdhsa_user_sgpr_private_segment_buffer 1
		.amdhsa_user_sgpr_dispatch_ptr 0
		.amdhsa_user_sgpr_queue_ptr 0
		.amdhsa_user_sgpr_kernarg_segment_ptr 1
		.amdhsa_user_sgpr_dispatch_id 0
		.amdhsa_user_sgpr_flat_scratch_init 0
		.amdhsa_user_sgpr_private_segment_size 0
		.amdhsa_wavefront_size32 1
		.amdhsa_uses_dynamic_stack 0
		.amdhsa_system_sgpr_private_segment_wavefront_offset 0
		.amdhsa_system_sgpr_workgroup_id_x 1
		.amdhsa_system_sgpr_workgroup_id_y 0
		.amdhsa_system_sgpr_workgroup_id_z 0
		.amdhsa_system_sgpr_workgroup_info 0
		.amdhsa_system_vgpr_workitem_id 0
		.amdhsa_next_free_vgpr 34
		.amdhsa_next_free_sgpr 16
		.amdhsa_reserve_vcc 1
		.amdhsa_reserve_flat_scratch 0
		.amdhsa_float_round_mode_32 0
		.amdhsa_float_round_mode_16_64 0
		.amdhsa_float_denorm_mode_32 3
		.amdhsa_float_denorm_mode_16_64 3
		.amdhsa_dx10_clamp 1
		.amdhsa_ieee_mode 1
		.amdhsa_fp16_overflow 0
		.amdhsa_workgroup_processor_mode 1
		.amdhsa_memory_ordered 1
		.amdhsa_forward_progress 1
		.amdhsa_shared_vgpr_count 0
		.amdhsa_exception_fp_ieee_invalid_op 0
		.amdhsa_exception_fp_denorm_src 0
		.amdhsa_exception_fp_ieee_div_zero 0
		.amdhsa_exception_fp_ieee_overflow 0
		.amdhsa_exception_fp_ieee_underflow 0
		.amdhsa_exception_fp_ieee_inexact 0
		.amdhsa_exception_int_div_zero 0
	.end_amdhsa_kernel
	.section	.text._ZN9rocsparseL19gebsrmvn_3xn_kernelILj128ELj2ELj4E21rocsparse_complex_numIfEEEvi20rocsparse_direction_NS_24const_host_device_scalarIT2_EEPKiS8_PKS5_SA_S6_PS5_21rocsparse_index_base_b,"axG",@progbits,_ZN9rocsparseL19gebsrmvn_3xn_kernelILj128ELj2ELj4E21rocsparse_complex_numIfEEEvi20rocsparse_direction_NS_24const_host_device_scalarIT2_EEPKiS8_PKS5_SA_S6_PS5_21rocsparse_index_base_b,comdat
.Lfunc_end79:
	.size	_ZN9rocsparseL19gebsrmvn_3xn_kernelILj128ELj2ELj4E21rocsparse_complex_numIfEEEvi20rocsparse_direction_NS_24const_host_device_scalarIT2_EEPKiS8_PKS5_SA_S6_PS5_21rocsparse_index_base_b, .Lfunc_end79-_ZN9rocsparseL19gebsrmvn_3xn_kernelILj128ELj2ELj4E21rocsparse_complex_numIfEEEvi20rocsparse_direction_NS_24const_host_device_scalarIT2_EEPKiS8_PKS5_SA_S6_PS5_21rocsparse_index_base_b
                                        ; -- End function
	.set _ZN9rocsparseL19gebsrmvn_3xn_kernelILj128ELj2ELj4E21rocsparse_complex_numIfEEEvi20rocsparse_direction_NS_24const_host_device_scalarIT2_EEPKiS8_PKS5_SA_S6_PS5_21rocsparse_index_base_b.num_vgpr, 34
	.set _ZN9rocsparseL19gebsrmvn_3xn_kernelILj128ELj2ELj4E21rocsparse_complex_numIfEEEvi20rocsparse_direction_NS_24const_host_device_scalarIT2_EEPKiS8_PKS5_SA_S6_PS5_21rocsparse_index_base_b.num_agpr, 0
	.set _ZN9rocsparseL19gebsrmvn_3xn_kernelILj128ELj2ELj4E21rocsparse_complex_numIfEEEvi20rocsparse_direction_NS_24const_host_device_scalarIT2_EEPKiS8_PKS5_SA_S6_PS5_21rocsparse_index_base_b.numbered_sgpr, 16
	.set _ZN9rocsparseL19gebsrmvn_3xn_kernelILj128ELj2ELj4E21rocsparse_complex_numIfEEEvi20rocsparse_direction_NS_24const_host_device_scalarIT2_EEPKiS8_PKS5_SA_S6_PS5_21rocsparse_index_base_b.num_named_barrier, 0
	.set _ZN9rocsparseL19gebsrmvn_3xn_kernelILj128ELj2ELj4E21rocsparse_complex_numIfEEEvi20rocsparse_direction_NS_24const_host_device_scalarIT2_EEPKiS8_PKS5_SA_S6_PS5_21rocsparse_index_base_b.private_seg_size, 0
	.set _ZN9rocsparseL19gebsrmvn_3xn_kernelILj128ELj2ELj4E21rocsparse_complex_numIfEEEvi20rocsparse_direction_NS_24const_host_device_scalarIT2_EEPKiS8_PKS5_SA_S6_PS5_21rocsparse_index_base_b.uses_vcc, 1
	.set _ZN9rocsparseL19gebsrmvn_3xn_kernelILj128ELj2ELj4E21rocsparse_complex_numIfEEEvi20rocsparse_direction_NS_24const_host_device_scalarIT2_EEPKiS8_PKS5_SA_S6_PS5_21rocsparse_index_base_b.uses_flat_scratch, 0
	.set _ZN9rocsparseL19gebsrmvn_3xn_kernelILj128ELj2ELj4E21rocsparse_complex_numIfEEEvi20rocsparse_direction_NS_24const_host_device_scalarIT2_EEPKiS8_PKS5_SA_S6_PS5_21rocsparse_index_base_b.has_dyn_sized_stack, 0
	.set _ZN9rocsparseL19gebsrmvn_3xn_kernelILj128ELj2ELj4E21rocsparse_complex_numIfEEEvi20rocsparse_direction_NS_24const_host_device_scalarIT2_EEPKiS8_PKS5_SA_S6_PS5_21rocsparse_index_base_b.has_recursion, 0
	.set _ZN9rocsparseL19gebsrmvn_3xn_kernelILj128ELj2ELj4E21rocsparse_complex_numIfEEEvi20rocsparse_direction_NS_24const_host_device_scalarIT2_EEPKiS8_PKS5_SA_S6_PS5_21rocsparse_index_base_b.has_indirect_call, 0
	.section	.AMDGPU.csdata,"",@progbits
; Kernel info:
; codeLenInByte = 1908
; TotalNumSgprs: 18
; NumVgprs: 34
; ScratchSize: 0
; MemoryBound: 0
; FloatMode: 240
; IeeeMode: 1
; LDSByteSize: 0 bytes/workgroup (compile time only)
; SGPRBlocks: 0
; VGPRBlocks: 4
; NumSGPRsForWavesPerEU: 18
; NumVGPRsForWavesPerEU: 34
; Occupancy: 16
; WaveLimiterHint : 1
; COMPUTE_PGM_RSRC2:SCRATCH_EN: 0
; COMPUTE_PGM_RSRC2:USER_SGPR: 6
; COMPUTE_PGM_RSRC2:TRAP_HANDLER: 0
; COMPUTE_PGM_RSRC2:TGID_X_EN: 1
; COMPUTE_PGM_RSRC2:TGID_Y_EN: 0
; COMPUTE_PGM_RSRC2:TGID_Z_EN: 0
; COMPUTE_PGM_RSRC2:TIDIG_COMP_CNT: 0
	.section	.text._ZN9rocsparseL19gebsrmvn_3xn_kernelILj128ELj2ELj8E21rocsparse_complex_numIfEEEvi20rocsparse_direction_NS_24const_host_device_scalarIT2_EEPKiS8_PKS5_SA_S6_PS5_21rocsparse_index_base_b,"axG",@progbits,_ZN9rocsparseL19gebsrmvn_3xn_kernelILj128ELj2ELj8E21rocsparse_complex_numIfEEEvi20rocsparse_direction_NS_24const_host_device_scalarIT2_EEPKiS8_PKS5_SA_S6_PS5_21rocsparse_index_base_b,comdat
	.globl	_ZN9rocsparseL19gebsrmvn_3xn_kernelILj128ELj2ELj8E21rocsparse_complex_numIfEEEvi20rocsparse_direction_NS_24const_host_device_scalarIT2_EEPKiS8_PKS5_SA_S6_PS5_21rocsparse_index_base_b ; -- Begin function _ZN9rocsparseL19gebsrmvn_3xn_kernelILj128ELj2ELj8E21rocsparse_complex_numIfEEEvi20rocsparse_direction_NS_24const_host_device_scalarIT2_EEPKiS8_PKS5_SA_S6_PS5_21rocsparse_index_base_b
	.p2align	8
	.type	_ZN9rocsparseL19gebsrmvn_3xn_kernelILj128ELj2ELj8E21rocsparse_complex_numIfEEEvi20rocsparse_direction_NS_24const_host_device_scalarIT2_EEPKiS8_PKS5_SA_S6_PS5_21rocsparse_index_base_b,@function
_ZN9rocsparseL19gebsrmvn_3xn_kernelILj128ELj2ELj8E21rocsparse_complex_numIfEEEvi20rocsparse_direction_NS_24const_host_device_scalarIT2_EEPKiS8_PKS5_SA_S6_PS5_21rocsparse_index_base_b: ; @_ZN9rocsparseL19gebsrmvn_3xn_kernelILj128ELj2ELj8E21rocsparse_complex_numIfEEEvi20rocsparse_direction_NS_24const_host_device_scalarIT2_EEPKiS8_PKS5_SA_S6_PS5_21rocsparse_index_base_b
; %bb.0:
	s_clause 0x2
	s_load_dwordx2 s[2:3], s[4:5], 0x40
	s_load_dwordx2 s[0:1], s[4:5], 0x8
	;; [unrolled: 1-line block ×3, first 2 shown]
	s_add_u32 s7, s4, 8
	s_addc_u32 s10, s5, 0
	s_add_u32 s11, s4, 48
	s_addc_u32 s12, s5, 0
	s_waitcnt lgkmcnt(0)
	s_bitcmp1_b32 s3, 0
	s_cselect_b32 s0, s7, s0
	s_cselect_b32 s1, s10, s1
	v_mov_b32_e32 v1, s0
	v_mov_b32_e32 v2, s1
	s_cselect_b32 s0, s11, s8
	s_cselect_b32 s1, s12, s9
	v_mov_b32_e32 v3, s0
	v_mov_b32_e32 v4, s1
	flat_load_dwordx2 v[1:2], v[1:2]
	flat_load_dwordx2 v[3:4], v[3:4]
	s_waitcnt vmcnt(1) lgkmcnt(1)
	v_cmp_eq_f32_e32 vcc_lo, 0, v1
	v_cmp_eq_f32_e64 s0, 0, v2
	s_and_b32 s3, vcc_lo, s0
	s_mov_b32 s0, -1
	s_and_saveexec_b32 s1, s3
	s_cbranch_execz .LBB80_2
; %bb.1:
	s_waitcnt vmcnt(0) lgkmcnt(0)
	v_cmp_neq_f32_e32 vcc_lo, 1.0, v3
	v_cmp_neq_f32_e64 s0, 0, v4
	s_or_b32 s0, vcc_lo, s0
	s_orn2_b32 s0, s0, exec_lo
.LBB80_2:
	s_or_b32 exec_lo, exec_lo, s1
	s_and_saveexec_b32 s1, s0
	s_cbranch_execz .LBB80_21
; %bb.3:
	s_load_dwordx2 s[0:1], s[4:5], 0x0
	v_lshrrev_b32_e32 v5, 3, v0
	v_lshl_or_b32 v5, s6, 4, v5
	s_waitcnt lgkmcnt(0)
	v_cmp_gt_i32_e32 vcc_lo, s0, v5
	s_and_b32 exec_lo, exec_lo, vcc_lo
	s_cbranch_execz .LBB80_21
; %bb.4:
	s_load_dwordx8 s[8:15], s[4:5], 0x10
	v_ashrrev_i32_e32 v6, 31, v5
	v_and_b32_e32 v0, 7, v0
	s_cmp_lg_u32 s1, 0
	v_lshlrev_b64 v[6:7], 2, v[5:6]
	s_waitcnt lgkmcnt(0)
	v_add_co_u32 v6, vcc_lo, s8, v6
	v_add_co_ci_u32_e64 v7, null, s9, v7, vcc_lo
	global_load_dwordx2 v[6:7], v[6:7], off
	s_waitcnt vmcnt(0)
	v_subrev_nc_u32_e32 v6, s2, v6
	v_subrev_nc_u32_e32 v19, s2, v7
	v_add_nc_u32_e32 v6, v6, v0
	v_cmp_lt_i32_e64 s0, v6, v19
	s_cbranch_scc0 .LBB80_10
; %bb.5:
	v_mov_b32_e32 v13, 0
	v_mov_b32_e32 v16, 0
	;; [unrolled: 1-line block ×6, first 2 shown]
	s_and_saveexec_b32 s3, s0
	s_cbranch_execz .LBB80_9
; %bb.6:
	v_mad_u64_u32 v[7:8], null, v6, 6, 5
	v_mov_b32_e32 v10, 0
	v_mov_b32_e32 v11, v6
	;; [unrolled: 1-line block ×8, first 2 shown]
	s_mov_b32 s6, 0
.LBB80_7:                               ; =>This Inner Loop Header: Depth=1
	v_ashrrev_i32_e32 v12, 31, v11
	v_mov_b32_e32 v25, v10
	v_lshlrev_b64 v[8:9], 2, v[11:12]
	v_add_nc_u32_e32 v11, 8, v11
	v_add_co_u32 v8, vcc_lo, s10, v8
	v_add_co_ci_u32_e64 v9, null, s11, v9, vcc_lo
	global_load_dword v12, v[8:9], off
	v_add_nc_u32_e32 v9, -5, v7
	v_mov_b32_e32 v8, v10
	v_lshlrev_b64 v[20:21], 3, v[9:10]
	v_add_nc_u32_e32 v9, -3, v7
	v_lshlrev_b64 v[22:23], 3, v[7:8]
	v_lshlrev_b64 v[26:27], 3, v[9:10]
	v_add_nc_u32_e32 v9, -2, v7
	v_add_co_u32 v20, vcc_lo, s12, v20
	v_add_co_ci_u32_e64 v21, null, s13, v21, vcc_lo
	v_add_co_u32 v28, vcc_lo, s12, v22
	v_add_co_ci_u32_e64 v29, null, s13, v23, vcc_lo
	v_lshlrev_b64 v[30:31], 3, v[9:10]
	v_add_nc_u32_e32 v9, -1, v7
	v_add_co_u32 v26, vcc_lo, s12, v26
	v_add_co_ci_u32_e64 v27, null, s13, v27, vcc_lo
	v_lshlrev_b64 v[8:9], 3, v[9:10]
	global_load_dwordx4 v[20:23], v[20:21], off
	v_add_co_u32 v30, vcc_lo, s12, v30
	global_load_dwordx2 v[32:33], v[26:27], off
	v_add_co_ci_u32_e64 v31, null, s13, v31, vcc_lo
	v_add_co_u32 v8, vcc_lo, s12, v8
	v_add_co_ci_u32_e64 v9, null, s13, v9, vcc_lo
	v_cmp_ge_i32_e32 vcc_lo, v11, v19
	v_add_nc_u32_e32 v7, 48, v7
	s_or_b32 s6, vcc_lo, s6
	s_waitcnt vmcnt(2)
	v_subrev_nc_u32_e32 v12, s2, v12
	v_lshlrev_b32_e32 v24, 1, v12
	v_lshlrev_b64 v[24:25], 3, v[24:25]
	v_add_co_u32 v24, s1, s14, v24
	v_add_co_ci_u32_e64 v25, null, s15, v25, s1
	global_load_dwordx4 v[24:27], v[24:25], off
	s_clause 0x2
	global_load_dwordx2 v[30:31], v[30:31], off
	global_load_dwordx2 v[8:9], v[8:9], off
	;; [unrolled: 1-line block ×3, first 2 shown]
	s_waitcnt vmcnt(3)
	v_fmac_f32_e32 v16, v20, v24
	v_fmac_f32_e32 v13, v21, v24
	;; [unrolled: 1-line block ×6, first 2 shown]
	v_fma_f32 v12, -v21, v25, v16
	v_fmac_f32_e32 v13, v20, v25
	v_fma_f32 v18, -v23, v25, v18
	v_fmac_f32_e32 v15, v22, v25
	;; [unrolled: 2-line block ×3, first 2 shown]
	s_waitcnt vmcnt(2)
	v_fmac_f32_e32 v12, v30, v26
	v_fmac_f32_e32 v13, v31, v26
	s_waitcnt vmcnt(1)
	v_fmac_f32_e32 v18, v8, v26
	v_fmac_f32_e32 v15, v9, v26
	;; [unrolled: 3-line block ×3, first 2 shown]
	v_fma_f32 v16, -v31, v27, v12
	v_fmac_f32_e32 v13, v30, v27
	v_fma_f32 v18, -v9, v27, v18
	v_fmac_f32_e32 v15, v8, v27
	;; [unrolled: 2-line block ×3, first 2 shown]
	s_andn2_b32 exec_lo, exec_lo, s6
	s_cbranch_execnz .LBB80_7
; %bb.8:
	s_or_b32 exec_lo, exec_lo, s6
.LBB80_9:
	s_or_b32 exec_lo, exec_lo, s3
	s_cbranch_execz .LBB80_11
	s_branch .LBB80_16
.LBB80_10:
                                        ; implicit-def: $vgpr13
                                        ; implicit-def: $vgpr16
                                        ; implicit-def: $vgpr17
                                        ; implicit-def: $vgpr14
                                        ; implicit-def: $vgpr18
                                        ; implicit-def: $vgpr15
.LBB80_11:
	v_mov_b32_e32 v13, 0
	v_mov_b32_e32 v16, 0
	;; [unrolled: 1-line block ×6, first 2 shown]
	s_and_saveexec_b32 s1, s0
	s_cbranch_execz .LBB80_15
; %bb.12:
	v_mad_u64_u32 v[8:9], null, v6, 6, 5
	v_mov_b32_e32 v11, 0
	v_mov_b32_e32 v13, 0
	;; [unrolled: 1-line block ×7, first 2 shown]
	s_mov_b32 s3, 0
.LBB80_13:                              ; =>This Inner Loop Header: Depth=1
	v_ashrrev_i32_e32 v7, 31, v6
	v_add_nc_u32_e32 v20, -3, v8
	v_mov_b32_e32 v25, v11
	v_mov_b32_e32 v21, v11
	v_add_nc_u32_e32 v22, -1, v8
	v_lshlrev_b64 v[9:10], 2, v[6:7]
	v_mov_b32_e32 v23, v11
	v_add_nc_u32_e32 v6, 8, v6
	v_lshlrev_b64 v[20:21], 3, v[20:21]
	v_lshlrev_b64 v[22:23], 3, v[22:23]
	v_add_co_u32 v9, vcc_lo, s10, v9
	v_add_co_ci_u32_e64 v10, null, s11, v10, vcc_lo
	global_load_dword v7, v[9:10], off
	v_add_nc_u32_e32 v10, -5, v8
	v_mov_b32_e32 v9, v11
	v_lshlrev_b64 v[26:27], 3, v[10:11]
	v_add_nc_u32_e32 v10, -2, v8
	v_lshlrev_b64 v[28:29], 3, v[8:9]
	v_add_nc_u32_e32 v8, 48, v8
	v_add_co_u32 v26, vcc_lo, s12, v26
	v_add_co_ci_u32_e64 v27, null, s13, v27, vcc_lo
	v_add_co_u32 v30, vcc_lo, s12, v20
	v_add_co_ci_u32_e64 v31, null, s13, v21, vcc_lo
	v_add_co_u32 v32, vcc_lo, s12, v22
	v_lshlrev_b64 v[9:10], 3, v[10:11]
	v_add_co_ci_u32_e64 v33, null, s13, v23, vcc_lo
	s_clause 0x2
	global_load_dwordx4 v[20:23], v[26:27], off
	global_load_dwordx2 v[30:31], v[30:31], off
	global_load_dwordx2 v[32:33], v[32:33], off
	v_add_co_u32 v28, vcc_lo, s12, v28
	v_add_co_ci_u32_e64 v29, null, s13, v29, vcc_lo
	v_add_co_u32 v9, vcc_lo, s12, v9
	v_add_co_ci_u32_e64 v10, null, s13, v10, vcc_lo
	v_cmp_ge_i32_e32 vcc_lo, v6, v19
	s_or_b32 s3, vcc_lo, s3
	s_waitcnt vmcnt(3)
	v_subrev_nc_u32_e32 v7, s2, v7
	v_lshlrev_b32_e32 v24, 1, v7
	v_lshlrev_b64 v[24:25], 3, v[24:25]
	v_add_co_u32 v24, s0, s14, v24
	v_add_co_ci_u32_e64 v25, null, s15, v25, s0
	global_load_dwordx4 v[24:27], v[24:25], off
	s_clause 0x1
	global_load_dwordx2 v[9:10], v[9:10], off
	global_load_dwordx2 v[28:29], v[28:29], off
	s_waitcnt vmcnt(2)
	v_fmac_f32_e32 v16, v20, v24
	v_fmac_f32_e32 v13, v21, v24
	;; [unrolled: 1-line block ×6, first 2 shown]
	v_fma_f32 v7, -v21, v25, v16
	v_fmac_f32_e32 v13, v20, v25
	v_fma_f32 v12, -v31, v25, v18
	v_fmac_f32_e32 v15, v30, v25
	;; [unrolled: 2-line block ×3, first 2 shown]
	v_fmac_f32_e32 v7, v22, v26
	v_fmac_f32_e32 v13, v23, v26
	s_waitcnt vmcnt(1)
	v_fmac_f32_e32 v12, v9, v26
	v_fmac_f32_e32 v15, v10, v26
	s_waitcnt vmcnt(0)
	v_fmac_f32_e32 v17, v28, v26
	v_fmac_f32_e32 v14, v29, v26
	v_fma_f32 v16, -v23, v27, v7
	v_fmac_f32_e32 v13, v22, v27
	v_fma_f32 v18, -v10, v27, v12
	;; [unrolled: 2-line block ×3, first 2 shown]
	v_fmac_f32_e32 v14, v28, v27
	s_andn2_b32 exec_lo, exec_lo, s3
	s_cbranch_execnz .LBB80_13
; %bb.14:
	s_or_b32 exec_lo, exec_lo, s3
.LBB80_15:
	s_or_b32 exec_lo, exec_lo, s1
.LBB80_16:
	v_mbcnt_lo_u32_b32 v6, -1, 0
	v_xor_b32_e32 v7, 4, v6
	v_xor_b32_e32 v19, 2, v6
	v_cmp_gt_i32_e32 vcc_lo, 32, v7
	v_cndmask_b32_e32 v7, v6, v7, vcc_lo
	v_cmp_gt_i32_e32 vcc_lo, 32, v19
	v_lshlrev_b32_e32 v7, 2, v7
	v_cndmask_b32_e32 v19, v6, v19, vcc_lo
	ds_bpermute_b32 v8, v7, v16
	ds_bpermute_b32 v9, v7, v13
	;; [unrolled: 1-line block ×6, first 2 shown]
	v_lshlrev_b32_e32 v19, 2, v19
	s_waitcnt lgkmcnt(5)
	v_add_f32_e32 v8, v16, v8
	s_waitcnt lgkmcnt(4)
	v_add_f32_e32 v9, v13, v9
	;; [unrolled: 2-line block ×6, first 2 shown]
	ds_bpermute_b32 v7, v19, v8
	ds_bpermute_b32 v11, v19, v9
	;; [unrolled: 1-line block ×6, first 2 shown]
	v_xor_b32_e32 v19, 1, v6
	v_cmp_gt_i32_e32 vcc_lo, 32, v19
	v_cndmask_b32_e32 v6, v6, v19, vcc_lo
	v_cmp_eq_u32_e32 vcc_lo, 7, v0
	v_lshlrev_b32_e32 v19, 2, v6
	s_waitcnt lgkmcnt(5)
	v_add_f32_e32 v6, v8, v7
	s_waitcnt lgkmcnt(4)
	v_add_f32_e32 v9, v9, v11
	;; [unrolled: 2-line block ×6, first 2 shown]
	ds_bpermute_b32 v10, v19, v6
	ds_bpermute_b32 v15, v19, v9
	;; [unrolled: 1-line block ×6, first 2 shown]
	s_and_b32 exec_lo, exec_lo, vcc_lo
	s_cbranch_execz .LBB80_21
; %bb.17:
	s_load_dwordx2 s[2:3], s[4:5], 0x38
	v_cmp_eq_f32_e32 vcc_lo, 0, v3
	v_cmp_eq_f32_e64 s0, 0, v4
	s_waitcnt lgkmcnt(0)
	v_add_f32_e32 v0, v6, v10
	v_add_f32_e32 v10, v9, v15
	;; [unrolled: 1-line block ×6, first 2 shown]
	s_and_b32 s0, vcc_lo, s0
	s_and_saveexec_b32 s1, s0
	s_xor_b32 s0, exec_lo, s1
	s_cbranch_execz .LBB80_19
; %bb.18:
	v_lshl_add_u32 v3, v5, 1, v5
	v_mul_f32_e64 v11, v10, -v2
	v_mul_f32_e32 v12, v1, v10
	v_mul_f32_e64 v13, v9, -v2
	v_mul_f32_e32 v14, v1, v9
	v_ashrrev_i32_e32 v4, 31, v3
	v_mul_f32_e64 v9, v8, -v2
	v_mul_f32_e32 v10, v1, v8
	v_fmac_f32_e32 v11, v1, v0
	v_fmac_f32_e32 v12, v2, v0
	v_lshlrev_b64 v[3:4], 3, v[3:4]
	v_fmac_f32_e32 v13, v1, v6
	v_fmac_f32_e32 v14, v2, v6
	;; [unrolled: 1-line block ×4, first 2 shown]
                                        ; implicit-def: $vgpr5
                                        ; implicit-def: $vgpr0
                                        ; implicit-def: $vgpr6
                                        ; implicit-def: $vgpr7
                                        ; implicit-def: $vgpr8
                                        ; implicit-def: $vgpr1_vgpr2
	v_add_co_u32 v3, vcc_lo, s2, v3
	v_add_co_ci_u32_e64 v4, null, s3, v4, vcc_lo
	global_store_dwordx4 v[3:4], v[11:14], off
	global_store_dwordx2 v[3:4], v[9:10], off offset:16
                                        ; implicit-def: $vgpr10
                                        ; implicit-def: $vgpr9
                                        ; implicit-def: $vgpr3_vgpr4
.LBB80_19:
	s_andn2_saveexec_b32 s0, s0
	s_cbranch_execz .LBB80_21
; %bb.20:
	v_lshl_add_u32 v11, v5, 1, v5
	v_mul_f32_e64 v15, v10, -v2
	v_mul_f32_e32 v16, v1, v10
	v_mul_f32_e64 v10, v9, -v2
	v_mul_f32_e32 v18, v1, v9
	v_ashrrev_i32_e32 v12, 31, v11
	v_mul_f32_e64 v9, v8, -v2
	v_mul_f32_e32 v5, v1, v8
	v_fmac_f32_e32 v15, v1, v0
	v_fmac_f32_e32 v16, v2, v0
	v_lshlrev_b64 v[11:12], 3, v[11:12]
	v_fmac_f32_e32 v10, v1, v6
	v_fmac_f32_e32 v18, v2, v6
	;; [unrolled: 1-line block ×4, first 2 shown]
	v_add_co_u32 v19, vcc_lo, s2, v11
	v_add_co_ci_u32_e64 v20, null, s3, v12, vcc_lo
	s_clause 0x1
	global_load_dwordx4 v[11:14], v[19:20], off
	global_load_dwordx2 v[21:22], v[19:20], off offset:16
	s_waitcnt vmcnt(1)
	v_fmac_f32_e32 v15, v3, v11
	v_fmac_f32_e32 v16, v4, v11
	;; [unrolled: 1-line block ×4, first 2 shown]
	s_waitcnt vmcnt(0)
	v_fmac_f32_e32 v9, v3, v21
	v_fmac_f32_e32 v5, v4, v21
	v_fma_f32 v15, -v4, v12, v15
	v_fmac_f32_e32 v16, v3, v12
	v_fma_f32 v17, -v4, v14, v10
	;; [unrolled: 2-line block ×3, first 2 shown]
	v_fmac_f32_e32 v5, v3, v22
	global_store_dwordx4 v[19:20], v[15:18], off
	global_store_dwordx2 v[19:20], v[4:5], off offset:16
.LBB80_21:
	s_endpgm
	.section	.rodata,"a",@progbits
	.p2align	6, 0x0
	.amdhsa_kernel _ZN9rocsparseL19gebsrmvn_3xn_kernelILj128ELj2ELj8E21rocsparse_complex_numIfEEEvi20rocsparse_direction_NS_24const_host_device_scalarIT2_EEPKiS8_PKS5_SA_S6_PS5_21rocsparse_index_base_b
		.amdhsa_group_segment_fixed_size 0
		.amdhsa_private_segment_fixed_size 0
		.amdhsa_kernarg_size 72
		.amdhsa_user_sgpr_count 6
		.amdhsa_user_sgpr_private_segment_buffer 1
		.amdhsa_user_sgpr_dispatch_ptr 0
		.amdhsa_user_sgpr_queue_ptr 0
		.amdhsa_user_sgpr_kernarg_segment_ptr 1
		.amdhsa_user_sgpr_dispatch_id 0
		.amdhsa_user_sgpr_flat_scratch_init 0
		.amdhsa_user_sgpr_private_segment_size 0
		.amdhsa_wavefront_size32 1
		.amdhsa_uses_dynamic_stack 0
		.amdhsa_system_sgpr_private_segment_wavefront_offset 0
		.amdhsa_system_sgpr_workgroup_id_x 1
		.amdhsa_system_sgpr_workgroup_id_y 0
		.amdhsa_system_sgpr_workgroup_id_z 0
		.amdhsa_system_sgpr_workgroup_info 0
		.amdhsa_system_vgpr_workitem_id 0
		.amdhsa_next_free_vgpr 34
		.amdhsa_next_free_sgpr 16
		.amdhsa_reserve_vcc 1
		.amdhsa_reserve_flat_scratch 0
		.amdhsa_float_round_mode_32 0
		.amdhsa_float_round_mode_16_64 0
		.amdhsa_float_denorm_mode_32 3
		.amdhsa_float_denorm_mode_16_64 3
		.amdhsa_dx10_clamp 1
		.amdhsa_ieee_mode 1
		.amdhsa_fp16_overflow 0
		.amdhsa_workgroup_processor_mode 1
		.amdhsa_memory_ordered 1
		.amdhsa_forward_progress 1
		.amdhsa_shared_vgpr_count 0
		.amdhsa_exception_fp_ieee_invalid_op 0
		.amdhsa_exception_fp_denorm_src 0
		.amdhsa_exception_fp_ieee_div_zero 0
		.amdhsa_exception_fp_ieee_overflow 0
		.amdhsa_exception_fp_ieee_underflow 0
		.amdhsa_exception_fp_ieee_inexact 0
		.amdhsa_exception_int_div_zero 0
	.end_amdhsa_kernel
	.section	.text._ZN9rocsparseL19gebsrmvn_3xn_kernelILj128ELj2ELj8E21rocsparse_complex_numIfEEEvi20rocsparse_direction_NS_24const_host_device_scalarIT2_EEPKiS8_PKS5_SA_S6_PS5_21rocsparse_index_base_b,"axG",@progbits,_ZN9rocsparseL19gebsrmvn_3xn_kernelILj128ELj2ELj8E21rocsparse_complex_numIfEEEvi20rocsparse_direction_NS_24const_host_device_scalarIT2_EEPKiS8_PKS5_SA_S6_PS5_21rocsparse_index_base_b,comdat
.Lfunc_end80:
	.size	_ZN9rocsparseL19gebsrmvn_3xn_kernelILj128ELj2ELj8E21rocsparse_complex_numIfEEEvi20rocsparse_direction_NS_24const_host_device_scalarIT2_EEPKiS8_PKS5_SA_S6_PS5_21rocsparse_index_base_b, .Lfunc_end80-_ZN9rocsparseL19gebsrmvn_3xn_kernelILj128ELj2ELj8E21rocsparse_complex_numIfEEEvi20rocsparse_direction_NS_24const_host_device_scalarIT2_EEPKiS8_PKS5_SA_S6_PS5_21rocsparse_index_base_b
                                        ; -- End function
	.set _ZN9rocsparseL19gebsrmvn_3xn_kernelILj128ELj2ELj8E21rocsparse_complex_numIfEEEvi20rocsparse_direction_NS_24const_host_device_scalarIT2_EEPKiS8_PKS5_SA_S6_PS5_21rocsparse_index_base_b.num_vgpr, 34
	.set _ZN9rocsparseL19gebsrmvn_3xn_kernelILj128ELj2ELj8E21rocsparse_complex_numIfEEEvi20rocsparse_direction_NS_24const_host_device_scalarIT2_EEPKiS8_PKS5_SA_S6_PS5_21rocsparse_index_base_b.num_agpr, 0
	.set _ZN9rocsparseL19gebsrmvn_3xn_kernelILj128ELj2ELj8E21rocsparse_complex_numIfEEEvi20rocsparse_direction_NS_24const_host_device_scalarIT2_EEPKiS8_PKS5_SA_S6_PS5_21rocsparse_index_base_b.numbered_sgpr, 16
	.set _ZN9rocsparseL19gebsrmvn_3xn_kernelILj128ELj2ELj8E21rocsparse_complex_numIfEEEvi20rocsparse_direction_NS_24const_host_device_scalarIT2_EEPKiS8_PKS5_SA_S6_PS5_21rocsparse_index_base_b.num_named_barrier, 0
	.set _ZN9rocsparseL19gebsrmvn_3xn_kernelILj128ELj2ELj8E21rocsparse_complex_numIfEEEvi20rocsparse_direction_NS_24const_host_device_scalarIT2_EEPKiS8_PKS5_SA_S6_PS5_21rocsparse_index_base_b.private_seg_size, 0
	.set _ZN9rocsparseL19gebsrmvn_3xn_kernelILj128ELj2ELj8E21rocsparse_complex_numIfEEEvi20rocsparse_direction_NS_24const_host_device_scalarIT2_EEPKiS8_PKS5_SA_S6_PS5_21rocsparse_index_base_b.uses_vcc, 1
	.set _ZN9rocsparseL19gebsrmvn_3xn_kernelILj128ELj2ELj8E21rocsparse_complex_numIfEEEvi20rocsparse_direction_NS_24const_host_device_scalarIT2_EEPKiS8_PKS5_SA_S6_PS5_21rocsparse_index_base_b.uses_flat_scratch, 0
	.set _ZN9rocsparseL19gebsrmvn_3xn_kernelILj128ELj2ELj8E21rocsparse_complex_numIfEEEvi20rocsparse_direction_NS_24const_host_device_scalarIT2_EEPKiS8_PKS5_SA_S6_PS5_21rocsparse_index_base_b.has_dyn_sized_stack, 0
	.set _ZN9rocsparseL19gebsrmvn_3xn_kernelILj128ELj2ELj8E21rocsparse_complex_numIfEEEvi20rocsparse_direction_NS_24const_host_device_scalarIT2_EEPKiS8_PKS5_SA_S6_PS5_21rocsparse_index_base_b.has_recursion, 0
	.set _ZN9rocsparseL19gebsrmvn_3xn_kernelILj128ELj2ELj8E21rocsparse_complex_numIfEEEvi20rocsparse_direction_NS_24const_host_device_scalarIT2_EEPKiS8_PKS5_SA_S6_PS5_21rocsparse_index_base_b.has_indirect_call, 0
	.section	.AMDGPU.csdata,"",@progbits
; Kernel info:
; codeLenInByte = 2020
; TotalNumSgprs: 18
; NumVgprs: 34
; ScratchSize: 0
; MemoryBound: 0
; FloatMode: 240
; IeeeMode: 1
; LDSByteSize: 0 bytes/workgroup (compile time only)
; SGPRBlocks: 0
; VGPRBlocks: 4
; NumSGPRsForWavesPerEU: 18
; NumVGPRsForWavesPerEU: 34
; Occupancy: 16
; WaveLimiterHint : 1
; COMPUTE_PGM_RSRC2:SCRATCH_EN: 0
; COMPUTE_PGM_RSRC2:USER_SGPR: 6
; COMPUTE_PGM_RSRC2:TRAP_HANDLER: 0
; COMPUTE_PGM_RSRC2:TGID_X_EN: 1
; COMPUTE_PGM_RSRC2:TGID_Y_EN: 0
; COMPUTE_PGM_RSRC2:TGID_Z_EN: 0
; COMPUTE_PGM_RSRC2:TIDIG_COMP_CNT: 0
	.section	.text._ZN9rocsparseL19gebsrmvn_3xn_kernelILj128ELj2ELj16E21rocsparse_complex_numIfEEEvi20rocsparse_direction_NS_24const_host_device_scalarIT2_EEPKiS8_PKS5_SA_S6_PS5_21rocsparse_index_base_b,"axG",@progbits,_ZN9rocsparseL19gebsrmvn_3xn_kernelILj128ELj2ELj16E21rocsparse_complex_numIfEEEvi20rocsparse_direction_NS_24const_host_device_scalarIT2_EEPKiS8_PKS5_SA_S6_PS5_21rocsparse_index_base_b,comdat
	.globl	_ZN9rocsparseL19gebsrmvn_3xn_kernelILj128ELj2ELj16E21rocsparse_complex_numIfEEEvi20rocsparse_direction_NS_24const_host_device_scalarIT2_EEPKiS8_PKS5_SA_S6_PS5_21rocsparse_index_base_b ; -- Begin function _ZN9rocsparseL19gebsrmvn_3xn_kernelILj128ELj2ELj16E21rocsparse_complex_numIfEEEvi20rocsparse_direction_NS_24const_host_device_scalarIT2_EEPKiS8_PKS5_SA_S6_PS5_21rocsparse_index_base_b
	.p2align	8
	.type	_ZN9rocsparseL19gebsrmvn_3xn_kernelILj128ELj2ELj16E21rocsparse_complex_numIfEEEvi20rocsparse_direction_NS_24const_host_device_scalarIT2_EEPKiS8_PKS5_SA_S6_PS5_21rocsparse_index_base_b,@function
_ZN9rocsparseL19gebsrmvn_3xn_kernelILj128ELj2ELj16E21rocsparse_complex_numIfEEEvi20rocsparse_direction_NS_24const_host_device_scalarIT2_EEPKiS8_PKS5_SA_S6_PS5_21rocsparse_index_base_b: ; @_ZN9rocsparseL19gebsrmvn_3xn_kernelILj128ELj2ELj16E21rocsparse_complex_numIfEEEvi20rocsparse_direction_NS_24const_host_device_scalarIT2_EEPKiS8_PKS5_SA_S6_PS5_21rocsparse_index_base_b
; %bb.0:
	s_clause 0x2
	s_load_dwordx2 s[2:3], s[4:5], 0x40
	s_load_dwordx2 s[0:1], s[4:5], 0x8
	;; [unrolled: 1-line block ×3, first 2 shown]
	s_add_u32 s7, s4, 8
	s_addc_u32 s10, s5, 0
	s_add_u32 s11, s4, 48
	s_addc_u32 s12, s5, 0
	s_waitcnt lgkmcnt(0)
	s_bitcmp1_b32 s3, 0
	s_cselect_b32 s0, s7, s0
	s_cselect_b32 s1, s10, s1
	v_mov_b32_e32 v1, s0
	v_mov_b32_e32 v2, s1
	s_cselect_b32 s0, s11, s8
	s_cselect_b32 s1, s12, s9
	v_mov_b32_e32 v3, s0
	v_mov_b32_e32 v4, s1
	flat_load_dwordx2 v[1:2], v[1:2]
	flat_load_dwordx2 v[3:4], v[3:4]
	s_waitcnt vmcnt(1) lgkmcnt(1)
	v_cmp_eq_f32_e32 vcc_lo, 0, v1
	v_cmp_eq_f32_e64 s0, 0, v2
	s_and_b32 s3, vcc_lo, s0
	s_mov_b32 s0, -1
	s_and_saveexec_b32 s1, s3
	s_cbranch_execz .LBB81_2
; %bb.1:
	s_waitcnt vmcnt(0) lgkmcnt(0)
	v_cmp_neq_f32_e32 vcc_lo, 1.0, v3
	v_cmp_neq_f32_e64 s0, 0, v4
	s_or_b32 s0, vcc_lo, s0
	s_orn2_b32 s0, s0, exec_lo
.LBB81_2:
	s_or_b32 exec_lo, exec_lo, s1
	s_and_saveexec_b32 s1, s0
	s_cbranch_execz .LBB81_21
; %bb.3:
	s_load_dwordx2 s[0:1], s[4:5], 0x0
	v_lshrrev_b32_e32 v5, 4, v0
	v_lshl_or_b32 v5, s6, 3, v5
	s_waitcnt lgkmcnt(0)
	v_cmp_gt_i32_e32 vcc_lo, s0, v5
	s_and_b32 exec_lo, exec_lo, vcc_lo
	s_cbranch_execz .LBB81_21
; %bb.4:
	s_load_dwordx8 s[8:15], s[4:5], 0x10
	v_ashrrev_i32_e32 v6, 31, v5
	v_and_b32_e32 v0, 15, v0
	s_cmp_lg_u32 s1, 0
	v_lshlrev_b64 v[6:7], 2, v[5:6]
	s_waitcnt lgkmcnt(0)
	v_add_co_u32 v6, vcc_lo, s8, v6
	v_add_co_ci_u32_e64 v7, null, s9, v7, vcc_lo
	global_load_dwordx2 v[6:7], v[6:7], off
	s_waitcnt vmcnt(0)
	v_subrev_nc_u32_e32 v6, s2, v6
	v_subrev_nc_u32_e32 v19, s2, v7
	v_add_nc_u32_e32 v6, v6, v0
	v_cmp_lt_i32_e64 s0, v6, v19
	s_cbranch_scc0 .LBB81_10
; %bb.5:
	v_mov_b32_e32 v13, 0
	v_mov_b32_e32 v16, 0
	;; [unrolled: 1-line block ×6, first 2 shown]
	s_and_saveexec_b32 s3, s0
	s_cbranch_execz .LBB81_9
; %bb.6:
	v_mad_u64_u32 v[7:8], null, v6, 6, 5
	v_mov_b32_e32 v10, 0
	v_mov_b32_e32 v11, v6
	;; [unrolled: 1-line block ×8, first 2 shown]
	s_mov_b32 s6, 0
.LBB81_7:                               ; =>This Inner Loop Header: Depth=1
	v_ashrrev_i32_e32 v12, 31, v11
	v_mov_b32_e32 v25, v10
	v_lshlrev_b64 v[8:9], 2, v[11:12]
	v_add_nc_u32_e32 v11, 16, v11
	v_add_co_u32 v8, vcc_lo, s10, v8
	v_add_co_ci_u32_e64 v9, null, s11, v9, vcc_lo
	global_load_dword v12, v[8:9], off
	v_add_nc_u32_e32 v9, -5, v7
	v_mov_b32_e32 v8, v10
	v_lshlrev_b64 v[20:21], 3, v[9:10]
	v_add_nc_u32_e32 v9, -3, v7
	v_lshlrev_b64 v[22:23], 3, v[7:8]
	v_lshlrev_b64 v[26:27], 3, v[9:10]
	v_add_nc_u32_e32 v9, -2, v7
	v_add_co_u32 v20, vcc_lo, s12, v20
	v_add_co_ci_u32_e64 v21, null, s13, v21, vcc_lo
	v_add_co_u32 v28, vcc_lo, s12, v22
	v_add_co_ci_u32_e64 v29, null, s13, v23, vcc_lo
	v_lshlrev_b64 v[30:31], 3, v[9:10]
	v_add_nc_u32_e32 v9, -1, v7
	v_add_co_u32 v26, vcc_lo, s12, v26
	v_add_co_ci_u32_e64 v27, null, s13, v27, vcc_lo
	v_lshlrev_b64 v[8:9], 3, v[9:10]
	global_load_dwordx4 v[20:23], v[20:21], off
	v_add_co_u32 v30, vcc_lo, s12, v30
	global_load_dwordx2 v[32:33], v[26:27], off
	v_add_co_ci_u32_e64 v31, null, s13, v31, vcc_lo
	v_add_co_u32 v8, vcc_lo, s12, v8
	v_add_co_ci_u32_e64 v9, null, s13, v9, vcc_lo
	v_cmp_ge_i32_e32 vcc_lo, v11, v19
	v_add_nc_u32_e32 v7, 0x60, v7
	s_or_b32 s6, vcc_lo, s6
	s_waitcnt vmcnt(2)
	v_subrev_nc_u32_e32 v12, s2, v12
	v_lshlrev_b32_e32 v24, 1, v12
	v_lshlrev_b64 v[24:25], 3, v[24:25]
	v_add_co_u32 v24, s1, s14, v24
	v_add_co_ci_u32_e64 v25, null, s15, v25, s1
	global_load_dwordx4 v[24:27], v[24:25], off
	s_clause 0x2
	global_load_dwordx2 v[30:31], v[30:31], off
	global_load_dwordx2 v[8:9], v[8:9], off
	;; [unrolled: 1-line block ×3, first 2 shown]
	s_waitcnt vmcnt(3)
	v_fmac_f32_e32 v16, v20, v24
	v_fmac_f32_e32 v13, v21, v24
	v_fmac_f32_e32 v18, v22, v24
	v_fmac_f32_e32 v15, v23, v24
	v_fmac_f32_e32 v17, v32, v24
	v_fmac_f32_e32 v14, v33, v24
	v_fma_f32 v12, -v21, v25, v16
	v_fmac_f32_e32 v13, v20, v25
	v_fma_f32 v18, -v23, v25, v18
	v_fmac_f32_e32 v15, v22, v25
	;; [unrolled: 2-line block ×3, first 2 shown]
	s_waitcnt vmcnt(2)
	v_fmac_f32_e32 v12, v30, v26
	v_fmac_f32_e32 v13, v31, v26
	s_waitcnt vmcnt(1)
	v_fmac_f32_e32 v18, v8, v26
	v_fmac_f32_e32 v15, v9, v26
	;; [unrolled: 3-line block ×3, first 2 shown]
	v_fma_f32 v16, -v31, v27, v12
	v_fmac_f32_e32 v13, v30, v27
	v_fma_f32 v18, -v9, v27, v18
	v_fmac_f32_e32 v15, v8, v27
	;; [unrolled: 2-line block ×3, first 2 shown]
	s_andn2_b32 exec_lo, exec_lo, s6
	s_cbranch_execnz .LBB81_7
; %bb.8:
	s_or_b32 exec_lo, exec_lo, s6
.LBB81_9:
	s_or_b32 exec_lo, exec_lo, s3
	s_cbranch_execz .LBB81_11
	s_branch .LBB81_16
.LBB81_10:
                                        ; implicit-def: $vgpr13
                                        ; implicit-def: $vgpr16
                                        ; implicit-def: $vgpr17
                                        ; implicit-def: $vgpr14
                                        ; implicit-def: $vgpr18
                                        ; implicit-def: $vgpr15
.LBB81_11:
	v_mov_b32_e32 v13, 0
	v_mov_b32_e32 v16, 0
	;; [unrolled: 1-line block ×6, first 2 shown]
	s_and_saveexec_b32 s1, s0
	s_cbranch_execz .LBB81_15
; %bb.12:
	v_mad_u64_u32 v[8:9], null, v6, 6, 5
	v_mov_b32_e32 v11, 0
	v_mov_b32_e32 v13, 0
	;; [unrolled: 1-line block ×7, first 2 shown]
	s_mov_b32 s3, 0
.LBB81_13:                              ; =>This Inner Loop Header: Depth=1
	v_ashrrev_i32_e32 v7, 31, v6
	v_add_nc_u32_e32 v20, -3, v8
	v_mov_b32_e32 v25, v11
	v_mov_b32_e32 v21, v11
	v_add_nc_u32_e32 v22, -1, v8
	v_lshlrev_b64 v[9:10], 2, v[6:7]
	v_mov_b32_e32 v23, v11
	v_add_nc_u32_e32 v6, 16, v6
	v_lshlrev_b64 v[20:21], 3, v[20:21]
	v_lshlrev_b64 v[22:23], 3, v[22:23]
	v_add_co_u32 v9, vcc_lo, s10, v9
	v_add_co_ci_u32_e64 v10, null, s11, v10, vcc_lo
	global_load_dword v7, v[9:10], off
	v_add_nc_u32_e32 v10, -5, v8
	v_mov_b32_e32 v9, v11
	v_lshlrev_b64 v[26:27], 3, v[10:11]
	v_add_nc_u32_e32 v10, -2, v8
	v_lshlrev_b64 v[28:29], 3, v[8:9]
	v_add_nc_u32_e32 v8, 0x60, v8
	v_add_co_u32 v26, vcc_lo, s12, v26
	v_add_co_ci_u32_e64 v27, null, s13, v27, vcc_lo
	v_add_co_u32 v30, vcc_lo, s12, v20
	v_add_co_ci_u32_e64 v31, null, s13, v21, vcc_lo
	v_add_co_u32 v32, vcc_lo, s12, v22
	v_lshlrev_b64 v[9:10], 3, v[10:11]
	v_add_co_ci_u32_e64 v33, null, s13, v23, vcc_lo
	s_clause 0x2
	global_load_dwordx4 v[20:23], v[26:27], off
	global_load_dwordx2 v[30:31], v[30:31], off
	global_load_dwordx2 v[32:33], v[32:33], off
	v_add_co_u32 v28, vcc_lo, s12, v28
	v_add_co_ci_u32_e64 v29, null, s13, v29, vcc_lo
	v_add_co_u32 v9, vcc_lo, s12, v9
	v_add_co_ci_u32_e64 v10, null, s13, v10, vcc_lo
	v_cmp_ge_i32_e32 vcc_lo, v6, v19
	s_or_b32 s3, vcc_lo, s3
	s_waitcnt vmcnt(3)
	v_subrev_nc_u32_e32 v7, s2, v7
	v_lshlrev_b32_e32 v24, 1, v7
	v_lshlrev_b64 v[24:25], 3, v[24:25]
	v_add_co_u32 v24, s0, s14, v24
	v_add_co_ci_u32_e64 v25, null, s15, v25, s0
	global_load_dwordx4 v[24:27], v[24:25], off
	s_clause 0x1
	global_load_dwordx2 v[9:10], v[9:10], off
	global_load_dwordx2 v[28:29], v[28:29], off
	s_waitcnt vmcnt(2)
	v_fmac_f32_e32 v16, v20, v24
	v_fmac_f32_e32 v13, v21, v24
	;; [unrolled: 1-line block ×6, first 2 shown]
	v_fma_f32 v7, -v21, v25, v16
	v_fmac_f32_e32 v13, v20, v25
	v_fma_f32 v12, -v31, v25, v18
	v_fmac_f32_e32 v15, v30, v25
	;; [unrolled: 2-line block ×3, first 2 shown]
	v_fmac_f32_e32 v7, v22, v26
	v_fmac_f32_e32 v13, v23, v26
	s_waitcnt vmcnt(1)
	v_fmac_f32_e32 v12, v9, v26
	v_fmac_f32_e32 v15, v10, v26
	s_waitcnt vmcnt(0)
	v_fmac_f32_e32 v17, v28, v26
	v_fmac_f32_e32 v14, v29, v26
	v_fma_f32 v16, -v23, v27, v7
	v_fmac_f32_e32 v13, v22, v27
	v_fma_f32 v18, -v10, v27, v12
	;; [unrolled: 2-line block ×3, first 2 shown]
	v_fmac_f32_e32 v14, v28, v27
	s_andn2_b32 exec_lo, exec_lo, s3
	s_cbranch_execnz .LBB81_13
; %bb.14:
	s_or_b32 exec_lo, exec_lo, s3
.LBB81_15:
	s_or_b32 exec_lo, exec_lo, s1
.LBB81_16:
	v_mbcnt_lo_u32_b32 v6, -1, 0
	v_xor_b32_e32 v7, 8, v6
	v_xor_b32_e32 v19, 4, v6
	v_cmp_gt_i32_e32 vcc_lo, 32, v7
	v_cndmask_b32_e32 v7, v6, v7, vcc_lo
	v_cmp_gt_i32_e32 vcc_lo, 32, v19
	v_lshlrev_b32_e32 v7, 2, v7
	v_cndmask_b32_e32 v19, v6, v19, vcc_lo
	ds_bpermute_b32 v8, v7, v16
	ds_bpermute_b32 v9, v7, v13
	;; [unrolled: 1-line block ×6, first 2 shown]
	v_lshlrev_b32_e32 v19, 2, v19
	s_waitcnt lgkmcnt(5)
	v_add_f32_e32 v8, v16, v8
	s_waitcnt lgkmcnt(4)
	v_add_f32_e32 v9, v13, v9
	s_waitcnt lgkmcnt(3)
	v_add_f32_e32 v10, v18, v10
	s_waitcnt lgkmcnt(2)
	v_add_f32_e32 v11, v15, v11
	s_waitcnt lgkmcnt(1)
	v_add_f32_e32 v12, v17, v12
	s_waitcnt lgkmcnt(0)
	v_add_f32_e32 v7, v14, v7
	ds_bpermute_b32 v13, v19, v8
	ds_bpermute_b32 v14, v19, v9
	;; [unrolled: 1-line block ×6, first 2 shown]
	v_xor_b32_e32 v19, 2, v6
	v_cmp_gt_i32_e32 vcc_lo, 32, v19
	v_cndmask_b32_e32 v19, v6, v19, vcc_lo
	s_waitcnt lgkmcnt(5)
	v_add_f32_e32 v8, v8, v13
	v_lshlrev_b32_e32 v19, 2, v19
	s_waitcnt lgkmcnt(4)
	v_add_f32_e32 v9, v9, v14
	s_waitcnt lgkmcnt(3)
	v_add_f32_e32 v10, v10, v15
	;; [unrolled: 2-line block ×5, first 2 shown]
	ds_bpermute_b32 v7, v19, v8
	ds_bpermute_b32 v11, v19, v9
	;; [unrolled: 1-line block ×6, first 2 shown]
	v_xor_b32_e32 v19, 1, v6
	v_cmp_gt_i32_e32 vcc_lo, 32, v19
	v_cndmask_b32_e32 v6, v6, v19, vcc_lo
	v_cmp_eq_u32_e32 vcc_lo, 15, v0
	v_lshlrev_b32_e32 v19, 2, v6
	s_waitcnt lgkmcnt(5)
	v_add_f32_e32 v6, v8, v7
	s_waitcnt lgkmcnt(4)
	v_add_f32_e32 v9, v9, v11
	;; [unrolled: 2-line block ×6, first 2 shown]
	ds_bpermute_b32 v10, v19, v6
	ds_bpermute_b32 v15, v19, v9
	;; [unrolled: 1-line block ×6, first 2 shown]
	s_and_b32 exec_lo, exec_lo, vcc_lo
	s_cbranch_execz .LBB81_21
; %bb.17:
	s_load_dwordx2 s[2:3], s[4:5], 0x38
	v_cmp_eq_f32_e32 vcc_lo, 0, v3
	v_cmp_eq_f32_e64 s0, 0, v4
	s_waitcnt lgkmcnt(0)
	v_add_f32_e32 v0, v6, v10
	v_add_f32_e32 v10, v9, v15
	;; [unrolled: 1-line block ×6, first 2 shown]
	s_and_b32 s0, vcc_lo, s0
	s_and_saveexec_b32 s1, s0
	s_xor_b32 s0, exec_lo, s1
	s_cbranch_execz .LBB81_19
; %bb.18:
	v_lshl_add_u32 v3, v5, 1, v5
	v_mul_f32_e64 v11, v10, -v2
	v_mul_f32_e32 v12, v1, v10
	v_mul_f32_e64 v13, v9, -v2
	v_mul_f32_e32 v14, v1, v9
	v_ashrrev_i32_e32 v4, 31, v3
	v_mul_f32_e64 v9, v8, -v2
	v_mul_f32_e32 v10, v1, v8
	v_fmac_f32_e32 v11, v1, v0
	v_fmac_f32_e32 v12, v2, v0
	v_lshlrev_b64 v[3:4], 3, v[3:4]
	v_fmac_f32_e32 v13, v1, v6
	v_fmac_f32_e32 v14, v2, v6
	;; [unrolled: 1-line block ×4, first 2 shown]
                                        ; implicit-def: $vgpr5
                                        ; implicit-def: $vgpr0
                                        ; implicit-def: $vgpr6
                                        ; implicit-def: $vgpr7
                                        ; implicit-def: $vgpr8
                                        ; implicit-def: $vgpr1_vgpr2
	v_add_co_u32 v3, vcc_lo, s2, v3
	v_add_co_ci_u32_e64 v4, null, s3, v4, vcc_lo
	global_store_dwordx4 v[3:4], v[11:14], off
	global_store_dwordx2 v[3:4], v[9:10], off offset:16
                                        ; implicit-def: $vgpr10
                                        ; implicit-def: $vgpr9
                                        ; implicit-def: $vgpr3_vgpr4
.LBB81_19:
	s_andn2_saveexec_b32 s0, s0
	s_cbranch_execz .LBB81_21
; %bb.20:
	v_lshl_add_u32 v11, v5, 1, v5
	v_mul_f32_e64 v15, v10, -v2
	v_mul_f32_e32 v16, v1, v10
	v_mul_f32_e64 v10, v9, -v2
	v_mul_f32_e32 v18, v1, v9
	v_ashrrev_i32_e32 v12, 31, v11
	v_mul_f32_e64 v9, v8, -v2
	v_mul_f32_e32 v5, v1, v8
	v_fmac_f32_e32 v15, v1, v0
	v_fmac_f32_e32 v16, v2, v0
	v_lshlrev_b64 v[11:12], 3, v[11:12]
	v_fmac_f32_e32 v10, v1, v6
	v_fmac_f32_e32 v18, v2, v6
	;; [unrolled: 1-line block ×4, first 2 shown]
	v_add_co_u32 v19, vcc_lo, s2, v11
	v_add_co_ci_u32_e64 v20, null, s3, v12, vcc_lo
	s_clause 0x1
	global_load_dwordx4 v[11:14], v[19:20], off
	global_load_dwordx2 v[21:22], v[19:20], off offset:16
	s_waitcnt vmcnt(1)
	v_fmac_f32_e32 v15, v3, v11
	v_fmac_f32_e32 v16, v4, v11
	;; [unrolled: 1-line block ×4, first 2 shown]
	s_waitcnt vmcnt(0)
	v_fmac_f32_e32 v9, v3, v21
	v_fmac_f32_e32 v5, v4, v21
	v_fma_f32 v15, -v4, v12, v15
	v_fmac_f32_e32 v16, v3, v12
	v_fma_f32 v17, -v4, v14, v10
	;; [unrolled: 2-line block ×3, first 2 shown]
	v_fmac_f32_e32 v5, v3, v22
	global_store_dwordx4 v[19:20], v[15:18], off
	global_store_dwordx2 v[19:20], v[4:5], off offset:16
.LBB81_21:
	s_endpgm
	.section	.rodata,"a",@progbits
	.p2align	6, 0x0
	.amdhsa_kernel _ZN9rocsparseL19gebsrmvn_3xn_kernelILj128ELj2ELj16E21rocsparse_complex_numIfEEEvi20rocsparse_direction_NS_24const_host_device_scalarIT2_EEPKiS8_PKS5_SA_S6_PS5_21rocsparse_index_base_b
		.amdhsa_group_segment_fixed_size 0
		.amdhsa_private_segment_fixed_size 0
		.amdhsa_kernarg_size 72
		.amdhsa_user_sgpr_count 6
		.amdhsa_user_sgpr_private_segment_buffer 1
		.amdhsa_user_sgpr_dispatch_ptr 0
		.amdhsa_user_sgpr_queue_ptr 0
		.amdhsa_user_sgpr_kernarg_segment_ptr 1
		.amdhsa_user_sgpr_dispatch_id 0
		.amdhsa_user_sgpr_flat_scratch_init 0
		.amdhsa_user_sgpr_private_segment_size 0
		.amdhsa_wavefront_size32 1
		.amdhsa_uses_dynamic_stack 0
		.amdhsa_system_sgpr_private_segment_wavefront_offset 0
		.amdhsa_system_sgpr_workgroup_id_x 1
		.amdhsa_system_sgpr_workgroup_id_y 0
		.amdhsa_system_sgpr_workgroup_id_z 0
		.amdhsa_system_sgpr_workgroup_info 0
		.amdhsa_system_vgpr_workitem_id 0
		.amdhsa_next_free_vgpr 34
		.amdhsa_next_free_sgpr 16
		.amdhsa_reserve_vcc 1
		.amdhsa_reserve_flat_scratch 0
		.amdhsa_float_round_mode_32 0
		.amdhsa_float_round_mode_16_64 0
		.amdhsa_float_denorm_mode_32 3
		.amdhsa_float_denorm_mode_16_64 3
		.amdhsa_dx10_clamp 1
		.amdhsa_ieee_mode 1
		.amdhsa_fp16_overflow 0
		.amdhsa_workgroup_processor_mode 1
		.amdhsa_memory_ordered 1
		.amdhsa_forward_progress 1
		.amdhsa_shared_vgpr_count 0
		.amdhsa_exception_fp_ieee_invalid_op 0
		.amdhsa_exception_fp_denorm_src 0
		.amdhsa_exception_fp_ieee_div_zero 0
		.amdhsa_exception_fp_ieee_overflow 0
		.amdhsa_exception_fp_ieee_underflow 0
		.amdhsa_exception_fp_ieee_inexact 0
		.amdhsa_exception_int_div_zero 0
	.end_amdhsa_kernel
	.section	.text._ZN9rocsparseL19gebsrmvn_3xn_kernelILj128ELj2ELj16E21rocsparse_complex_numIfEEEvi20rocsparse_direction_NS_24const_host_device_scalarIT2_EEPKiS8_PKS5_SA_S6_PS5_21rocsparse_index_base_b,"axG",@progbits,_ZN9rocsparseL19gebsrmvn_3xn_kernelILj128ELj2ELj16E21rocsparse_complex_numIfEEEvi20rocsparse_direction_NS_24const_host_device_scalarIT2_EEPKiS8_PKS5_SA_S6_PS5_21rocsparse_index_base_b,comdat
.Lfunc_end81:
	.size	_ZN9rocsparseL19gebsrmvn_3xn_kernelILj128ELj2ELj16E21rocsparse_complex_numIfEEEvi20rocsparse_direction_NS_24const_host_device_scalarIT2_EEPKiS8_PKS5_SA_S6_PS5_21rocsparse_index_base_b, .Lfunc_end81-_ZN9rocsparseL19gebsrmvn_3xn_kernelILj128ELj2ELj16E21rocsparse_complex_numIfEEEvi20rocsparse_direction_NS_24const_host_device_scalarIT2_EEPKiS8_PKS5_SA_S6_PS5_21rocsparse_index_base_b
                                        ; -- End function
	.set _ZN9rocsparseL19gebsrmvn_3xn_kernelILj128ELj2ELj16E21rocsparse_complex_numIfEEEvi20rocsparse_direction_NS_24const_host_device_scalarIT2_EEPKiS8_PKS5_SA_S6_PS5_21rocsparse_index_base_b.num_vgpr, 34
	.set _ZN9rocsparseL19gebsrmvn_3xn_kernelILj128ELj2ELj16E21rocsparse_complex_numIfEEEvi20rocsparse_direction_NS_24const_host_device_scalarIT2_EEPKiS8_PKS5_SA_S6_PS5_21rocsparse_index_base_b.num_agpr, 0
	.set _ZN9rocsparseL19gebsrmvn_3xn_kernelILj128ELj2ELj16E21rocsparse_complex_numIfEEEvi20rocsparse_direction_NS_24const_host_device_scalarIT2_EEPKiS8_PKS5_SA_S6_PS5_21rocsparse_index_base_b.numbered_sgpr, 16
	.set _ZN9rocsparseL19gebsrmvn_3xn_kernelILj128ELj2ELj16E21rocsparse_complex_numIfEEEvi20rocsparse_direction_NS_24const_host_device_scalarIT2_EEPKiS8_PKS5_SA_S6_PS5_21rocsparse_index_base_b.num_named_barrier, 0
	.set _ZN9rocsparseL19gebsrmvn_3xn_kernelILj128ELj2ELj16E21rocsparse_complex_numIfEEEvi20rocsparse_direction_NS_24const_host_device_scalarIT2_EEPKiS8_PKS5_SA_S6_PS5_21rocsparse_index_base_b.private_seg_size, 0
	.set _ZN9rocsparseL19gebsrmvn_3xn_kernelILj128ELj2ELj16E21rocsparse_complex_numIfEEEvi20rocsparse_direction_NS_24const_host_device_scalarIT2_EEPKiS8_PKS5_SA_S6_PS5_21rocsparse_index_base_b.uses_vcc, 1
	.set _ZN9rocsparseL19gebsrmvn_3xn_kernelILj128ELj2ELj16E21rocsparse_complex_numIfEEEvi20rocsparse_direction_NS_24const_host_device_scalarIT2_EEPKiS8_PKS5_SA_S6_PS5_21rocsparse_index_base_b.uses_flat_scratch, 0
	.set _ZN9rocsparseL19gebsrmvn_3xn_kernelILj128ELj2ELj16E21rocsparse_complex_numIfEEEvi20rocsparse_direction_NS_24const_host_device_scalarIT2_EEPKiS8_PKS5_SA_S6_PS5_21rocsparse_index_base_b.has_dyn_sized_stack, 0
	.set _ZN9rocsparseL19gebsrmvn_3xn_kernelILj128ELj2ELj16E21rocsparse_complex_numIfEEEvi20rocsparse_direction_NS_24const_host_device_scalarIT2_EEPKiS8_PKS5_SA_S6_PS5_21rocsparse_index_base_b.has_recursion, 0
	.set _ZN9rocsparseL19gebsrmvn_3xn_kernelILj128ELj2ELj16E21rocsparse_complex_numIfEEEvi20rocsparse_direction_NS_24const_host_device_scalarIT2_EEPKiS8_PKS5_SA_S6_PS5_21rocsparse_index_base_b.has_indirect_call, 0
	.section	.AMDGPU.csdata,"",@progbits
; Kernel info:
; codeLenInByte = 2140
; TotalNumSgprs: 18
; NumVgprs: 34
; ScratchSize: 0
; MemoryBound: 0
; FloatMode: 240
; IeeeMode: 1
; LDSByteSize: 0 bytes/workgroup (compile time only)
; SGPRBlocks: 0
; VGPRBlocks: 4
; NumSGPRsForWavesPerEU: 18
; NumVGPRsForWavesPerEU: 34
; Occupancy: 16
; WaveLimiterHint : 1
; COMPUTE_PGM_RSRC2:SCRATCH_EN: 0
; COMPUTE_PGM_RSRC2:USER_SGPR: 6
; COMPUTE_PGM_RSRC2:TRAP_HANDLER: 0
; COMPUTE_PGM_RSRC2:TGID_X_EN: 1
; COMPUTE_PGM_RSRC2:TGID_Y_EN: 0
; COMPUTE_PGM_RSRC2:TGID_Z_EN: 0
; COMPUTE_PGM_RSRC2:TIDIG_COMP_CNT: 0
	.section	.text._ZN9rocsparseL19gebsrmvn_3xn_kernelILj128ELj2ELj32E21rocsparse_complex_numIfEEEvi20rocsparse_direction_NS_24const_host_device_scalarIT2_EEPKiS8_PKS5_SA_S6_PS5_21rocsparse_index_base_b,"axG",@progbits,_ZN9rocsparseL19gebsrmvn_3xn_kernelILj128ELj2ELj32E21rocsparse_complex_numIfEEEvi20rocsparse_direction_NS_24const_host_device_scalarIT2_EEPKiS8_PKS5_SA_S6_PS5_21rocsparse_index_base_b,comdat
	.globl	_ZN9rocsparseL19gebsrmvn_3xn_kernelILj128ELj2ELj32E21rocsparse_complex_numIfEEEvi20rocsparse_direction_NS_24const_host_device_scalarIT2_EEPKiS8_PKS5_SA_S6_PS5_21rocsparse_index_base_b ; -- Begin function _ZN9rocsparseL19gebsrmvn_3xn_kernelILj128ELj2ELj32E21rocsparse_complex_numIfEEEvi20rocsparse_direction_NS_24const_host_device_scalarIT2_EEPKiS8_PKS5_SA_S6_PS5_21rocsparse_index_base_b
	.p2align	8
	.type	_ZN9rocsparseL19gebsrmvn_3xn_kernelILj128ELj2ELj32E21rocsparse_complex_numIfEEEvi20rocsparse_direction_NS_24const_host_device_scalarIT2_EEPKiS8_PKS5_SA_S6_PS5_21rocsparse_index_base_b,@function
_ZN9rocsparseL19gebsrmvn_3xn_kernelILj128ELj2ELj32E21rocsparse_complex_numIfEEEvi20rocsparse_direction_NS_24const_host_device_scalarIT2_EEPKiS8_PKS5_SA_S6_PS5_21rocsparse_index_base_b: ; @_ZN9rocsparseL19gebsrmvn_3xn_kernelILj128ELj2ELj32E21rocsparse_complex_numIfEEEvi20rocsparse_direction_NS_24const_host_device_scalarIT2_EEPKiS8_PKS5_SA_S6_PS5_21rocsparse_index_base_b
; %bb.0:
	s_clause 0x2
	s_load_dwordx2 s[2:3], s[4:5], 0x40
	s_load_dwordx2 s[0:1], s[4:5], 0x8
	;; [unrolled: 1-line block ×3, first 2 shown]
	s_add_u32 s7, s4, 8
	s_addc_u32 s10, s5, 0
	s_add_u32 s11, s4, 48
	s_addc_u32 s12, s5, 0
	s_waitcnt lgkmcnt(0)
	s_bitcmp1_b32 s3, 0
	s_cselect_b32 s0, s7, s0
	s_cselect_b32 s1, s10, s1
	v_mov_b32_e32 v1, s0
	v_mov_b32_e32 v2, s1
	s_cselect_b32 s0, s11, s8
	s_cselect_b32 s1, s12, s9
	v_mov_b32_e32 v3, s0
	v_mov_b32_e32 v4, s1
	flat_load_dwordx2 v[1:2], v[1:2]
	flat_load_dwordx2 v[3:4], v[3:4]
	s_waitcnt vmcnt(1) lgkmcnt(1)
	v_cmp_eq_f32_e32 vcc_lo, 0, v1
	v_cmp_eq_f32_e64 s0, 0, v2
	s_and_b32 s3, vcc_lo, s0
	s_mov_b32 s0, -1
	s_and_saveexec_b32 s1, s3
	s_cbranch_execz .LBB82_2
; %bb.1:
	s_waitcnt vmcnt(0) lgkmcnt(0)
	v_cmp_neq_f32_e32 vcc_lo, 1.0, v3
	v_cmp_neq_f32_e64 s0, 0, v4
	s_or_b32 s0, vcc_lo, s0
	s_orn2_b32 s0, s0, exec_lo
.LBB82_2:
	s_or_b32 exec_lo, exec_lo, s1
	s_and_saveexec_b32 s1, s0
	s_cbranch_execz .LBB82_21
; %bb.3:
	s_load_dwordx2 s[0:1], s[4:5], 0x0
	v_lshrrev_b32_e32 v5, 5, v0
	v_lshl_or_b32 v5, s6, 2, v5
	s_waitcnt lgkmcnt(0)
	v_cmp_gt_i32_e32 vcc_lo, s0, v5
	s_and_b32 exec_lo, exec_lo, vcc_lo
	s_cbranch_execz .LBB82_21
; %bb.4:
	s_load_dwordx8 s[8:15], s[4:5], 0x10
	v_ashrrev_i32_e32 v6, 31, v5
	v_and_b32_e32 v0, 31, v0
	s_cmp_lg_u32 s1, 0
	v_lshlrev_b64 v[6:7], 2, v[5:6]
	s_waitcnt lgkmcnt(0)
	v_add_co_u32 v6, vcc_lo, s8, v6
	v_add_co_ci_u32_e64 v7, null, s9, v7, vcc_lo
	global_load_dwordx2 v[6:7], v[6:7], off
	s_waitcnt vmcnt(0)
	v_subrev_nc_u32_e32 v6, s2, v6
	v_subrev_nc_u32_e32 v19, s2, v7
	v_add_nc_u32_e32 v6, v6, v0
	v_cmp_lt_i32_e64 s0, v6, v19
	s_cbranch_scc0 .LBB82_10
; %bb.5:
	v_mov_b32_e32 v13, 0
	v_mov_b32_e32 v16, 0
	;; [unrolled: 1-line block ×6, first 2 shown]
	s_and_saveexec_b32 s3, s0
	s_cbranch_execz .LBB82_9
; %bb.6:
	v_mad_u64_u32 v[7:8], null, v6, 6, 5
	v_mov_b32_e32 v10, 0
	v_mov_b32_e32 v11, v6
	;; [unrolled: 1-line block ×8, first 2 shown]
	s_mov_b32 s6, 0
.LBB82_7:                               ; =>This Inner Loop Header: Depth=1
	v_ashrrev_i32_e32 v12, 31, v11
	v_mov_b32_e32 v25, v10
	v_lshlrev_b64 v[8:9], 2, v[11:12]
	v_add_nc_u32_e32 v11, 32, v11
	v_add_co_u32 v8, vcc_lo, s10, v8
	v_add_co_ci_u32_e64 v9, null, s11, v9, vcc_lo
	global_load_dword v12, v[8:9], off
	v_add_nc_u32_e32 v9, -5, v7
	v_mov_b32_e32 v8, v10
	v_lshlrev_b64 v[20:21], 3, v[9:10]
	v_add_nc_u32_e32 v9, -3, v7
	v_lshlrev_b64 v[22:23], 3, v[7:8]
	v_lshlrev_b64 v[26:27], 3, v[9:10]
	v_add_nc_u32_e32 v9, -2, v7
	v_add_co_u32 v20, vcc_lo, s12, v20
	v_add_co_ci_u32_e64 v21, null, s13, v21, vcc_lo
	v_add_co_u32 v28, vcc_lo, s12, v22
	v_add_co_ci_u32_e64 v29, null, s13, v23, vcc_lo
	v_lshlrev_b64 v[30:31], 3, v[9:10]
	v_add_nc_u32_e32 v9, -1, v7
	v_add_co_u32 v26, vcc_lo, s12, v26
	v_add_co_ci_u32_e64 v27, null, s13, v27, vcc_lo
	v_lshlrev_b64 v[8:9], 3, v[9:10]
	global_load_dwordx4 v[20:23], v[20:21], off
	v_add_co_u32 v30, vcc_lo, s12, v30
	global_load_dwordx2 v[32:33], v[26:27], off
	v_add_co_ci_u32_e64 v31, null, s13, v31, vcc_lo
	v_add_co_u32 v8, vcc_lo, s12, v8
	v_add_co_ci_u32_e64 v9, null, s13, v9, vcc_lo
	v_cmp_ge_i32_e32 vcc_lo, v11, v19
	v_add_nc_u32_e32 v7, 0xc0, v7
	s_or_b32 s6, vcc_lo, s6
	s_waitcnt vmcnt(2)
	v_subrev_nc_u32_e32 v12, s2, v12
	v_lshlrev_b32_e32 v24, 1, v12
	v_lshlrev_b64 v[24:25], 3, v[24:25]
	v_add_co_u32 v24, s1, s14, v24
	v_add_co_ci_u32_e64 v25, null, s15, v25, s1
	global_load_dwordx4 v[24:27], v[24:25], off
	s_clause 0x2
	global_load_dwordx2 v[30:31], v[30:31], off
	global_load_dwordx2 v[8:9], v[8:9], off
	;; [unrolled: 1-line block ×3, first 2 shown]
	s_waitcnt vmcnt(3)
	v_fmac_f32_e32 v16, v20, v24
	v_fmac_f32_e32 v13, v21, v24
	;; [unrolled: 1-line block ×6, first 2 shown]
	v_fma_f32 v12, -v21, v25, v16
	v_fmac_f32_e32 v13, v20, v25
	v_fma_f32 v18, -v23, v25, v18
	v_fmac_f32_e32 v15, v22, v25
	;; [unrolled: 2-line block ×3, first 2 shown]
	s_waitcnt vmcnt(2)
	v_fmac_f32_e32 v12, v30, v26
	v_fmac_f32_e32 v13, v31, v26
	s_waitcnt vmcnt(1)
	v_fmac_f32_e32 v18, v8, v26
	v_fmac_f32_e32 v15, v9, v26
	;; [unrolled: 3-line block ×3, first 2 shown]
	v_fma_f32 v16, -v31, v27, v12
	v_fmac_f32_e32 v13, v30, v27
	v_fma_f32 v18, -v9, v27, v18
	v_fmac_f32_e32 v15, v8, v27
	;; [unrolled: 2-line block ×3, first 2 shown]
	s_andn2_b32 exec_lo, exec_lo, s6
	s_cbranch_execnz .LBB82_7
; %bb.8:
	s_or_b32 exec_lo, exec_lo, s6
.LBB82_9:
	s_or_b32 exec_lo, exec_lo, s3
	s_cbranch_execz .LBB82_11
	s_branch .LBB82_16
.LBB82_10:
                                        ; implicit-def: $vgpr13
                                        ; implicit-def: $vgpr16
                                        ; implicit-def: $vgpr17
                                        ; implicit-def: $vgpr14
                                        ; implicit-def: $vgpr18
                                        ; implicit-def: $vgpr15
.LBB82_11:
	v_mov_b32_e32 v13, 0
	v_mov_b32_e32 v16, 0
	;; [unrolled: 1-line block ×6, first 2 shown]
	s_and_saveexec_b32 s1, s0
	s_cbranch_execz .LBB82_15
; %bb.12:
	v_mad_u64_u32 v[8:9], null, v6, 6, 5
	v_mov_b32_e32 v11, 0
	v_mov_b32_e32 v13, 0
	;; [unrolled: 1-line block ×7, first 2 shown]
	s_mov_b32 s3, 0
.LBB82_13:                              ; =>This Inner Loop Header: Depth=1
	v_ashrrev_i32_e32 v7, 31, v6
	v_add_nc_u32_e32 v20, -3, v8
	v_mov_b32_e32 v25, v11
	v_mov_b32_e32 v21, v11
	v_add_nc_u32_e32 v22, -1, v8
	v_lshlrev_b64 v[9:10], 2, v[6:7]
	v_mov_b32_e32 v23, v11
	v_add_nc_u32_e32 v6, 32, v6
	v_lshlrev_b64 v[20:21], 3, v[20:21]
	v_lshlrev_b64 v[22:23], 3, v[22:23]
	v_add_co_u32 v9, vcc_lo, s10, v9
	v_add_co_ci_u32_e64 v10, null, s11, v10, vcc_lo
	global_load_dword v7, v[9:10], off
	v_add_nc_u32_e32 v10, -5, v8
	v_mov_b32_e32 v9, v11
	v_lshlrev_b64 v[26:27], 3, v[10:11]
	v_add_nc_u32_e32 v10, -2, v8
	v_lshlrev_b64 v[28:29], 3, v[8:9]
	v_add_nc_u32_e32 v8, 0xc0, v8
	v_add_co_u32 v26, vcc_lo, s12, v26
	v_add_co_ci_u32_e64 v27, null, s13, v27, vcc_lo
	v_add_co_u32 v30, vcc_lo, s12, v20
	v_add_co_ci_u32_e64 v31, null, s13, v21, vcc_lo
	v_add_co_u32 v32, vcc_lo, s12, v22
	v_lshlrev_b64 v[9:10], 3, v[10:11]
	v_add_co_ci_u32_e64 v33, null, s13, v23, vcc_lo
	s_clause 0x2
	global_load_dwordx4 v[20:23], v[26:27], off
	global_load_dwordx2 v[30:31], v[30:31], off
	global_load_dwordx2 v[32:33], v[32:33], off
	v_add_co_u32 v28, vcc_lo, s12, v28
	v_add_co_ci_u32_e64 v29, null, s13, v29, vcc_lo
	v_add_co_u32 v9, vcc_lo, s12, v9
	v_add_co_ci_u32_e64 v10, null, s13, v10, vcc_lo
	v_cmp_ge_i32_e32 vcc_lo, v6, v19
	s_or_b32 s3, vcc_lo, s3
	s_waitcnt vmcnt(3)
	v_subrev_nc_u32_e32 v7, s2, v7
	v_lshlrev_b32_e32 v24, 1, v7
	v_lshlrev_b64 v[24:25], 3, v[24:25]
	v_add_co_u32 v24, s0, s14, v24
	v_add_co_ci_u32_e64 v25, null, s15, v25, s0
	global_load_dwordx4 v[24:27], v[24:25], off
	s_clause 0x1
	global_load_dwordx2 v[9:10], v[9:10], off
	global_load_dwordx2 v[28:29], v[28:29], off
	s_waitcnt vmcnt(2)
	v_fmac_f32_e32 v16, v20, v24
	v_fmac_f32_e32 v13, v21, v24
	;; [unrolled: 1-line block ×6, first 2 shown]
	v_fma_f32 v7, -v21, v25, v16
	v_fmac_f32_e32 v13, v20, v25
	v_fma_f32 v12, -v31, v25, v18
	v_fmac_f32_e32 v15, v30, v25
	;; [unrolled: 2-line block ×3, first 2 shown]
	v_fmac_f32_e32 v7, v22, v26
	v_fmac_f32_e32 v13, v23, v26
	s_waitcnt vmcnt(1)
	v_fmac_f32_e32 v12, v9, v26
	v_fmac_f32_e32 v15, v10, v26
	s_waitcnt vmcnt(0)
	v_fmac_f32_e32 v17, v28, v26
	v_fmac_f32_e32 v14, v29, v26
	v_fma_f32 v16, -v23, v27, v7
	v_fmac_f32_e32 v13, v22, v27
	v_fma_f32 v18, -v10, v27, v12
	;; [unrolled: 2-line block ×3, first 2 shown]
	v_fmac_f32_e32 v14, v28, v27
	s_andn2_b32 exec_lo, exec_lo, s3
	s_cbranch_execnz .LBB82_13
; %bb.14:
	s_or_b32 exec_lo, exec_lo, s3
.LBB82_15:
	s_or_b32 exec_lo, exec_lo, s1
.LBB82_16:
	v_mbcnt_lo_u32_b32 v6, -1, 0
	v_xor_b32_e32 v7, 16, v6
	v_xor_b32_e32 v19, 8, v6
	v_cmp_gt_i32_e32 vcc_lo, 32, v7
	v_cndmask_b32_e32 v7, v6, v7, vcc_lo
	v_cmp_gt_i32_e32 vcc_lo, 32, v19
	v_lshlrev_b32_e32 v7, 2, v7
	v_cndmask_b32_e32 v19, v6, v19, vcc_lo
	ds_bpermute_b32 v8, v7, v16
	ds_bpermute_b32 v9, v7, v13
	;; [unrolled: 1-line block ×6, first 2 shown]
	v_lshlrev_b32_e32 v19, 2, v19
	s_waitcnt lgkmcnt(5)
	v_add_f32_e32 v8, v16, v8
	s_waitcnt lgkmcnt(4)
	v_add_f32_e32 v9, v13, v9
	;; [unrolled: 2-line block ×6, first 2 shown]
	ds_bpermute_b32 v13, v19, v8
	ds_bpermute_b32 v14, v19, v9
	;; [unrolled: 1-line block ×6, first 2 shown]
	v_xor_b32_e32 v19, 4, v6
	v_cmp_gt_i32_e32 vcc_lo, 32, v19
	v_cndmask_b32_e32 v19, v6, v19, vcc_lo
	s_waitcnt lgkmcnt(5)
	v_add_f32_e32 v8, v8, v13
	v_lshlrev_b32_e32 v19, 2, v19
	s_waitcnt lgkmcnt(4)
	v_add_f32_e32 v9, v9, v14
	s_waitcnt lgkmcnt(3)
	v_add_f32_e32 v10, v10, v15
	;; [unrolled: 2-line block ×5, first 2 shown]
	ds_bpermute_b32 v13, v19, v8
	ds_bpermute_b32 v14, v19, v9
	;; [unrolled: 1-line block ×6, first 2 shown]
	v_xor_b32_e32 v19, 2, v6
	v_cmp_gt_i32_e32 vcc_lo, 32, v19
	v_cndmask_b32_e32 v19, v6, v19, vcc_lo
	s_waitcnt lgkmcnt(5)
	v_add_f32_e32 v8, v8, v13
	v_lshlrev_b32_e32 v19, 2, v19
	s_waitcnt lgkmcnt(4)
	v_add_f32_e32 v9, v9, v14
	s_waitcnt lgkmcnt(3)
	v_add_f32_e32 v10, v10, v15
	;; [unrolled: 2-line block ×5, first 2 shown]
	ds_bpermute_b32 v7, v19, v8
	ds_bpermute_b32 v11, v19, v9
	;; [unrolled: 1-line block ×6, first 2 shown]
	v_xor_b32_e32 v19, 1, v6
	v_cmp_gt_i32_e32 vcc_lo, 32, v19
	v_cndmask_b32_e32 v6, v6, v19, vcc_lo
	v_cmp_eq_u32_e32 vcc_lo, 31, v0
	v_lshlrev_b32_e32 v19, 2, v6
	s_waitcnt lgkmcnt(5)
	v_add_f32_e32 v6, v8, v7
	s_waitcnt lgkmcnt(4)
	v_add_f32_e32 v9, v9, v11
	;; [unrolled: 2-line block ×6, first 2 shown]
	ds_bpermute_b32 v10, v19, v6
	ds_bpermute_b32 v15, v19, v9
	;; [unrolled: 1-line block ×6, first 2 shown]
	s_and_b32 exec_lo, exec_lo, vcc_lo
	s_cbranch_execz .LBB82_21
; %bb.17:
	s_load_dwordx2 s[2:3], s[4:5], 0x38
	v_cmp_eq_f32_e32 vcc_lo, 0, v3
	v_cmp_eq_f32_e64 s0, 0, v4
	s_waitcnt lgkmcnt(0)
	v_add_f32_e32 v0, v6, v10
	v_add_f32_e32 v10, v9, v15
	;; [unrolled: 1-line block ×6, first 2 shown]
	s_and_b32 s0, vcc_lo, s0
	s_and_saveexec_b32 s1, s0
	s_xor_b32 s0, exec_lo, s1
	s_cbranch_execz .LBB82_19
; %bb.18:
	v_lshl_add_u32 v3, v5, 1, v5
	v_mul_f32_e64 v11, v10, -v2
	v_mul_f32_e32 v12, v1, v10
	v_mul_f32_e64 v13, v9, -v2
	v_mul_f32_e32 v14, v1, v9
	v_ashrrev_i32_e32 v4, 31, v3
	v_mul_f32_e64 v9, v8, -v2
	v_mul_f32_e32 v10, v1, v8
	v_fmac_f32_e32 v11, v1, v0
	v_fmac_f32_e32 v12, v2, v0
	v_lshlrev_b64 v[3:4], 3, v[3:4]
	v_fmac_f32_e32 v13, v1, v6
	v_fmac_f32_e32 v14, v2, v6
	;; [unrolled: 1-line block ×4, first 2 shown]
                                        ; implicit-def: $vgpr5
                                        ; implicit-def: $vgpr0
                                        ; implicit-def: $vgpr6
                                        ; implicit-def: $vgpr7
                                        ; implicit-def: $vgpr8
                                        ; implicit-def: $vgpr1_vgpr2
	v_add_co_u32 v3, vcc_lo, s2, v3
	v_add_co_ci_u32_e64 v4, null, s3, v4, vcc_lo
	global_store_dwordx4 v[3:4], v[11:14], off
	global_store_dwordx2 v[3:4], v[9:10], off offset:16
                                        ; implicit-def: $vgpr10
                                        ; implicit-def: $vgpr9
                                        ; implicit-def: $vgpr3_vgpr4
.LBB82_19:
	s_andn2_saveexec_b32 s0, s0
	s_cbranch_execz .LBB82_21
; %bb.20:
	v_lshl_add_u32 v11, v5, 1, v5
	v_mul_f32_e64 v15, v10, -v2
	v_mul_f32_e32 v16, v1, v10
	v_mul_f32_e64 v10, v9, -v2
	v_mul_f32_e32 v18, v1, v9
	v_ashrrev_i32_e32 v12, 31, v11
	v_mul_f32_e64 v9, v8, -v2
	v_mul_f32_e32 v5, v1, v8
	v_fmac_f32_e32 v15, v1, v0
	v_fmac_f32_e32 v16, v2, v0
	v_lshlrev_b64 v[11:12], 3, v[11:12]
	v_fmac_f32_e32 v10, v1, v6
	v_fmac_f32_e32 v18, v2, v6
	;; [unrolled: 1-line block ×4, first 2 shown]
	v_add_co_u32 v19, vcc_lo, s2, v11
	v_add_co_ci_u32_e64 v20, null, s3, v12, vcc_lo
	s_clause 0x1
	global_load_dwordx4 v[11:14], v[19:20], off
	global_load_dwordx2 v[21:22], v[19:20], off offset:16
	s_waitcnt vmcnt(1)
	v_fmac_f32_e32 v15, v3, v11
	v_fmac_f32_e32 v16, v4, v11
	;; [unrolled: 1-line block ×4, first 2 shown]
	s_waitcnt vmcnt(0)
	v_fmac_f32_e32 v9, v3, v21
	v_fmac_f32_e32 v5, v4, v21
	v_fma_f32 v15, -v4, v12, v15
	v_fmac_f32_e32 v16, v3, v12
	v_fma_f32 v17, -v4, v14, v10
	;; [unrolled: 2-line block ×3, first 2 shown]
	v_fmac_f32_e32 v5, v3, v22
	global_store_dwordx4 v[19:20], v[15:18], off
	global_store_dwordx2 v[19:20], v[4:5], off offset:16
.LBB82_21:
	s_endpgm
	.section	.rodata,"a",@progbits
	.p2align	6, 0x0
	.amdhsa_kernel _ZN9rocsparseL19gebsrmvn_3xn_kernelILj128ELj2ELj32E21rocsparse_complex_numIfEEEvi20rocsparse_direction_NS_24const_host_device_scalarIT2_EEPKiS8_PKS5_SA_S6_PS5_21rocsparse_index_base_b
		.amdhsa_group_segment_fixed_size 0
		.amdhsa_private_segment_fixed_size 0
		.amdhsa_kernarg_size 72
		.amdhsa_user_sgpr_count 6
		.amdhsa_user_sgpr_private_segment_buffer 1
		.amdhsa_user_sgpr_dispatch_ptr 0
		.amdhsa_user_sgpr_queue_ptr 0
		.amdhsa_user_sgpr_kernarg_segment_ptr 1
		.amdhsa_user_sgpr_dispatch_id 0
		.amdhsa_user_sgpr_flat_scratch_init 0
		.amdhsa_user_sgpr_private_segment_size 0
		.amdhsa_wavefront_size32 1
		.amdhsa_uses_dynamic_stack 0
		.amdhsa_system_sgpr_private_segment_wavefront_offset 0
		.amdhsa_system_sgpr_workgroup_id_x 1
		.amdhsa_system_sgpr_workgroup_id_y 0
		.amdhsa_system_sgpr_workgroup_id_z 0
		.amdhsa_system_sgpr_workgroup_info 0
		.amdhsa_system_vgpr_workitem_id 0
		.amdhsa_next_free_vgpr 34
		.amdhsa_next_free_sgpr 16
		.amdhsa_reserve_vcc 1
		.amdhsa_reserve_flat_scratch 0
		.amdhsa_float_round_mode_32 0
		.amdhsa_float_round_mode_16_64 0
		.amdhsa_float_denorm_mode_32 3
		.amdhsa_float_denorm_mode_16_64 3
		.amdhsa_dx10_clamp 1
		.amdhsa_ieee_mode 1
		.amdhsa_fp16_overflow 0
		.amdhsa_workgroup_processor_mode 1
		.amdhsa_memory_ordered 1
		.amdhsa_forward_progress 1
		.amdhsa_shared_vgpr_count 0
		.amdhsa_exception_fp_ieee_invalid_op 0
		.amdhsa_exception_fp_denorm_src 0
		.amdhsa_exception_fp_ieee_div_zero 0
		.amdhsa_exception_fp_ieee_overflow 0
		.amdhsa_exception_fp_ieee_underflow 0
		.amdhsa_exception_fp_ieee_inexact 0
		.amdhsa_exception_int_div_zero 0
	.end_amdhsa_kernel
	.section	.text._ZN9rocsparseL19gebsrmvn_3xn_kernelILj128ELj2ELj32E21rocsparse_complex_numIfEEEvi20rocsparse_direction_NS_24const_host_device_scalarIT2_EEPKiS8_PKS5_SA_S6_PS5_21rocsparse_index_base_b,"axG",@progbits,_ZN9rocsparseL19gebsrmvn_3xn_kernelILj128ELj2ELj32E21rocsparse_complex_numIfEEEvi20rocsparse_direction_NS_24const_host_device_scalarIT2_EEPKiS8_PKS5_SA_S6_PS5_21rocsparse_index_base_b,comdat
.Lfunc_end82:
	.size	_ZN9rocsparseL19gebsrmvn_3xn_kernelILj128ELj2ELj32E21rocsparse_complex_numIfEEEvi20rocsparse_direction_NS_24const_host_device_scalarIT2_EEPKiS8_PKS5_SA_S6_PS5_21rocsparse_index_base_b, .Lfunc_end82-_ZN9rocsparseL19gebsrmvn_3xn_kernelILj128ELj2ELj32E21rocsparse_complex_numIfEEEvi20rocsparse_direction_NS_24const_host_device_scalarIT2_EEPKiS8_PKS5_SA_S6_PS5_21rocsparse_index_base_b
                                        ; -- End function
	.set _ZN9rocsparseL19gebsrmvn_3xn_kernelILj128ELj2ELj32E21rocsparse_complex_numIfEEEvi20rocsparse_direction_NS_24const_host_device_scalarIT2_EEPKiS8_PKS5_SA_S6_PS5_21rocsparse_index_base_b.num_vgpr, 34
	.set _ZN9rocsparseL19gebsrmvn_3xn_kernelILj128ELj2ELj32E21rocsparse_complex_numIfEEEvi20rocsparse_direction_NS_24const_host_device_scalarIT2_EEPKiS8_PKS5_SA_S6_PS5_21rocsparse_index_base_b.num_agpr, 0
	.set _ZN9rocsparseL19gebsrmvn_3xn_kernelILj128ELj2ELj32E21rocsparse_complex_numIfEEEvi20rocsparse_direction_NS_24const_host_device_scalarIT2_EEPKiS8_PKS5_SA_S6_PS5_21rocsparse_index_base_b.numbered_sgpr, 16
	.set _ZN9rocsparseL19gebsrmvn_3xn_kernelILj128ELj2ELj32E21rocsparse_complex_numIfEEEvi20rocsparse_direction_NS_24const_host_device_scalarIT2_EEPKiS8_PKS5_SA_S6_PS5_21rocsparse_index_base_b.num_named_barrier, 0
	.set _ZN9rocsparseL19gebsrmvn_3xn_kernelILj128ELj2ELj32E21rocsparse_complex_numIfEEEvi20rocsparse_direction_NS_24const_host_device_scalarIT2_EEPKiS8_PKS5_SA_S6_PS5_21rocsparse_index_base_b.private_seg_size, 0
	.set _ZN9rocsparseL19gebsrmvn_3xn_kernelILj128ELj2ELj32E21rocsparse_complex_numIfEEEvi20rocsparse_direction_NS_24const_host_device_scalarIT2_EEPKiS8_PKS5_SA_S6_PS5_21rocsparse_index_base_b.uses_vcc, 1
	.set _ZN9rocsparseL19gebsrmvn_3xn_kernelILj128ELj2ELj32E21rocsparse_complex_numIfEEEvi20rocsparse_direction_NS_24const_host_device_scalarIT2_EEPKiS8_PKS5_SA_S6_PS5_21rocsparse_index_base_b.uses_flat_scratch, 0
	.set _ZN9rocsparseL19gebsrmvn_3xn_kernelILj128ELj2ELj32E21rocsparse_complex_numIfEEEvi20rocsparse_direction_NS_24const_host_device_scalarIT2_EEPKiS8_PKS5_SA_S6_PS5_21rocsparse_index_base_b.has_dyn_sized_stack, 0
	.set _ZN9rocsparseL19gebsrmvn_3xn_kernelILj128ELj2ELj32E21rocsparse_complex_numIfEEEvi20rocsparse_direction_NS_24const_host_device_scalarIT2_EEPKiS8_PKS5_SA_S6_PS5_21rocsparse_index_base_b.has_recursion, 0
	.set _ZN9rocsparseL19gebsrmvn_3xn_kernelILj128ELj2ELj32E21rocsparse_complex_numIfEEEvi20rocsparse_direction_NS_24const_host_device_scalarIT2_EEPKiS8_PKS5_SA_S6_PS5_21rocsparse_index_base_b.has_indirect_call, 0
	.section	.AMDGPU.csdata,"",@progbits
; Kernel info:
; codeLenInByte = 2252
; TotalNumSgprs: 18
; NumVgprs: 34
; ScratchSize: 0
; MemoryBound: 0
; FloatMode: 240
; IeeeMode: 1
; LDSByteSize: 0 bytes/workgroup (compile time only)
; SGPRBlocks: 0
; VGPRBlocks: 4
; NumSGPRsForWavesPerEU: 18
; NumVGPRsForWavesPerEU: 34
; Occupancy: 16
; WaveLimiterHint : 1
; COMPUTE_PGM_RSRC2:SCRATCH_EN: 0
; COMPUTE_PGM_RSRC2:USER_SGPR: 6
; COMPUTE_PGM_RSRC2:TRAP_HANDLER: 0
; COMPUTE_PGM_RSRC2:TGID_X_EN: 1
; COMPUTE_PGM_RSRC2:TGID_Y_EN: 0
; COMPUTE_PGM_RSRC2:TGID_Z_EN: 0
; COMPUTE_PGM_RSRC2:TIDIG_COMP_CNT: 0
	.section	.text._ZN9rocsparseL19gebsrmvn_3xn_kernelILj128ELj2ELj64E21rocsparse_complex_numIfEEEvi20rocsparse_direction_NS_24const_host_device_scalarIT2_EEPKiS8_PKS5_SA_S6_PS5_21rocsparse_index_base_b,"axG",@progbits,_ZN9rocsparseL19gebsrmvn_3xn_kernelILj128ELj2ELj64E21rocsparse_complex_numIfEEEvi20rocsparse_direction_NS_24const_host_device_scalarIT2_EEPKiS8_PKS5_SA_S6_PS5_21rocsparse_index_base_b,comdat
	.globl	_ZN9rocsparseL19gebsrmvn_3xn_kernelILj128ELj2ELj64E21rocsparse_complex_numIfEEEvi20rocsparse_direction_NS_24const_host_device_scalarIT2_EEPKiS8_PKS5_SA_S6_PS5_21rocsparse_index_base_b ; -- Begin function _ZN9rocsparseL19gebsrmvn_3xn_kernelILj128ELj2ELj64E21rocsparse_complex_numIfEEEvi20rocsparse_direction_NS_24const_host_device_scalarIT2_EEPKiS8_PKS5_SA_S6_PS5_21rocsparse_index_base_b
	.p2align	8
	.type	_ZN9rocsparseL19gebsrmvn_3xn_kernelILj128ELj2ELj64E21rocsparse_complex_numIfEEEvi20rocsparse_direction_NS_24const_host_device_scalarIT2_EEPKiS8_PKS5_SA_S6_PS5_21rocsparse_index_base_b,@function
_ZN9rocsparseL19gebsrmvn_3xn_kernelILj128ELj2ELj64E21rocsparse_complex_numIfEEEvi20rocsparse_direction_NS_24const_host_device_scalarIT2_EEPKiS8_PKS5_SA_S6_PS5_21rocsparse_index_base_b: ; @_ZN9rocsparseL19gebsrmvn_3xn_kernelILj128ELj2ELj64E21rocsparse_complex_numIfEEEvi20rocsparse_direction_NS_24const_host_device_scalarIT2_EEPKiS8_PKS5_SA_S6_PS5_21rocsparse_index_base_b
; %bb.0:
	s_clause 0x2
	s_load_dwordx2 s[2:3], s[4:5], 0x40
	s_load_dwordx2 s[0:1], s[4:5], 0x8
	;; [unrolled: 1-line block ×3, first 2 shown]
	s_add_u32 s7, s4, 8
	s_addc_u32 s10, s5, 0
	s_add_u32 s11, s4, 48
	s_addc_u32 s12, s5, 0
	s_waitcnt lgkmcnt(0)
	s_bitcmp1_b32 s3, 0
	s_cselect_b32 s0, s7, s0
	s_cselect_b32 s1, s10, s1
	v_mov_b32_e32 v1, s0
	v_mov_b32_e32 v2, s1
	s_cselect_b32 s0, s11, s8
	s_cselect_b32 s1, s12, s9
	v_mov_b32_e32 v3, s0
	v_mov_b32_e32 v4, s1
	flat_load_dwordx2 v[1:2], v[1:2]
	flat_load_dwordx2 v[3:4], v[3:4]
	s_waitcnt vmcnt(1) lgkmcnt(1)
	v_cmp_eq_f32_e32 vcc_lo, 0, v1
	v_cmp_eq_f32_e64 s0, 0, v2
	s_and_b32 s3, vcc_lo, s0
	s_mov_b32 s0, -1
	s_and_saveexec_b32 s1, s3
	s_cbranch_execz .LBB83_2
; %bb.1:
	s_waitcnt vmcnt(0) lgkmcnt(0)
	v_cmp_neq_f32_e32 vcc_lo, 1.0, v3
	v_cmp_neq_f32_e64 s0, 0, v4
	s_or_b32 s0, vcc_lo, s0
	s_orn2_b32 s0, s0, exec_lo
.LBB83_2:
	s_or_b32 exec_lo, exec_lo, s1
	s_and_saveexec_b32 s1, s0
	s_cbranch_execz .LBB83_21
; %bb.3:
	s_load_dwordx2 s[0:1], s[4:5], 0x0
	v_lshrrev_b32_e32 v5, 6, v0
	v_lshl_or_b32 v5, s6, 1, v5
	s_waitcnt lgkmcnt(0)
	v_cmp_gt_i32_e32 vcc_lo, s0, v5
	s_and_b32 exec_lo, exec_lo, vcc_lo
	s_cbranch_execz .LBB83_21
; %bb.4:
	s_load_dwordx8 s[8:15], s[4:5], 0x10
	v_ashrrev_i32_e32 v6, 31, v5
	v_and_b32_e32 v0, 63, v0
	s_cmp_lg_u32 s1, 0
	v_lshlrev_b64 v[6:7], 2, v[5:6]
	s_waitcnt lgkmcnt(0)
	v_add_co_u32 v6, vcc_lo, s8, v6
	v_add_co_ci_u32_e64 v7, null, s9, v7, vcc_lo
	global_load_dwordx2 v[6:7], v[6:7], off
	s_waitcnt vmcnt(0)
	v_subrev_nc_u32_e32 v6, s2, v6
	v_subrev_nc_u32_e32 v19, s2, v7
	v_add_nc_u32_e32 v6, v6, v0
	v_cmp_lt_i32_e64 s0, v6, v19
	s_cbranch_scc0 .LBB83_10
; %bb.5:
	v_mov_b32_e32 v13, 0
	v_mov_b32_e32 v16, 0
	;; [unrolled: 1-line block ×6, first 2 shown]
	s_and_saveexec_b32 s3, s0
	s_cbranch_execz .LBB83_9
; %bb.6:
	v_mad_u64_u32 v[7:8], null, v6, 6, 5
	v_mov_b32_e32 v10, 0
	v_mov_b32_e32 v11, v6
	;; [unrolled: 1-line block ×8, first 2 shown]
	s_mov_b32 s6, 0
.LBB83_7:                               ; =>This Inner Loop Header: Depth=1
	v_ashrrev_i32_e32 v12, 31, v11
	v_mov_b32_e32 v25, v10
	v_lshlrev_b64 v[8:9], 2, v[11:12]
	v_add_nc_u32_e32 v11, 64, v11
	v_add_co_u32 v8, vcc_lo, s10, v8
	v_add_co_ci_u32_e64 v9, null, s11, v9, vcc_lo
	global_load_dword v12, v[8:9], off
	v_add_nc_u32_e32 v9, -5, v7
	v_mov_b32_e32 v8, v10
	v_lshlrev_b64 v[20:21], 3, v[9:10]
	v_add_nc_u32_e32 v9, -3, v7
	v_lshlrev_b64 v[22:23], 3, v[7:8]
	v_lshlrev_b64 v[26:27], 3, v[9:10]
	v_add_nc_u32_e32 v9, -2, v7
	v_add_co_u32 v20, vcc_lo, s12, v20
	v_add_co_ci_u32_e64 v21, null, s13, v21, vcc_lo
	v_add_co_u32 v28, vcc_lo, s12, v22
	v_add_co_ci_u32_e64 v29, null, s13, v23, vcc_lo
	v_lshlrev_b64 v[30:31], 3, v[9:10]
	v_add_nc_u32_e32 v9, -1, v7
	v_add_co_u32 v26, vcc_lo, s12, v26
	v_add_co_ci_u32_e64 v27, null, s13, v27, vcc_lo
	v_lshlrev_b64 v[8:9], 3, v[9:10]
	global_load_dwordx4 v[20:23], v[20:21], off
	v_add_co_u32 v30, vcc_lo, s12, v30
	global_load_dwordx2 v[32:33], v[26:27], off
	v_add_co_ci_u32_e64 v31, null, s13, v31, vcc_lo
	v_add_co_u32 v8, vcc_lo, s12, v8
	v_add_co_ci_u32_e64 v9, null, s13, v9, vcc_lo
	v_cmp_ge_i32_e32 vcc_lo, v11, v19
	v_add_nc_u32_e32 v7, 0x180, v7
	s_or_b32 s6, vcc_lo, s6
	s_waitcnt vmcnt(2)
	v_subrev_nc_u32_e32 v12, s2, v12
	v_lshlrev_b32_e32 v24, 1, v12
	v_lshlrev_b64 v[24:25], 3, v[24:25]
	v_add_co_u32 v24, s1, s14, v24
	v_add_co_ci_u32_e64 v25, null, s15, v25, s1
	global_load_dwordx4 v[24:27], v[24:25], off
	s_clause 0x2
	global_load_dwordx2 v[30:31], v[30:31], off
	global_load_dwordx2 v[8:9], v[8:9], off
	;; [unrolled: 1-line block ×3, first 2 shown]
	s_waitcnt vmcnt(3)
	v_fmac_f32_e32 v16, v20, v24
	v_fmac_f32_e32 v13, v21, v24
	;; [unrolled: 1-line block ×6, first 2 shown]
	v_fma_f32 v12, -v21, v25, v16
	v_fmac_f32_e32 v13, v20, v25
	v_fma_f32 v18, -v23, v25, v18
	v_fmac_f32_e32 v15, v22, v25
	;; [unrolled: 2-line block ×3, first 2 shown]
	s_waitcnt vmcnt(2)
	v_fmac_f32_e32 v12, v30, v26
	v_fmac_f32_e32 v13, v31, v26
	s_waitcnt vmcnt(1)
	v_fmac_f32_e32 v18, v8, v26
	v_fmac_f32_e32 v15, v9, v26
	;; [unrolled: 3-line block ×3, first 2 shown]
	v_fma_f32 v16, -v31, v27, v12
	v_fmac_f32_e32 v13, v30, v27
	v_fma_f32 v18, -v9, v27, v18
	v_fmac_f32_e32 v15, v8, v27
	;; [unrolled: 2-line block ×3, first 2 shown]
	s_andn2_b32 exec_lo, exec_lo, s6
	s_cbranch_execnz .LBB83_7
; %bb.8:
	s_or_b32 exec_lo, exec_lo, s6
.LBB83_9:
	s_or_b32 exec_lo, exec_lo, s3
	s_cbranch_execz .LBB83_11
	s_branch .LBB83_16
.LBB83_10:
                                        ; implicit-def: $vgpr13
                                        ; implicit-def: $vgpr16
                                        ; implicit-def: $vgpr17
                                        ; implicit-def: $vgpr14
                                        ; implicit-def: $vgpr18
                                        ; implicit-def: $vgpr15
.LBB83_11:
	v_mov_b32_e32 v13, 0
	v_mov_b32_e32 v16, 0
	;; [unrolled: 1-line block ×6, first 2 shown]
	s_and_saveexec_b32 s1, s0
	s_cbranch_execz .LBB83_15
; %bb.12:
	v_mad_u64_u32 v[8:9], null, v6, 6, 5
	v_mov_b32_e32 v11, 0
	v_mov_b32_e32 v13, 0
	;; [unrolled: 1-line block ×7, first 2 shown]
	s_mov_b32 s3, 0
.LBB83_13:                              ; =>This Inner Loop Header: Depth=1
	v_ashrrev_i32_e32 v7, 31, v6
	v_add_nc_u32_e32 v20, -3, v8
	v_mov_b32_e32 v25, v11
	v_mov_b32_e32 v21, v11
	v_add_nc_u32_e32 v22, -1, v8
	v_lshlrev_b64 v[9:10], 2, v[6:7]
	v_mov_b32_e32 v23, v11
	v_add_nc_u32_e32 v6, 64, v6
	v_lshlrev_b64 v[20:21], 3, v[20:21]
	v_lshlrev_b64 v[22:23], 3, v[22:23]
	v_add_co_u32 v9, vcc_lo, s10, v9
	v_add_co_ci_u32_e64 v10, null, s11, v10, vcc_lo
	global_load_dword v7, v[9:10], off
	v_add_nc_u32_e32 v10, -5, v8
	v_mov_b32_e32 v9, v11
	v_lshlrev_b64 v[26:27], 3, v[10:11]
	v_add_nc_u32_e32 v10, -2, v8
	v_lshlrev_b64 v[28:29], 3, v[8:9]
	v_add_nc_u32_e32 v8, 0x180, v8
	v_add_co_u32 v26, vcc_lo, s12, v26
	v_add_co_ci_u32_e64 v27, null, s13, v27, vcc_lo
	v_add_co_u32 v30, vcc_lo, s12, v20
	v_add_co_ci_u32_e64 v31, null, s13, v21, vcc_lo
	v_add_co_u32 v32, vcc_lo, s12, v22
	v_lshlrev_b64 v[9:10], 3, v[10:11]
	v_add_co_ci_u32_e64 v33, null, s13, v23, vcc_lo
	s_clause 0x2
	global_load_dwordx4 v[20:23], v[26:27], off
	global_load_dwordx2 v[30:31], v[30:31], off
	global_load_dwordx2 v[32:33], v[32:33], off
	v_add_co_u32 v28, vcc_lo, s12, v28
	v_add_co_ci_u32_e64 v29, null, s13, v29, vcc_lo
	v_add_co_u32 v9, vcc_lo, s12, v9
	v_add_co_ci_u32_e64 v10, null, s13, v10, vcc_lo
	v_cmp_ge_i32_e32 vcc_lo, v6, v19
	s_or_b32 s3, vcc_lo, s3
	s_waitcnt vmcnt(3)
	v_subrev_nc_u32_e32 v7, s2, v7
	v_lshlrev_b32_e32 v24, 1, v7
	v_lshlrev_b64 v[24:25], 3, v[24:25]
	v_add_co_u32 v24, s0, s14, v24
	v_add_co_ci_u32_e64 v25, null, s15, v25, s0
	global_load_dwordx4 v[24:27], v[24:25], off
	s_clause 0x1
	global_load_dwordx2 v[9:10], v[9:10], off
	global_load_dwordx2 v[28:29], v[28:29], off
	s_waitcnt vmcnt(2)
	v_fmac_f32_e32 v16, v20, v24
	v_fmac_f32_e32 v13, v21, v24
	;; [unrolled: 1-line block ×6, first 2 shown]
	v_fma_f32 v7, -v21, v25, v16
	v_fmac_f32_e32 v13, v20, v25
	v_fma_f32 v12, -v31, v25, v18
	v_fmac_f32_e32 v15, v30, v25
	v_fma_f32 v17, -v33, v25, v17
	v_fmac_f32_e32 v14, v32, v25
	v_fmac_f32_e32 v7, v22, v26
	v_fmac_f32_e32 v13, v23, v26
	s_waitcnt vmcnt(1)
	v_fmac_f32_e32 v12, v9, v26
	v_fmac_f32_e32 v15, v10, v26
	s_waitcnt vmcnt(0)
	v_fmac_f32_e32 v17, v28, v26
	v_fmac_f32_e32 v14, v29, v26
	v_fma_f32 v16, -v23, v27, v7
	v_fmac_f32_e32 v13, v22, v27
	v_fma_f32 v18, -v10, v27, v12
	;; [unrolled: 2-line block ×3, first 2 shown]
	v_fmac_f32_e32 v14, v28, v27
	s_andn2_b32 exec_lo, exec_lo, s3
	s_cbranch_execnz .LBB83_13
; %bb.14:
	s_or_b32 exec_lo, exec_lo, s3
.LBB83_15:
	s_or_b32 exec_lo, exec_lo, s1
.LBB83_16:
	v_mbcnt_lo_u32_b32 v6, -1, 0
	v_or_b32_e32 v7, 32, v6
	v_xor_b32_e32 v19, 16, v6
	v_cmp_gt_i32_e32 vcc_lo, 32, v7
	v_cndmask_b32_e32 v7, v6, v7, vcc_lo
	v_cmp_gt_i32_e32 vcc_lo, 32, v19
	v_lshlrev_b32_e32 v7, 2, v7
	v_cndmask_b32_e32 v19, v6, v19, vcc_lo
	ds_bpermute_b32 v8, v7, v16
	ds_bpermute_b32 v9, v7, v13
	;; [unrolled: 1-line block ×6, first 2 shown]
	v_lshlrev_b32_e32 v19, 2, v19
	s_waitcnt lgkmcnt(5)
	v_add_f32_e32 v8, v16, v8
	s_waitcnt lgkmcnt(4)
	v_add_f32_e32 v9, v13, v9
	;; [unrolled: 2-line block ×6, first 2 shown]
	ds_bpermute_b32 v13, v19, v8
	ds_bpermute_b32 v14, v19, v9
	ds_bpermute_b32 v15, v19, v10
	ds_bpermute_b32 v16, v19, v11
	ds_bpermute_b32 v17, v19, v12
	ds_bpermute_b32 v18, v19, v7
	v_xor_b32_e32 v19, 8, v6
	v_cmp_gt_i32_e32 vcc_lo, 32, v19
	v_cndmask_b32_e32 v19, v6, v19, vcc_lo
	s_waitcnt lgkmcnt(5)
	v_add_f32_e32 v8, v8, v13
	v_lshlrev_b32_e32 v19, 2, v19
	s_waitcnt lgkmcnt(4)
	v_add_f32_e32 v9, v9, v14
	s_waitcnt lgkmcnt(3)
	v_add_f32_e32 v10, v10, v15
	s_waitcnt lgkmcnt(2)
	v_add_f32_e32 v11, v11, v16
	s_waitcnt lgkmcnt(1)
	v_add_f32_e32 v12, v12, v17
	s_waitcnt lgkmcnt(0)
	v_add_f32_e32 v7, v7, v18
	ds_bpermute_b32 v13, v19, v8
	ds_bpermute_b32 v14, v19, v9
	ds_bpermute_b32 v15, v19, v10
	ds_bpermute_b32 v16, v19, v11
	ds_bpermute_b32 v17, v19, v12
	ds_bpermute_b32 v18, v19, v7
	v_xor_b32_e32 v19, 4, v6
	v_cmp_gt_i32_e32 vcc_lo, 32, v19
	v_cndmask_b32_e32 v19, v6, v19, vcc_lo
	s_waitcnt lgkmcnt(5)
	v_add_f32_e32 v8, v8, v13
	v_lshlrev_b32_e32 v19, 2, v19
	s_waitcnt lgkmcnt(4)
	v_add_f32_e32 v9, v9, v14
	s_waitcnt lgkmcnt(3)
	v_add_f32_e32 v10, v10, v15
	s_waitcnt lgkmcnt(2)
	v_add_f32_e32 v11, v11, v16
	s_waitcnt lgkmcnt(1)
	v_add_f32_e32 v12, v12, v17
	s_waitcnt lgkmcnt(0)
	v_add_f32_e32 v7, v7, v18
	;; [unrolled: 22-line block ×3, first 2 shown]
	ds_bpermute_b32 v7, v19, v8
	ds_bpermute_b32 v11, v19, v9
	;; [unrolled: 1-line block ×6, first 2 shown]
	v_xor_b32_e32 v19, 1, v6
	v_cmp_gt_i32_e32 vcc_lo, 32, v19
	v_cndmask_b32_e32 v6, v6, v19, vcc_lo
	v_cmp_eq_u32_e32 vcc_lo, 63, v0
	v_lshlrev_b32_e32 v19, 2, v6
	s_waitcnt lgkmcnt(5)
	v_add_f32_e32 v6, v8, v7
	s_waitcnt lgkmcnt(4)
	v_add_f32_e32 v9, v9, v11
	s_waitcnt lgkmcnt(3)
	v_add_f32_e32 v11, v10, v12
	s_waitcnt lgkmcnt(2)
	v_add_f32_e32 v12, v13, v16
	s_waitcnt lgkmcnt(1)
	v_add_f32_e32 v7, v14, v17
	s_waitcnt lgkmcnt(0)
	v_add_f32_e32 v8, v15, v18
	ds_bpermute_b32 v10, v19, v6
	ds_bpermute_b32 v15, v19, v9
	;; [unrolled: 1-line block ×6, first 2 shown]
	s_and_b32 exec_lo, exec_lo, vcc_lo
	s_cbranch_execz .LBB83_21
; %bb.17:
	s_load_dwordx2 s[2:3], s[4:5], 0x38
	v_cmp_eq_f32_e32 vcc_lo, 0, v3
	v_cmp_eq_f32_e64 s0, 0, v4
	s_waitcnt lgkmcnt(0)
	v_add_f32_e32 v0, v6, v10
	v_add_f32_e32 v10, v9, v15
	;; [unrolled: 1-line block ×6, first 2 shown]
	s_and_b32 s0, vcc_lo, s0
	s_and_saveexec_b32 s1, s0
	s_xor_b32 s0, exec_lo, s1
	s_cbranch_execz .LBB83_19
; %bb.18:
	v_lshl_add_u32 v3, v5, 1, v5
	v_mul_f32_e64 v11, v10, -v2
	v_mul_f32_e32 v12, v1, v10
	v_mul_f32_e64 v13, v9, -v2
	v_mul_f32_e32 v14, v1, v9
	v_ashrrev_i32_e32 v4, 31, v3
	v_mul_f32_e64 v9, v8, -v2
	v_mul_f32_e32 v10, v1, v8
	v_fmac_f32_e32 v11, v1, v0
	v_fmac_f32_e32 v12, v2, v0
	v_lshlrev_b64 v[3:4], 3, v[3:4]
	v_fmac_f32_e32 v13, v1, v6
	v_fmac_f32_e32 v14, v2, v6
	;; [unrolled: 1-line block ×4, first 2 shown]
                                        ; implicit-def: $vgpr5
                                        ; implicit-def: $vgpr0
                                        ; implicit-def: $vgpr6
                                        ; implicit-def: $vgpr7
                                        ; implicit-def: $vgpr8
                                        ; implicit-def: $vgpr1_vgpr2
	v_add_co_u32 v3, vcc_lo, s2, v3
	v_add_co_ci_u32_e64 v4, null, s3, v4, vcc_lo
	global_store_dwordx4 v[3:4], v[11:14], off
	global_store_dwordx2 v[3:4], v[9:10], off offset:16
                                        ; implicit-def: $vgpr10
                                        ; implicit-def: $vgpr9
                                        ; implicit-def: $vgpr3_vgpr4
.LBB83_19:
	s_andn2_saveexec_b32 s0, s0
	s_cbranch_execz .LBB83_21
; %bb.20:
	v_lshl_add_u32 v11, v5, 1, v5
	v_mul_f32_e64 v15, v10, -v2
	v_mul_f32_e32 v16, v1, v10
	v_mul_f32_e64 v10, v9, -v2
	v_mul_f32_e32 v18, v1, v9
	v_ashrrev_i32_e32 v12, 31, v11
	v_mul_f32_e64 v9, v8, -v2
	v_mul_f32_e32 v5, v1, v8
	v_fmac_f32_e32 v15, v1, v0
	v_fmac_f32_e32 v16, v2, v0
	v_lshlrev_b64 v[11:12], 3, v[11:12]
	v_fmac_f32_e32 v10, v1, v6
	v_fmac_f32_e32 v18, v2, v6
	;; [unrolled: 1-line block ×4, first 2 shown]
	v_add_co_u32 v19, vcc_lo, s2, v11
	v_add_co_ci_u32_e64 v20, null, s3, v12, vcc_lo
	s_clause 0x1
	global_load_dwordx4 v[11:14], v[19:20], off
	global_load_dwordx2 v[21:22], v[19:20], off offset:16
	s_waitcnt vmcnt(1)
	v_fmac_f32_e32 v15, v3, v11
	v_fmac_f32_e32 v16, v4, v11
	;; [unrolled: 1-line block ×4, first 2 shown]
	s_waitcnt vmcnt(0)
	v_fmac_f32_e32 v9, v3, v21
	v_fmac_f32_e32 v5, v4, v21
	v_fma_f32 v15, -v4, v12, v15
	v_fmac_f32_e32 v16, v3, v12
	v_fma_f32 v17, -v4, v14, v10
	;; [unrolled: 2-line block ×3, first 2 shown]
	v_fmac_f32_e32 v5, v3, v22
	global_store_dwordx4 v[19:20], v[15:18], off
	global_store_dwordx2 v[19:20], v[4:5], off offset:16
.LBB83_21:
	s_endpgm
	.section	.rodata,"a",@progbits
	.p2align	6, 0x0
	.amdhsa_kernel _ZN9rocsparseL19gebsrmvn_3xn_kernelILj128ELj2ELj64E21rocsparse_complex_numIfEEEvi20rocsparse_direction_NS_24const_host_device_scalarIT2_EEPKiS8_PKS5_SA_S6_PS5_21rocsparse_index_base_b
		.amdhsa_group_segment_fixed_size 0
		.amdhsa_private_segment_fixed_size 0
		.amdhsa_kernarg_size 72
		.amdhsa_user_sgpr_count 6
		.amdhsa_user_sgpr_private_segment_buffer 1
		.amdhsa_user_sgpr_dispatch_ptr 0
		.amdhsa_user_sgpr_queue_ptr 0
		.amdhsa_user_sgpr_kernarg_segment_ptr 1
		.amdhsa_user_sgpr_dispatch_id 0
		.amdhsa_user_sgpr_flat_scratch_init 0
		.amdhsa_user_sgpr_private_segment_size 0
		.amdhsa_wavefront_size32 1
		.amdhsa_uses_dynamic_stack 0
		.amdhsa_system_sgpr_private_segment_wavefront_offset 0
		.amdhsa_system_sgpr_workgroup_id_x 1
		.amdhsa_system_sgpr_workgroup_id_y 0
		.amdhsa_system_sgpr_workgroup_id_z 0
		.amdhsa_system_sgpr_workgroup_info 0
		.amdhsa_system_vgpr_workitem_id 0
		.amdhsa_next_free_vgpr 34
		.amdhsa_next_free_sgpr 16
		.amdhsa_reserve_vcc 1
		.amdhsa_reserve_flat_scratch 0
		.amdhsa_float_round_mode_32 0
		.amdhsa_float_round_mode_16_64 0
		.amdhsa_float_denorm_mode_32 3
		.amdhsa_float_denorm_mode_16_64 3
		.amdhsa_dx10_clamp 1
		.amdhsa_ieee_mode 1
		.amdhsa_fp16_overflow 0
		.amdhsa_workgroup_processor_mode 1
		.amdhsa_memory_ordered 1
		.amdhsa_forward_progress 1
		.amdhsa_shared_vgpr_count 0
		.amdhsa_exception_fp_ieee_invalid_op 0
		.amdhsa_exception_fp_denorm_src 0
		.amdhsa_exception_fp_ieee_div_zero 0
		.amdhsa_exception_fp_ieee_overflow 0
		.amdhsa_exception_fp_ieee_underflow 0
		.amdhsa_exception_fp_ieee_inexact 0
		.amdhsa_exception_int_div_zero 0
	.end_amdhsa_kernel
	.section	.text._ZN9rocsparseL19gebsrmvn_3xn_kernelILj128ELj2ELj64E21rocsparse_complex_numIfEEEvi20rocsparse_direction_NS_24const_host_device_scalarIT2_EEPKiS8_PKS5_SA_S6_PS5_21rocsparse_index_base_b,"axG",@progbits,_ZN9rocsparseL19gebsrmvn_3xn_kernelILj128ELj2ELj64E21rocsparse_complex_numIfEEEvi20rocsparse_direction_NS_24const_host_device_scalarIT2_EEPKiS8_PKS5_SA_S6_PS5_21rocsparse_index_base_b,comdat
.Lfunc_end83:
	.size	_ZN9rocsparseL19gebsrmvn_3xn_kernelILj128ELj2ELj64E21rocsparse_complex_numIfEEEvi20rocsparse_direction_NS_24const_host_device_scalarIT2_EEPKiS8_PKS5_SA_S6_PS5_21rocsparse_index_base_b, .Lfunc_end83-_ZN9rocsparseL19gebsrmvn_3xn_kernelILj128ELj2ELj64E21rocsparse_complex_numIfEEEvi20rocsparse_direction_NS_24const_host_device_scalarIT2_EEPKiS8_PKS5_SA_S6_PS5_21rocsparse_index_base_b
                                        ; -- End function
	.set _ZN9rocsparseL19gebsrmvn_3xn_kernelILj128ELj2ELj64E21rocsparse_complex_numIfEEEvi20rocsparse_direction_NS_24const_host_device_scalarIT2_EEPKiS8_PKS5_SA_S6_PS5_21rocsparse_index_base_b.num_vgpr, 34
	.set _ZN9rocsparseL19gebsrmvn_3xn_kernelILj128ELj2ELj64E21rocsparse_complex_numIfEEEvi20rocsparse_direction_NS_24const_host_device_scalarIT2_EEPKiS8_PKS5_SA_S6_PS5_21rocsparse_index_base_b.num_agpr, 0
	.set _ZN9rocsparseL19gebsrmvn_3xn_kernelILj128ELj2ELj64E21rocsparse_complex_numIfEEEvi20rocsparse_direction_NS_24const_host_device_scalarIT2_EEPKiS8_PKS5_SA_S6_PS5_21rocsparse_index_base_b.numbered_sgpr, 16
	.set _ZN9rocsparseL19gebsrmvn_3xn_kernelILj128ELj2ELj64E21rocsparse_complex_numIfEEEvi20rocsparse_direction_NS_24const_host_device_scalarIT2_EEPKiS8_PKS5_SA_S6_PS5_21rocsparse_index_base_b.num_named_barrier, 0
	.set _ZN9rocsparseL19gebsrmvn_3xn_kernelILj128ELj2ELj64E21rocsparse_complex_numIfEEEvi20rocsparse_direction_NS_24const_host_device_scalarIT2_EEPKiS8_PKS5_SA_S6_PS5_21rocsparse_index_base_b.private_seg_size, 0
	.set _ZN9rocsparseL19gebsrmvn_3xn_kernelILj128ELj2ELj64E21rocsparse_complex_numIfEEEvi20rocsparse_direction_NS_24const_host_device_scalarIT2_EEPKiS8_PKS5_SA_S6_PS5_21rocsparse_index_base_b.uses_vcc, 1
	.set _ZN9rocsparseL19gebsrmvn_3xn_kernelILj128ELj2ELj64E21rocsparse_complex_numIfEEEvi20rocsparse_direction_NS_24const_host_device_scalarIT2_EEPKiS8_PKS5_SA_S6_PS5_21rocsparse_index_base_b.uses_flat_scratch, 0
	.set _ZN9rocsparseL19gebsrmvn_3xn_kernelILj128ELj2ELj64E21rocsparse_complex_numIfEEEvi20rocsparse_direction_NS_24const_host_device_scalarIT2_EEPKiS8_PKS5_SA_S6_PS5_21rocsparse_index_base_b.has_dyn_sized_stack, 0
	.set _ZN9rocsparseL19gebsrmvn_3xn_kernelILj128ELj2ELj64E21rocsparse_complex_numIfEEEvi20rocsparse_direction_NS_24const_host_device_scalarIT2_EEPKiS8_PKS5_SA_S6_PS5_21rocsparse_index_base_b.has_recursion, 0
	.set _ZN9rocsparseL19gebsrmvn_3xn_kernelILj128ELj2ELj64E21rocsparse_complex_numIfEEEvi20rocsparse_direction_NS_24const_host_device_scalarIT2_EEPKiS8_PKS5_SA_S6_PS5_21rocsparse_index_base_b.has_indirect_call, 0
	.section	.AMDGPU.csdata,"",@progbits
; Kernel info:
; codeLenInByte = 2364
; TotalNumSgprs: 18
; NumVgprs: 34
; ScratchSize: 0
; MemoryBound: 0
; FloatMode: 240
; IeeeMode: 1
; LDSByteSize: 0 bytes/workgroup (compile time only)
; SGPRBlocks: 0
; VGPRBlocks: 4
; NumSGPRsForWavesPerEU: 18
; NumVGPRsForWavesPerEU: 34
; Occupancy: 16
; WaveLimiterHint : 1
; COMPUTE_PGM_RSRC2:SCRATCH_EN: 0
; COMPUTE_PGM_RSRC2:USER_SGPR: 6
; COMPUTE_PGM_RSRC2:TRAP_HANDLER: 0
; COMPUTE_PGM_RSRC2:TGID_X_EN: 1
; COMPUTE_PGM_RSRC2:TGID_Y_EN: 0
; COMPUTE_PGM_RSRC2:TGID_Z_EN: 0
; COMPUTE_PGM_RSRC2:TIDIG_COMP_CNT: 0
	.section	.text._ZN9rocsparseL19gebsrmvn_3xn_kernelILj128ELj4ELj4E21rocsparse_complex_numIfEEEvi20rocsparse_direction_NS_24const_host_device_scalarIT2_EEPKiS8_PKS5_SA_S6_PS5_21rocsparse_index_base_b,"axG",@progbits,_ZN9rocsparseL19gebsrmvn_3xn_kernelILj128ELj4ELj4E21rocsparse_complex_numIfEEEvi20rocsparse_direction_NS_24const_host_device_scalarIT2_EEPKiS8_PKS5_SA_S6_PS5_21rocsparse_index_base_b,comdat
	.globl	_ZN9rocsparseL19gebsrmvn_3xn_kernelILj128ELj4ELj4E21rocsparse_complex_numIfEEEvi20rocsparse_direction_NS_24const_host_device_scalarIT2_EEPKiS8_PKS5_SA_S6_PS5_21rocsparse_index_base_b ; -- Begin function _ZN9rocsparseL19gebsrmvn_3xn_kernelILj128ELj4ELj4E21rocsparse_complex_numIfEEEvi20rocsparse_direction_NS_24const_host_device_scalarIT2_EEPKiS8_PKS5_SA_S6_PS5_21rocsparse_index_base_b
	.p2align	8
	.type	_ZN9rocsparseL19gebsrmvn_3xn_kernelILj128ELj4ELj4E21rocsparse_complex_numIfEEEvi20rocsparse_direction_NS_24const_host_device_scalarIT2_EEPKiS8_PKS5_SA_S6_PS5_21rocsparse_index_base_b,@function
_ZN9rocsparseL19gebsrmvn_3xn_kernelILj128ELj4ELj4E21rocsparse_complex_numIfEEEvi20rocsparse_direction_NS_24const_host_device_scalarIT2_EEPKiS8_PKS5_SA_S6_PS5_21rocsparse_index_base_b: ; @_ZN9rocsparseL19gebsrmvn_3xn_kernelILj128ELj4ELj4E21rocsparse_complex_numIfEEEvi20rocsparse_direction_NS_24const_host_device_scalarIT2_EEPKiS8_PKS5_SA_S6_PS5_21rocsparse_index_base_b
; %bb.0:
	s_clause 0x2
	s_load_dwordx2 s[2:3], s[4:5], 0x40
	s_load_dwordx2 s[0:1], s[4:5], 0x8
	;; [unrolled: 1-line block ×3, first 2 shown]
	s_add_u32 s7, s4, 8
	s_addc_u32 s10, s5, 0
	s_add_u32 s11, s4, 48
	s_addc_u32 s12, s5, 0
	s_waitcnt lgkmcnt(0)
	s_bitcmp1_b32 s3, 0
	s_cselect_b32 s0, s7, s0
	s_cselect_b32 s1, s10, s1
	v_mov_b32_e32 v1, s0
	v_mov_b32_e32 v2, s1
	s_cselect_b32 s0, s11, s8
	s_cselect_b32 s1, s12, s9
	v_mov_b32_e32 v3, s0
	v_mov_b32_e32 v4, s1
	flat_load_dwordx2 v[1:2], v[1:2]
	flat_load_dwordx2 v[3:4], v[3:4]
	s_waitcnt vmcnt(1) lgkmcnt(1)
	v_cmp_eq_f32_e32 vcc_lo, 0, v1
	v_cmp_eq_f32_e64 s0, 0, v2
	s_and_b32 s3, vcc_lo, s0
	s_mov_b32 s0, -1
	s_and_saveexec_b32 s1, s3
	s_cbranch_execz .LBB84_2
; %bb.1:
	s_waitcnt vmcnt(0) lgkmcnt(0)
	v_cmp_neq_f32_e32 vcc_lo, 1.0, v3
	v_cmp_neq_f32_e64 s0, 0, v4
	s_or_b32 s0, vcc_lo, s0
	s_orn2_b32 s0, s0, exec_lo
.LBB84_2:
	s_or_b32 exec_lo, exec_lo, s1
	s_and_saveexec_b32 s1, s0
	s_cbranch_execz .LBB84_21
; %bb.3:
	s_load_dwordx2 s[0:1], s[4:5], 0x0
	v_lshrrev_b32_e32 v5, 2, v0
	v_lshl_or_b32 v5, s6, 5, v5
	s_waitcnt lgkmcnt(0)
	v_cmp_gt_i32_e32 vcc_lo, s0, v5
	s_and_b32 exec_lo, exec_lo, vcc_lo
	s_cbranch_execz .LBB84_21
; %bb.4:
	s_load_dwordx8 s[8:15], s[4:5], 0x10
	v_ashrrev_i32_e32 v6, 31, v5
	v_and_b32_e32 v0, 3, v0
	s_cmp_lg_u32 s1, 0
	v_lshlrev_b64 v[6:7], 2, v[5:6]
	s_waitcnt lgkmcnt(0)
	v_add_co_u32 v6, vcc_lo, s8, v6
	v_add_co_ci_u32_e64 v7, null, s9, v7, vcc_lo
	global_load_dwordx2 v[6:7], v[6:7], off
	s_waitcnt vmcnt(0)
	v_subrev_nc_u32_e32 v6, s2, v6
	v_subrev_nc_u32_e32 v16, s2, v7
	v_add_nc_u32_e32 v6, v6, v0
	v_cmp_lt_i32_e64 s0, v6, v16
	s_cbranch_scc0 .LBB84_10
; %bb.5:
	v_mov_b32_e32 v13, 0
	v_mov_b32_e32 v17, 0
	;; [unrolled: 1-line block ×6, first 2 shown]
	s_and_saveexec_b32 s3, s0
	s_cbranch_execz .LBB84_9
; %bb.6:
	v_mad_u64_u32 v[7:8], null, v6, 12, 11
	v_mov_b32_e32 v10, 0
	v_mov_b32_e32 v11, v6
	;; [unrolled: 1-line block ×8, first 2 shown]
	s_mov_b32 s6, 0
.LBB84_7:                               ; =>This Inner Loop Header: Depth=1
	v_ashrrev_i32_e32 v12, 31, v11
	v_mov_b32_e32 v29, v10
	v_lshlrev_b64 v[8:9], 2, v[11:12]
	v_add_nc_u32_e32 v11, 4, v11
	v_add_co_u32 v8, vcc_lo, s10, v8
	v_add_co_ci_u32_e64 v9, null, s11, v9, vcc_lo
	global_load_dword v12, v[8:9], off
	v_add_nc_u32_e32 v9, -11, v7
	v_mov_b32_e32 v8, v10
	v_lshlrev_b64 v[20:21], 3, v[9:10]
	v_add_nc_u32_e32 v9, -7, v7
	v_lshlrev_b64 v[22:23], 3, v[7:8]
	v_lshlrev_b64 v[24:25], 3, v[9:10]
	v_add_nc_u32_e32 v9, -6, v7
	v_add_co_u32 v26, vcc_lo, s12, v20
	v_add_co_ci_u32_e64 v27, null, s13, v21, vcc_lo
	v_lshlrev_b64 v[30:31], 3, v[9:10]
	v_add_co_u32 v36, vcc_lo, s12, v22
	v_add_nc_u32_e32 v9, -5, v7
	v_add_co_ci_u32_e64 v37, null, s13, v23, vcc_lo
	v_add_co_u32 v32, vcc_lo, s12, v24
	v_add_co_ci_u32_e64 v33, null, s13, v25, vcc_lo
	v_add_co_u32 v30, vcc_lo, s12, v30
	v_lshlrev_b64 v[34:35], 3, v[9:10]
	v_add_co_ci_u32_e64 v31, null, s13, v31, vcc_lo
	s_clause 0x2
	global_load_dwordx4 v[20:23], v[26:27], off offset:16
	global_load_dwordx4 v[24:27], v[26:27], off
	global_load_dwordx2 v[38:39], v[32:33], off
	v_add_nc_u32_e32 v9, -4, v7
	global_load_dwordx2 v[42:43], v[30:31], off
	v_add_co_u32 v32, vcc_lo, s12, v34
	v_add_co_ci_u32_e64 v33, null, s13, v35, vcc_lo
	v_lshlrev_b64 v[40:41], 3, v[9:10]
	v_add_nc_u32_e32 v9, -3, v7
	global_load_dwordx2 v[46:47], v[32:33], off
	v_lshlrev_b64 v[44:45], 3, v[9:10]
	v_add_nc_u32_e32 v9, -2, v7
	v_add_co_u32 v40, vcc_lo, s12, v40
	v_add_co_ci_u32_e64 v41, null, s13, v41, vcc_lo
	v_lshlrev_b64 v[48:49], 3, v[9:10]
	v_add_nc_u32_e32 v9, -1, v7
	v_add_co_u32 v44, vcc_lo, s12, v44
	v_add_co_ci_u32_e64 v45, null, s13, v45, vcc_lo
	v_add_co_u32 v48, vcc_lo, s12, v48
	v_add_co_ci_u32_e64 v49, null, s13, v49, vcc_lo
	v_add_nc_u32_e32 v7, 48, v7
	s_waitcnt vmcnt(5)
	v_subrev_nc_u32_e32 v8, s2, v12
	v_lshlrev_b32_e32 v28, 2, v8
	v_lshlrev_b64 v[8:9], 3, v[9:10]
	v_lshlrev_b64 v[28:29], 3, v[28:29]
	v_add_co_u32 v8, vcc_lo, s12, v8
	v_add_co_ci_u32_e64 v9, null, s13, v9, vcc_lo
	v_add_co_u32 v32, s1, s14, v28
	v_add_co_ci_u32_e64 v33, null, s15, v29, s1
	v_cmp_ge_i32_e32 vcc_lo, v11, v16
	s_clause 0x1
	global_load_dwordx4 v[28:31], v[32:33], off
	global_load_dwordx4 v[32:35], v[32:33], off offset:16
	s_clause 0x4
	global_load_dwordx2 v[40:41], v[40:41], off
	global_load_dwordx2 v[44:45], v[44:45], off
	;; [unrolled: 1-line block ×5, first 2 shown]
	s_or_b32 s6, vcc_lo, s6
	s_waitcnt vmcnt(6)
	v_fmac_f32_e32 v17, v24, v28
	v_fmac_f32_e32 v13, v25, v28
	;; [unrolled: 1-line block ×6, first 2 shown]
	v_fma_f32 v12, -v25, v29, v17
	v_fmac_f32_e32 v13, v24, v29
	v_fma_f32 v17, -v27, v29, v19
	v_fmac_f32_e32 v15, v26, v29
	;; [unrolled: 2-line block ×3, first 2 shown]
	v_fmac_f32_e32 v12, v22, v30
	v_fmac_f32_e32 v13, v23, v30
	;; [unrolled: 1-line block ×6, first 2 shown]
	v_fma_f32 v12, -v23, v31, v12
	v_fmac_f32_e32 v13, v22, v31
	v_fma_f32 v17, -v39, v31, v17
	v_fmac_f32_e32 v15, v38, v31
	;; [unrolled: 2-line block ×3, first 2 shown]
	s_waitcnt vmcnt(5)
	v_fmac_f32_e32 v12, v46, v32
	v_fmac_f32_e32 v13, v47, v32
	s_waitcnt vmcnt(4)
	v_fmac_f32_e32 v17, v40, v32
	v_fmac_f32_e32 v15, v41, v32
	;; [unrolled: 3-line block ×3, first 2 shown]
	v_fma_f32 v12, -v47, v33, v12
	v_fmac_f32_e32 v13, v46, v33
	v_fma_f32 v19, -v41, v33, v17
	v_fmac_f32_e32 v15, v40, v33
	;; [unrolled: 2-line block ×3, first 2 shown]
	s_waitcnt vmcnt(2)
	v_fmac_f32_e32 v12, v48, v34
	v_fmac_f32_e32 v13, v49, v34
	s_waitcnt vmcnt(1)
	v_fmac_f32_e32 v19, v8, v34
	v_fmac_f32_e32 v15, v9, v34
	;; [unrolled: 3-line block ×3, first 2 shown]
	v_fma_f32 v17, -v49, v35, v12
	v_fmac_f32_e32 v13, v48, v35
	v_fma_f32 v19, -v9, v35, v19
	v_fmac_f32_e32 v15, v8, v35
	;; [unrolled: 2-line block ×3, first 2 shown]
	s_andn2_b32 exec_lo, exec_lo, s6
	s_cbranch_execnz .LBB84_7
; %bb.8:
	s_or_b32 exec_lo, exec_lo, s6
.LBB84_9:
	s_or_b32 exec_lo, exec_lo, s3
	s_cbranch_execz .LBB84_11
	s_branch .LBB84_16
.LBB84_10:
                                        ; implicit-def: $vgpr13
                                        ; implicit-def: $vgpr17
                                        ; implicit-def: $vgpr18
                                        ; implicit-def: $vgpr14
                                        ; implicit-def: $vgpr19
                                        ; implicit-def: $vgpr15
.LBB84_11:
	v_mov_b32_e32 v13, 0
	v_mov_b32_e32 v17, 0
	;; [unrolled: 1-line block ×6, first 2 shown]
	s_and_saveexec_b32 s1, s0
	s_cbranch_execz .LBB84_15
; %bb.12:
	v_mad_u64_u32 v[8:9], null, v6, 12, 11
	v_mov_b32_e32 v11, 0
	v_mov_b32_e32 v13, 0
	;; [unrolled: 1-line block ×7, first 2 shown]
	s_mov_b32 s0, 0
.LBB84_13:                              ; =>This Inner Loop Header: Depth=1
	v_ashrrev_i32_e32 v7, 31, v6
	v_add_nc_u32_e32 v20, -7, v8
	v_mov_b32_e32 v21, v11
	v_add_nc_u32_e32 v22, -3, v8
	v_mov_b32_e32 v23, v11
	v_lshlrev_b64 v[9:10], 2, v[6:7]
	v_mov_b32_e32 v29, v11
	v_lshlrev_b64 v[20:21], 3, v[20:21]
	v_add_nc_u32_e32 v6, 4, v6
	v_lshlrev_b64 v[22:23], 3, v[22:23]
	v_add_co_u32 v9, vcc_lo, s10, v9
	v_add_co_ci_u32_e64 v10, null, s11, v10, vcc_lo
	global_load_dword v7, v[9:10], off
	v_add_nc_u32_e32 v10, -11, v8
	v_mov_b32_e32 v9, v11
	v_lshlrev_b64 v[24:25], 3, v[10:11]
	v_add_nc_u32_e32 v10, -6, v8
	v_lshlrev_b64 v[26:27], 3, v[8:9]
	v_lshlrev_b64 v[30:31], 3, v[10:11]
	v_add_nc_u32_e32 v10, -2, v8
	v_add_co_u32 v24, vcc_lo, s12, v24
	v_add_co_ci_u32_e64 v25, null, s13, v25, vcc_lo
	v_lshlrev_b64 v[38:39], 3, v[10:11]
	v_add_nc_u32_e32 v10, -5, v8
	v_add_co_u32 v32, vcc_lo, s12, v20
	v_add_co_ci_u32_e64 v33, null, s13, v21, vcc_lo
	v_lshlrev_b64 v[44:45], 3, v[10:11]
	v_add_nc_u32_e32 v10, -1, v8
	v_add_co_u32 v34, vcc_lo, s12, v22
	v_add_co_ci_u32_e64 v35, null, s13, v23, vcc_lo
	v_add_co_u32 v36, vcc_lo, s12, v26
	v_lshlrev_b64 v[48:49], 3, v[10:11]
	v_add_co_ci_u32_e64 v37, null, s13, v27, vcc_lo
	v_add_co_u32 v30, vcc_lo, s12, v30
	v_add_co_ci_u32_e64 v31, null, s13, v31, vcc_lo
	v_add_co_u32 v38, vcc_lo, s12, v38
	v_add_co_ci_u32_e64 v39, null, s13, v39, vcc_lo
	s_clause 0x4
	global_load_dwordx4 v[20:23], v[24:25], off offset:16
	global_load_dwordx4 v[24:27], v[24:25], off
	global_load_dwordx2 v[40:41], v[32:33], off
	global_load_dwordx2 v[42:43], v[34:35], off
	global_load_dwordx2 v[46:47], v[30:31], off
	s_waitcnt vmcnt(5)
	v_subrev_nc_u32_e32 v7, s2, v7
	v_lshlrev_b32_e32 v28, 2, v7
	v_lshlrev_b64 v[9:10], 3, v[28:29]
	v_add_co_u32 v9, vcc_lo, s14, v9
	v_add_co_ci_u32_e64 v10, null, s15, v10, vcc_lo
	v_add_co_u32 v44, vcc_lo, s12, v44
	v_add_co_ci_u32_e64 v45, null, s13, v45, vcc_lo
	s_clause 0x1
	global_load_dwordx4 v[28:31], v[9:10], off
	global_load_dwordx4 v[32:35], v[9:10], off offset:16
	global_load_dwordx2 v[38:39], v[38:39], off
	v_add_nc_u32_e32 v10, -4, v8
	v_add_co_u32 v48, vcc_lo, s12, v48
	v_add_co_ci_u32_e64 v49, null, s13, v49, vcc_lo
	v_lshlrev_b64 v[9:10], 3, v[10:11]
	s_clause 0x1
	global_load_dwordx2 v[44:45], v[44:45], off
	global_load_dwordx2 v[48:49], v[48:49], off
	v_add_nc_u32_e32 v8, 48, v8
	v_add_co_u32 v9, vcc_lo, s12, v9
	v_add_co_ci_u32_e64 v10, null, s13, v10, vcc_lo
	s_clause 0x1
	global_load_dwordx2 v[9:10], v[9:10], off
	global_load_dwordx2 v[36:37], v[36:37], off
	v_cmp_ge_i32_e32 vcc_lo, v6, v16
	s_or_b32 s0, vcc_lo, s0
	s_waitcnt vmcnt(6)
	v_fmac_f32_e32 v17, v24, v28
	v_fmac_f32_e32 v13, v25, v28
	v_fmac_f32_e32 v19, v40, v28
	v_fmac_f32_e32 v15, v41, v28
	v_fmac_f32_e32 v18, v42, v28
	v_fmac_f32_e32 v14, v43, v28
	v_fma_f32 v7, -v25, v29, v17
	v_fmac_f32_e32 v13, v24, v29
	v_fma_f32 v12, -v41, v29, v19
	v_fmac_f32_e32 v15, v40, v29
	v_fma_f32 v17, -v43, v29, v18
	v_fmac_f32_e32 v14, v42, v29
	v_fmac_f32_e32 v7, v26, v30
	v_fmac_f32_e32 v13, v27, v30
	;; [unrolled: 1-line block ×4, first 2 shown]
	s_waitcnt vmcnt(4)
	v_fmac_f32_e32 v17, v38, v30
	v_fmac_f32_e32 v14, v39, v30
	v_fma_f32 v7, -v27, v31, v7
	v_fmac_f32_e32 v13, v26, v31
	v_fma_f32 v12, -v47, v31, v12
	;; [unrolled: 2-line block ×3, first 2 shown]
	v_fmac_f32_e32 v14, v38, v31
	v_fmac_f32_e32 v7, v20, v32
	;; [unrolled: 1-line block ×3, first 2 shown]
	s_waitcnt vmcnt(3)
	v_fmac_f32_e32 v12, v44, v32
	v_fmac_f32_e32 v15, v45, v32
	s_waitcnt vmcnt(2)
	v_fmac_f32_e32 v17, v48, v32
	v_fmac_f32_e32 v14, v49, v32
	v_fma_f32 v7, -v21, v33, v7
	v_fmac_f32_e32 v13, v20, v33
	v_fma_f32 v12, -v45, v33, v12
	v_fmac_f32_e32 v15, v44, v33
	v_fma_f32 v18, -v49, v33, v17
	v_fmac_f32_e32 v14, v48, v33
	v_fmac_f32_e32 v7, v22, v34
	;; [unrolled: 1-line block ×3, first 2 shown]
	s_waitcnt vmcnt(1)
	v_fmac_f32_e32 v12, v9, v34
	v_fmac_f32_e32 v15, v10, v34
	s_waitcnt vmcnt(0)
	v_fmac_f32_e32 v18, v36, v34
	v_fmac_f32_e32 v14, v37, v34
	v_fma_f32 v17, -v23, v35, v7
	v_fmac_f32_e32 v13, v22, v35
	v_fma_f32 v19, -v10, v35, v12
	;; [unrolled: 2-line block ×3, first 2 shown]
	v_fmac_f32_e32 v14, v36, v35
	s_andn2_b32 exec_lo, exec_lo, s0
	s_cbranch_execnz .LBB84_13
; %bb.14:
	s_or_b32 exec_lo, exec_lo, s0
.LBB84_15:
	s_or_b32 exec_lo, exec_lo, s1
.LBB84_16:
	v_mbcnt_lo_u32_b32 v6, -1, 0
	v_xor_b32_e32 v7, 2, v6
	v_cmp_gt_i32_e32 vcc_lo, 32, v7
	v_cndmask_b32_e32 v7, v6, v7, vcc_lo
	v_lshlrev_b32_e32 v7, 2, v7
	ds_bpermute_b32 v8, v7, v17
	ds_bpermute_b32 v9, v7, v13
	;; [unrolled: 1-line block ×6, first 2 shown]
	v_xor_b32_e32 v7, 1, v6
	v_cmp_gt_i32_e32 vcc_lo, 32, v7
	v_cndmask_b32_e32 v6, v6, v7, vcc_lo
	v_cmp_eq_u32_e32 vcc_lo, 3, v0
	v_lshlrev_b32_e32 v21, 2, v6
	s_waitcnt lgkmcnt(5)
	v_add_f32_e32 v6, v17, v8
	s_waitcnt lgkmcnt(4)
	v_add_f32_e32 v9, v13, v9
	;; [unrolled: 2-line block ×6, first 2 shown]
	ds_bpermute_b32 v10, v21, v6
	ds_bpermute_b32 v15, v21, v9
	;; [unrolled: 1-line block ×6, first 2 shown]
	s_and_b32 exec_lo, exec_lo, vcc_lo
	s_cbranch_execz .LBB84_21
; %bb.17:
	s_load_dwordx2 s[2:3], s[4:5], 0x38
	v_cmp_eq_f32_e32 vcc_lo, 0, v3
	v_cmp_eq_f32_e64 s0, 0, v4
	s_waitcnt lgkmcnt(0)
	v_add_f32_e32 v0, v6, v10
	v_add_f32_e32 v10, v9, v15
	;; [unrolled: 1-line block ×6, first 2 shown]
	s_and_b32 s0, vcc_lo, s0
	s_and_saveexec_b32 s1, s0
	s_xor_b32 s0, exec_lo, s1
	s_cbranch_execz .LBB84_19
; %bb.18:
	v_lshl_add_u32 v3, v5, 1, v5
	v_mul_f32_e64 v11, v10, -v2
	v_mul_f32_e32 v12, v1, v10
	v_mul_f32_e64 v13, v9, -v2
	v_mul_f32_e32 v14, v1, v9
	v_ashrrev_i32_e32 v4, 31, v3
	v_mul_f32_e64 v9, v8, -v2
	v_mul_f32_e32 v10, v1, v8
	v_fmac_f32_e32 v11, v1, v0
	v_fmac_f32_e32 v12, v2, v0
	v_lshlrev_b64 v[3:4], 3, v[3:4]
	v_fmac_f32_e32 v13, v1, v6
	v_fmac_f32_e32 v14, v2, v6
	;; [unrolled: 1-line block ×4, first 2 shown]
                                        ; implicit-def: $vgpr5
                                        ; implicit-def: $vgpr0
                                        ; implicit-def: $vgpr6
                                        ; implicit-def: $vgpr7
                                        ; implicit-def: $vgpr8
                                        ; implicit-def: $vgpr1_vgpr2
	v_add_co_u32 v3, vcc_lo, s2, v3
	v_add_co_ci_u32_e64 v4, null, s3, v4, vcc_lo
	global_store_dwordx4 v[3:4], v[11:14], off
	global_store_dwordx2 v[3:4], v[9:10], off offset:16
                                        ; implicit-def: $vgpr10
                                        ; implicit-def: $vgpr9
                                        ; implicit-def: $vgpr3_vgpr4
.LBB84_19:
	s_andn2_saveexec_b32 s0, s0
	s_cbranch_execz .LBB84_21
; %bb.20:
	v_lshl_add_u32 v11, v5, 1, v5
	v_mul_f32_e64 v15, v10, -v2
	v_mul_f32_e32 v16, v1, v10
	v_mul_f32_e64 v10, v9, -v2
	v_mul_f32_e32 v18, v1, v9
	v_ashrrev_i32_e32 v12, 31, v11
	v_mul_f32_e64 v9, v8, -v2
	v_mul_f32_e32 v5, v1, v8
	v_fmac_f32_e32 v15, v1, v0
	v_fmac_f32_e32 v16, v2, v0
	v_lshlrev_b64 v[11:12], 3, v[11:12]
	v_fmac_f32_e32 v10, v1, v6
	v_fmac_f32_e32 v18, v2, v6
	;; [unrolled: 1-line block ×4, first 2 shown]
	v_add_co_u32 v19, vcc_lo, s2, v11
	v_add_co_ci_u32_e64 v20, null, s3, v12, vcc_lo
	s_clause 0x1
	global_load_dwordx4 v[11:14], v[19:20], off
	global_load_dwordx2 v[21:22], v[19:20], off offset:16
	s_waitcnt vmcnt(1)
	v_fmac_f32_e32 v15, v3, v11
	v_fmac_f32_e32 v16, v4, v11
	;; [unrolled: 1-line block ×4, first 2 shown]
	s_waitcnt vmcnt(0)
	v_fmac_f32_e32 v9, v3, v21
	v_fmac_f32_e32 v5, v4, v21
	v_fma_f32 v15, -v4, v12, v15
	v_fmac_f32_e32 v16, v3, v12
	v_fma_f32 v17, -v4, v14, v10
	;; [unrolled: 2-line block ×3, first 2 shown]
	v_fmac_f32_e32 v5, v3, v22
	global_store_dwordx4 v[19:20], v[15:18], off
	global_store_dwordx2 v[19:20], v[4:5], off offset:16
.LBB84_21:
	s_endpgm
	.section	.rodata,"a",@progbits
	.p2align	6, 0x0
	.amdhsa_kernel _ZN9rocsparseL19gebsrmvn_3xn_kernelILj128ELj4ELj4E21rocsparse_complex_numIfEEEvi20rocsparse_direction_NS_24const_host_device_scalarIT2_EEPKiS8_PKS5_SA_S6_PS5_21rocsparse_index_base_b
		.amdhsa_group_segment_fixed_size 0
		.amdhsa_private_segment_fixed_size 0
		.amdhsa_kernarg_size 72
		.amdhsa_user_sgpr_count 6
		.amdhsa_user_sgpr_private_segment_buffer 1
		.amdhsa_user_sgpr_dispatch_ptr 0
		.amdhsa_user_sgpr_queue_ptr 0
		.amdhsa_user_sgpr_kernarg_segment_ptr 1
		.amdhsa_user_sgpr_dispatch_id 0
		.amdhsa_user_sgpr_flat_scratch_init 0
		.amdhsa_user_sgpr_private_segment_size 0
		.amdhsa_wavefront_size32 1
		.amdhsa_uses_dynamic_stack 0
		.amdhsa_system_sgpr_private_segment_wavefront_offset 0
		.amdhsa_system_sgpr_workgroup_id_x 1
		.amdhsa_system_sgpr_workgroup_id_y 0
		.amdhsa_system_sgpr_workgroup_id_z 0
		.amdhsa_system_sgpr_workgroup_info 0
		.amdhsa_system_vgpr_workitem_id 0
		.amdhsa_next_free_vgpr 50
		.amdhsa_next_free_sgpr 16
		.amdhsa_reserve_vcc 1
		.amdhsa_reserve_flat_scratch 0
		.amdhsa_float_round_mode_32 0
		.amdhsa_float_round_mode_16_64 0
		.amdhsa_float_denorm_mode_32 3
		.amdhsa_float_denorm_mode_16_64 3
		.amdhsa_dx10_clamp 1
		.amdhsa_ieee_mode 1
		.amdhsa_fp16_overflow 0
		.amdhsa_workgroup_processor_mode 1
		.amdhsa_memory_ordered 1
		.amdhsa_forward_progress 1
		.amdhsa_shared_vgpr_count 0
		.amdhsa_exception_fp_ieee_invalid_op 0
		.amdhsa_exception_fp_denorm_src 0
		.amdhsa_exception_fp_ieee_div_zero 0
		.amdhsa_exception_fp_ieee_overflow 0
		.amdhsa_exception_fp_ieee_underflow 0
		.amdhsa_exception_fp_ieee_inexact 0
		.amdhsa_exception_int_div_zero 0
	.end_amdhsa_kernel
	.section	.text._ZN9rocsparseL19gebsrmvn_3xn_kernelILj128ELj4ELj4E21rocsparse_complex_numIfEEEvi20rocsparse_direction_NS_24const_host_device_scalarIT2_EEPKiS8_PKS5_SA_S6_PS5_21rocsparse_index_base_b,"axG",@progbits,_ZN9rocsparseL19gebsrmvn_3xn_kernelILj128ELj4ELj4E21rocsparse_complex_numIfEEEvi20rocsparse_direction_NS_24const_host_device_scalarIT2_EEPKiS8_PKS5_SA_S6_PS5_21rocsparse_index_base_b,comdat
.Lfunc_end84:
	.size	_ZN9rocsparseL19gebsrmvn_3xn_kernelILj128ELj4ELj4E21rocsparse_complex_numIfEEEvi20rocsparse_direction_NS_24const_host_device_scalarIT2_EEPKiS8_PKS5_SA_S6_PS5_21rocsparse_index_base_b, .Lfunc_end84-_ZN9rocsparseL19gebsrmvn_3xn_kernelILj128ELj4ELj4E21rocsparse_complex_numIfEEEvi20rocsparse_direction_NS_24const_host_device_scalarIT2_EEPKiS8_PKS5_SA_S6_PS5_21rocsparse_index_base_b
                                        ; -- End function
	.set _ZN9rocsparseL19gebsrmvn_3xn_kernelILj128ELj4ELj4E21rocsparse_complex_numIfEEEvi20rocsparse_direction_NS_24const_host_device_scalarIT2_EEPKiS8_PKS5_SA_S6_PS5_21rocsparse_index_base_b.num_vgpr, 50
	.set _ZN9rocsparseL19gebsrmvn_3xn_kernelILj128ELj4ELj4E21rocsparse_complex_numIfEEEvi20rocsparse_direction_NS_24const_host_device_scalarIT2_EEPKiS8_PKS5_SA_S6_PS5_21rocsparse_index_base_b.num_agpr, 0
	.set _ZN9rocsparseL19gebsrmvn_3xn_kernelILj128ELj4ELj4E21rocsparse_complex_numIfEEEvi20rocsparse_direction_NS_24const_host_device_scalarIT2_EEPKiS8_PKS5_SA_S6_PS5_21rocsparse_index_base_b.numbered_sgpr, 16
	.set _ZN9rocsparseL19gebsrmvn_3xn_kernelILj128ELj4ELj4E21rocsparse_complex_numIfEEEvi20rocsparse_direction_NS_24const_host_device_scalarIT2_EEPKiS8_PKS5_SA_S6_PS5_21rocsparse_index_base_b.num_named_barrier, 0
	.set _ZN9rocsparseL19gebsrmvn_3xn_kernelILj128ELj4ELj4E21rocsparse_complex_numIfEEEvi20rocsparse_direction_NS_24const_host_device_scalarIT2_EEPKiS8_PKS5_SA_S6_PS5_21rocsparse_index_base_b.private_seg_size, 0
	.set _ZN9rocsparseL19gebsrmvn_3xn_kernelILj128ELj4ELj4E21rocsparse_complex_numIfEEEvi20rocsparse_direction_NS_24const_host_device_scalarIT2_EEPKiS8_PKS5_SA_S6_PS5_21rocsparse_index_base_b.uses_vcc, 1
	.set _ZN9rocsparseL19gebsrmvn_3xn_kernelILj128ELj4ELj4E21rocsparse_complex_numIfEEEvi20rocsparse_direction_NS_24const_host_device_scalarIT2_EEPKiS8_PKS5_SA_S6_PS5_21rocsparse_index_base_b.uses_flat_scratch, 0
	.set _ZN9rocsparseL19gebsrmvn_3xn_kernelILj128ELj4ELj4E21rocsparse_complex_numIfEEEvi20rocsparse_direction_NS_24const_host_device_scalarIT2_EEPKiS8_PKS5_SA_S6_PS5_21rocsparse_index_base_b.has_dyn_sized_stack, 0
	.set _ZN9rocsparseL19gebsrmvn_3xn_kernelILj128ELj4ELj4E21rocsparse_complex_numIfEEEvi20rocsparse_direction_NS_24const_host_device_scalarIT2_EEPKiS8_PKS5_SA_S6_PS5_21rocsparse_index_base_b.has_recursion, 0
	.set _ZN9rocsparseL19gebsrmvn_3xn_kernelILj128ELj4ELj4E21rocsparse_complex_numIfEEEvi20rocsparse_direction_NS_24const_host_device_scalarIT2_EEPKiS8_PKS5_SA_S6_PS5_21rocsparse_index_base_b.has_indirect_call, 0
	.section	.AMDGPU.csdata,"",@progbits
; Kernel info:
; codeLenInByte = 2508
; TotalNumSgprs: 18
; NumVgprs: 50
; ScratchSize: 0
; MemoryBound: 0
; FloatMode: 240
; IeeeMode: 1
; LDSByteSize: 0 bytes/workgroup (compile time only)
; SGPRBlocks: 0
; VGPRBlocks: 6
; NumSGPRsForWavesPerEU: 18
; NumVGPRsForWavesPerEU: 50
; Occupancy: 16
; WaveLimiterHint : 1
; COMPUTE_PGM_RSRC2:SCRATCH_EN: 0
; COMPUTE_PGM_RSRC2:USER_SGPR: 6
; COMPUTE_PGM_RSRC2:TRAP_HANDLER: 0
; COMPUTE_PGM_RSRC2:TGID_X_EN: 1
; COMPUTE_PGM_RSRC2:TGID_Y_EN: 0
; COMPUTE_PGM_RSRC2:TGID_Z_EN: 0
; COMPUTE_PGM_RSRC2:TIDIG_COMP_CNT: 0
	.section	.text._ZN9rocsparseL19gebsrmvn_3xn_kernelILj128ELj4ELj8E21rocsparse_complex_numIfEEEvi20rocsparse_direction_NS_24const_host_device_scalarIT2_EEPKiS8_PKS5_SA_S6_PS5_21rocsparse_index_base_b,"axG",@progbits,_ZN9rocsparseL19gebsrmvn_3xn_kernelILj128ELj4ELj8E21rocsparse_complex_numIfEEEvi20rocsparse_direction_NS_24const_host_device_scalarIT2_EEPKiS8_PKS5_SA_S6_PS5_21rocsparse_index_base_b,comdat
	.globl	_ZN9rocsparseL19gebsrmvn_3xn_kernelILj128ELj4ELj8E21rocsparse_complex_numIfEEEvi20rocsparse_direction_NS_24const_host_device_scalarIT2_EEPKiS8_PKS5_SA_S6_PS5_21rocsparse_index_base_b ; -- Begin function _ZN9rocsparseL19gebsrmvn_3xn_kernelILj128ELj4ELj8E21rocsparse_complex_numIfEEEvi20rocsparse_direction_NS_24const_host_device_scalarIT2_EEPKiS8_PKS5_SA_S6_PS5_21rocsparse_index_base_b
	.p2align	8
	.type	_ZN9rocsparseL19gebsrmvn_3xn_kernelILj128ELj4ELj8E21rocsparse_complex_numIfEEEvi20rocsparse_direction_NS_24const_host_device_scalarIT2_EEPKiS8_PKS5_SA_S6_PS5_21rocsparse_index_base_b,@function
_ZN9rocsparseL19gebsrmvn_3xn_kernelILj128ELj4ELj8E21rocsparse_complex_numIfEEEvi20rocsparse_direction_NS_24const_host_device_scalarIT2_EEPKiS8_PKS5_SA_S6_PS5_21rocsparse_index_base_b: ; @_ZN9rocsparseL19gebsrmvn_3xn_kernelILj128ELj4ELj8E21rocsparse_complex_numIfEEEvi20rocsparse_direction_NS_24const_host_device_scalarIT2_EEPKiS8_PKS5_SA_S6_PS5_21rocsparse_index_base_b
; %bb.0:
	s_clause 0x2
	s_load_dwordx2 s[2:3], s[4:5], 0x40
	s_load_dwordx2 s[0:1], s[4:5], 0x8
	;; [unrolled: 1-line block ×3, first 2 shown]
	s_add_u32 s7, s4, 8
	s_addc_u32 s10, s5, 0
	s_add_u32 s11, s4, 48
	s_addc_u32 s12, s5, 0
	s_waitcnt lgkmcnt(0)
	s_bitcmp1_b32 s3, 0
	s_cselect_b32 s0, s7, s0
	s_cselect_b32 s1, s10, s1
	v_mov_b32_e32 v1, s0
	v_mov_b32_e32 v2, s1
	s_cselect_b32 s0, s11, s8
	s_cselect_b32 s1, s12, s9
	v_mov_b32_e32 v3, s0
	v_mov_b32_e32 v4, s1
	flat_load_dwordx2 v[1:2], v[1:2]
	flat_load_dwordx2 v[3:4], v[3:4]
	s_waitcnt vmcnt(1) lgkmcnt(1)
	v_cmp_eq_f32_e32 vcc_lo, 0, v1
	v_cmp_eq_f32_e64 s0, 0, v2
	s_and_b32 s3, vcc_lo, s0
	s_mov_b32 s0, -1
	s_and_saveexec_b32 s1, s3
	s_cbranch_execz .LBB85_2
; %bb.1:
	s_waitcnt vmcnt(0) lgkmcnt(0)
	v_cmp_neq_f32_e32 vcc_lo, 1.0, v3
	v_cmp_neq_f32_e64 s0, 0, v4
	s_or_b32 s0, vcc_lo, s0
	s_orn2_b32 s0, s0, exec_lo
.LBB85_2:
	s_or_b32 exec_lo, exec_lo, s1
	s_and_saveexec_b32 s1, s0
	s_cbranch_execz .LBB85_21
; %bb.3:
	s_load_dwordx2 s[0:1], s[4:5], 0x0
	v_lshrrev_b32_e32 v5, 3, v0
	v_lshl_or_b32 v5, s6, 4, v5
	s_waitcnt lgkmcnt(0)
	v_cmp_gt_i32_e32 vcc_lo, s0, v5
	s_and_b32 exec_lo, exec_lo, vcc_lo
	s_cbranch_execz .LBB85_21
; %bb.4:
	s_load_dwordx8 s[8:15], s[4:5], 0x10
	v_ashrrev_i32_e32 v6, 31, v5
	v_and_b32_e32 v0, 7, v0
	s_cmp_lg_u32 s1, 0
	v_lshlrev_b64 v[6:7], 2, v[5:6]
	s_waitcnt lgkmcnt(0)
	v_add_co_u32 v6, vcc_lo, s8, v6
	v_add_co_ci_u32_e64 v7, null, s9, v7, vcc_lo
	global_load_dwordx2 v[6:7], v[6:7], off
	s_waitcnt vmcnt(0)
	v_subrev_nc_u32_e32 v6, s2, v6
	v_subrev_nc_u32_e32 v16, s2, v7
	v_add_nc_u32_e32 v6, v6, v0
	v_cmp_lt_i32_e64 s0, v6, v16
	s_cbranch_scc0 .LBB85_10
; %bb.5:
	v_mov_b32_e32 v13, 0
	v_mov_b32_e32 v17, 0
	;; [unrolled: 1-line block ×6, first 2 shown]
	s_and_saveexec_b32 s3, s0
	s_cbranch_execz .LBB85_9
; %bb.6:
	v_mad_u64_u32 v[7:8], null, v6, 12, 11
	v_mov_b32_e32 v10, 0
	v_mov_b32_e32 v11, v6
	v_mov_b32_e32 v13, 0
	v_mov_b32_e32 v17, 0
	v_mov_b32_e32 v18, 0
	v_mov_b32_e32 v14, 0
	v_mov_b32_e32 v19, 0
	v_mov_b32_e32 v15, 0
	s_mov_b32 s6, 0
.LBB85_7:                               ; =>This Inner Loop Header: Depth=1
	v_ashrrev_i32_e32 v12, 31, v11
	v_mov_b32_e32 v29, v10
	v_lshlrev_b64 v[8:9], 2, v[11:12]
	v_add_nc_u32_e32 v11, 8, v11
	v_add_co_u32 v8, vcc_lo, s10, v8
	v_add_co_ci_u32_e64 v9, null, s11, v9, vcc_lo
	global_load_dword v12, v[8:9], off
	v_add_nc_u32_e32 v9, -11, v7
	v_mov_b32_e32 v8, v10
	v_lshlrev_b64 v[20:21], 3, v[9:10]
	v_add_nc_u32_e32 v9, -7, v7
	v_lshlrev_b64 v[22:23], 3, v[7:8]
	v_lshlrev_b64 v[24:25], 3, v[9:10]
	v_add_nc_u32_e32 v9, -6, v7
	v_add_co_u32 v26, vcc_lo, s12, v20
	v_add_co_ci_u32_e64 v27, null, s13, v21, vcc_lo
	v_lshlrev_b64 v[30:31], 3, v[9:10]
	v_add_co_u32 v36, vcc_lo, s12, v22
	v_add_nc_u32_e32 v9, -5, v7
	v_add_co_ci_u32_e64 v37, null, s13, v23, vcc_lo
	v_add_co_u32 v32, vcc_lo, s12, v24
	v_add_co_ci_u32_e64 v33, null, s13, v25, vcc_lo
	v_add_co_u32 v30, vcc_lo, s12, v30
	v_lshlrev_b64 v[34:35], 3, v[9:10]
	v_add_co_ci_u32_e64 v31, null, s13, v31, vcc_lo
	s_clause 0x2
	global_load_dwordx4 v[20:23], v[26:27], off offset:16
	global_load_dwordx4 v[24:27], v[26:27], off
	global_load_dwordx2 v[38:39], v[32:33], off
	v_add_nc_u32_e32 v9, -4, v7
	global_load_dwordx2 v[42:43], v[30:31], off
	v_add_co_u32 v32, vcc_lo, s12, v34
	v_add_co_ci_u32_e64 v33, null, s13, v35, vcc_lo
	v_lshlrev_b64 v[40:41], 3, v[9:10]
	v_add_nc_u32_e32 v9, -3, v7
	global_load_dwordx2 v[46:47], v[32:33], off
	v_lshlrev_b64 v[44:45], 3, v[9:10]
	v_add_nc_u32_e32 v9, -2, v7
	v_add_co_u32 v40, vcc_lo, s12, v40
	v_add_co_ci_u32_e64 v41, null, s13, v41, vcc_lo
	v_lshlrev_b64 v[48:49], 3, v[9:10]
	v_add_nc_u32_e32 v9, -1, v7
	v_add_co_u32 v44, vcc_lo, s12, v44
	v_add_co_ci_u32_e64 v45, null, s13, v45, vcc_lo
	v_add_co_u32 v48, vcc_lo, s12, v48
	v_add_co_ci_u32_e64 v49, null, s13, v49, vcc_lo
	v_add_nc_u32_e32 v7, 0x60, v7
	s_waitcnt vmcnt(5)
	v_subrev_nc_u32_e32 v8, s2, v12
	v_lshlrev_b32_e32 v28, 2, v8
	v_lshlrev_b64 v[8:9], 3, v[9:10]
	v_lshlrev_b64 v[28:29], 3, v[28:29]
	v_add_co_u32 v8, vcc_lo, s12, v8
	v_add_co_ci_u32_e64 v9, null, s13, v9, vcc_lo
	v_add_co_u32 v32, s1, s14, v28
	v_add_co_ci_u32_e64 v33, null, s15, v29, s1
	v_cmp_ge_i32_e32 vcc_lo, v11, v16
	s_clause 0x1
	global_load_dwordx4 v[28:31], v[32:33], off
	global_load_dwordx4 v[32:35], v[32:33], off offset:16
	s_clause 0x4
	global_load_dwordx2 v[40:41], v[40:41], off
	global_load_dwordx2 v[44:45], v[44:45], off
	;; [unrolled: 1-line block ×5, first 2 shown]
	s_or_b32 s6, vcc_lo, s6
	s_waitcnt vmcnt(6)
	v_fmac_f32_e32 v17, v24, v28
	v_fmac_f32_e32 v13, v25, v28
	;; [unrolled: 1-line block ×6, first 2 shown]
	v_fma_f32 v12, -v25, v29, v17
	v_fmac_f32_e32 v13, v24, v29
	v_fma_f32 v17, -v27, v29, v19
	v_fmac_f32_e32 v15, v26, v29
	;; [unrolled: 2-line block ×3, first 2 shown]
	v_fmac_f32_e32 v12, v22, v30
	v_fmac_f32_e32 v13, v23, v30
	;; [unrolled: 1-line block ×6, first 2 shown]
	v_fma_f32 v12, -v23, v31, v12
	v_fmac_f32_e32 v13, v22, v31
	v_fma_f32 v17, -v39, v31, v17
	v_fmac_f32_e32 v15, v38, v31
	v_fma_f32 v18, -v43, v31, v18
	v_fmac_f32_e32 v14, v42, v31
	s_waitcnt vmcnt(5)
	v_fmac_f32_e32 v12, v46, v32
	v_fmac_f32_e32 v13, v47, v32
	s_waitcnt vmcnt(4)
	v_fmac_f32_e32 v17, v40, v32
	v_fmac_f32_e32 v15, v41, v32
	;; [unrolled: 3-line block ×3, first 2 shown]
	v_fma_f32 v12, -v47, v33, v12
	v_fmac_f32_e32 v13, v46, v33
	v_fma_f32 v19, -v41, v33, v17
	v_fmac_f32_e32 v15, v40, v33
	v_fma_f32 v18, -v45, v33, v18
	v_fmac_f32_e32 v14, v44, v33
	s_waitcnt vmcnt(2)
	v_fmac_f32_e32 v12, v48, v34
	v_fmac_f32_e32 v13, v49, v34
	s_waitcnt vmcnt(1)
	v_fmac_f32_e32 v19, v8, v34
	v_fmac_f32_e32 v15, v9, v34
	;; [unrolled: 3-line block ×3, first 2 shown]
	v_fma_f32 v17, -v49, v35, v12
	v_fmac_f32_e32 v13, v48, v35
	v_fma_f32 v19, -v9, v35, v19
	v_fmac_f32_e32 v15, v8, v35
	v_fma_f32 v18, -v37, v35, v18
	v_fmac_f32_e32 v14, v36, v35
	s_andn2_b32 exec_lo, exec_lo, s6
	s_cbranch_execnz .LBB85_7
; %bb.8:
	s_or_b32 exec_lo, exec_lo, s6
.LBB85_9:
	s_or_b32 exec_lo, exec_lo, s3
	s_cbranch_execz .LBB85_11
	s_branch .LBB85_16
.LBB85_10:
                                        ; implicit-def: $vgpr13
                                        ; implicit-def: $vgpr17
                                        ; implicit-def: $vgpr18
                                        ; implicit-def: $vgpr14
                                        ; implicit-def: $vgpr19
                                        ; implicit-def: $vgpr15
.LBB85_11:
	v_mov_b32_e32 v13, 0
	v_mov_b32_e32 v17, 0
	v_mov_b32_e32 v18, 0
	v_mov_b32_e32 v14, 0
	v_mov_b32_e32 v19, 0
	v_mov_b32_e32 v15, 0
	s_and_saveexec_b32 s1, s0
	s_cbranch_execz .LBB85_15
; %bb.12:
	v_mad_u64_u32 v[8:9], null, v6, 12, 11
	v_mov_b32_e32 v11, 0
	v_mov_b32_e32 v13, 0
	;; [unrolled: 1-line block ×7, first 2 shown]
	s_mov_b32 s0, 0
.LBB85_13:                              ; =>This Inner Loop Header: Depth=1
	v_ashrrev_i32_e32 v7, 31, v6
	v_add_nc_u32_e32 v20, -7, v8
	v_mov_b32_e32 v21, v11
	v_add_nc_u32_e32 v22, -3, v8
	v_mov_b32_e32 v23, v11
	v_lshlrev_b64 v[9:10], 2, v[6:7]
	v_mov_b32_e32 v29, v11
	v_lshlrev_b64 v[20:21], 3, v[20:21]
	v_add_nc_u32_e32 v6, 8, v6
	v_lshlrev_b64 v[22:23], 3, v[22:23]
	v_add_co_u32 v9, vcc_lo, s10, v9
	v_add_co_ci_u32_e64 v10, null, s11, v10, vcc_lo
	global_load_dword v7, v[9:10], off
	v_add_nc_u32_e32 v10, -11, v8
	v_mov_b32_e32 v9, v11
	v_lshlrev_b64 v[24:25], 3, v[10:11]
	v_add_nc_u32_e32 v10, -6, v8
	v_lshlrev_b64 v[26:27], 3, v[8:9]
	v_lshlrev_b64 v[30:31], 3, v[10:11]
	v_add_nc_u32_e32 v10, -2, v8
	v_add_co_u32 v24, vcc_lo, s12, v24
	v_add_co_ci_u32_e64 v25, null, s13, v25, vcc_lo
	v_lshlrev_b64 v[38:39], 3, v[10:11]
	v_add_nc_u32_e32 v10, -5, v8
	v_add_co_u32 v32, vcc_lo, s12, v20
	v_add_co_ci_u32_e64 v33, null, s13, v21, vcc_lo
	;; [unrolled: 4-line block ×3, first 2 shown]
	v_add_co_u32 v36, vcc_lo, s12, v26
	v_lshlrev_b64 v[48:49], 3, v[10:11]
	v_add_co_ci_u32_e64 v37, null, s13, v27, vcc_lo
	v_add_co_u32 v30, vcc_lo, s12, v30
	v_add_co_ci_u32_e64 v31, null, s13, v31, vcc_lo
	v_add_co_u32 v38, vcc_lo, s12, v38
	v_add_co_ci_u32_e64 v39, null, s13, v39, vcc_lo
	s_clause 0x4
	global_load_dwordx4 v[20:23], v[24:25], off offset:16
	global_load_dwordx4 v[24:27], v[24:25], off
	global_load_dwordx2 v[40:41], v[32:33], off
	global_load_dwordx2 v[42:43], v[34:35], off
	;; [unrolled: 1-line block ×3, first 2 shown]
	s_waitcnt vmcnt(5)
	v_subrev_nc_u32_e32 v7, s2, v7
	v_lshlrev_b32_e32 v28, 2, v7
	v_lshlrev_b64 v[9:10], 3, v[28:29]
	v_add_co_u32 v9, vcc_lo, s14, v9
	v_add_co_ci_u32_e64 v10, null, s15, v10, vcc_lo
	v_add_co_u32 v44, vcc_lo, s12, v44
	v_add_co_ci_u32_e64 v45, null, s13, v45, vcc_lo
	s_clause 0x1
	global_load_dwordx4 v[28:31], v[9:10], off
	global_load_dwordx4 v[32:35], v[9:10], off offset:16
	global_load_dwordx2 v[38:39], v[38:39], off
	v_add_nc_u32_e32 v10, -4, v8
	v_add_co_u32 v48, vcc_lo, s12, v48
	v_add_co_ci_u32_e64 v49, null, s13, v49, vcc_lo
	v_lshlrev_b64 v[9:10], 3, v[10:11]
	s_clause 0x1
	global_load_dwordx2 v[44:45], v[44:45], off
	global_load_dwordx2 v[48:49], v[48:49], off
	v_add_nc_u32_e32 v8, 0x60, v8
	v_add_co_u32 v9, vcc_lo, s12, v9
	v_add_co_ci_u32_e64 v10, null, s13, v10, vcc_lo
	s_clause 0x1
	global_load_dwordx2 v[9:10], v[9:10], off
	global_load_dwordx2 v[36:37], v[36:37], off
	v_cmp_ge_i32_e32 vcc_lo, v6, v16
	s_or_b32 s0, vcc_lo, s0
	s_waitcnt vmcnt(6)
	v_fmac_f32_e32 v17, v24, v28
	v_fmac_f32_e32 v13, v25, v28
	;; [unrolled: 1-line block ×6, first 2 shown]
	v_fma_f32 v7, -v25, v29, v17
	v_fmac_f32_e32 v13, v24, v29
	v_fma_f32 v12, -v41, v29, v19
	v_fmac_f32_e32 v15, v40, v29
	;; [unrolled: 2-line block ×3, first 2 shown]
	v_fmac_f32_e32 v7, v26, v30
	v_fmac_f32_e32 v13, v27, v30
	;; [unrolled: 1-line block ×4, first 2 shown]
	s_waitcnt vmcnt(4)
	v_fmac_f32_e32 v17, v38, v30
	v_fmac_f32_e32 v14, v39, v30
	v_fma_f32 v7, -v27, v31, v7
	v_fmac_f32_e32 v13, v26, v31
	v_fma_f32 v12, -v47, v31, v12
	;; [unrolled: 2-line block ×3, first 2 shown]
	v_fmac_f32_e32 v14, v38, v31
	v_fmac_f32_e32 v7, v20, v32
	;; [unrolled: 1-line block ×3, first 2 shown]
	s_waitcnt vmcnt(3)
	v_fmac_f32_e32 v12, v44, v32
	v_fmac_f32_e32 v15, v45, v32
	s_waitcnt vmcnt(2)
	v_fmac_f32_e32 v17, v48, v32
	v_fmac_f32_e32 v14, v49, v32
	v_fma_f32 v7, -v21, v33, v7
	v_fmac_f32_e32 v13, v20, v33
	v_fma_f32 v12, -v45, v33, v12
	;; [unrolled: 2-line block ×3, first 2 shown]
	v_fmac_f32_e32 v14, v48, v33
	v_fmac_f32_e32 v7, v22, v34
	;; [unrolled: 1-line block ×3, first 2 shown]
	s_waitcnt vmcnt(1)
	v_fmac_f32_e32 v12, v9, v34
	v_fmac_f32_e32 v15, v10, v34
	s_waitcnt vmcnt(0)
	v_fmac_f32_e32 v18, v36, v34
	v_fmac_f32_e32 v14, v37, v34
	v_fma_f32 v17, -v23, v35, v7
	v_fmac_f32_e32 v13, v22, v35
	v_fma_f32 v19, -v10, v35, v12
	;; [unrolled: 2-line block ×3, first 2 shown]
	v_fmac_f32_e32 v14, v36, v35
	s_andn2_b32 exec_lo, exec_lo, s0
	s_cbranch_execnz .LBB85_13
; %bb.14:
	s_or_b32 exec_lo, exec_lo, s0
.LBB85_15:
	s_or_b32 exec_lo, exec_lo, s1
.LBB85_16:
	v_mbcnt_lo_u32_b32 v6, -1, 0
	v_xor_b32_e32 v7, 4, v6
	v_xor_b32_e32 v16, 2, v6
	v_cmp_gt_i32_e32 vcc_lo, 32, v7
	v_cndmask_b32_e32 v7, v6, v7, vcc_lo
	v_cmp_gt_i32_e32 vcc_lo, 32, v16
	v_lshlrev_b32_e32 v7, 2, v7
	v_cndmask_b32_e32 v16, v6, v16, vcc_lo
	ds_bpermute_b32 v8, v7, v17
	ds_bpermute_b32 v9, v7, v13
	ds_bpermute_b32 v10, v7, v19
	ds_bpermute_b32 v11, v7, v15
	ds_bpermute_b32 v12, v7, v18
	ds_bpermute_b32 v7, v7, v14
	v_lshlrev_b32_e32 v16, 2, v16
	s_waitcnt lgkmcnt(5)
	v_add_f32_e32 v8, v17, v8
	s_waitcnt lgkmcnt(4)
	v_add_f32_e32 v9, v13, v9
	;; [unrolled: 2-line block ×6, first 2 shown]
	ds_bpermute_b32 v7, v16, v8
	ds_bpermute_b32 v11, v16, v9
	;; [unrolled: 1-line block ×6, first 2 shown]
	v_xor_b32_e32 v19, 1, v6
	v_cmp_gt_i32_e32 vcc_lo, 32, v19
	v_cndmask_b32_e32 v6, v6, v19, vcc_lo
	v_cmp_eq_u32_e32 vcc_lo, 7, v0
	v_lshlrev_b32_e32 v19, 2, v6
	s_waitcnt lgkmcnt(5)
	v_add_f32_e32 v6, v8, v7
	s_waitcnt lgkmcnt(4)
	v_add_f32_e32 v9, v9, v11
	;; [unrolled: 2-line block ×6, first 2 shown]
	ds_bpermute_b32 v10, v19, v6
	ds_bpermute_b32 v15, v19, v9
	;; [unrolled: 1-line block ×6, first 2 shown]
	s_and_b32 exec_lo, exec_lo, vcc_lo
	s_cbranch_execz .LBB85_21
; %bb.17:
	s_load_dwordx2 s[2:3], s[4:5], 0x38
	v_cmp_eq_f32_e32 vcc_lo, 0, v3
	v_cmp_eq_f32_e64 s0, 0, v4
	s_waitcnt lgkmcnt(0)
	v_add_f32_e32 v0, v6, v10
	v_add_f32_e32 v10, v9, v15
	;; [unrolled: 1-line block ×6, first 2 shown]
	s_and_b32 s0, vcc_lo, s0
	s_and_saveexec_b32 s1, s0
	s_xor_b32 s0, exec_lo, s1
	s_cbranch_execz .LBB85_19
; %bb.18:
	v_lshl_add_u32 v3, v5, 1, v5
	v_mul_f32_e64 v11, v10, -v2
	v_mul_f32_e32 v12, v1, v10
	v_mul_f32_e64 v13, v9, -v2
	v_mul_f32_e32 v14, v1, v9
	v_ashrrev_i32_e32 v4, 31, v3
	v_mul_f32_e64 v9, v8, -v2
	v_mul_f32_e32 v10, v1, v8
	v_fmac_f32_e32 v11, v1, v0
	v_fmac_f32_e32 v12, v2, v0
	v_lshlrev_b64 v[3:4], 3, v[3:4]
	v_fmac_f32_e32 v13, v1, v6
	v_fmac_f32_e32 v14, v2, v6
	;; [unrolled: 1-line block ×4, first 2 shown]
                                        ; implicit-def: $vgpr5
                                        ; implicit-def: $vgpr0
                                        ; implicit-def: $vgpr6
                                        ; implicit-def: $vgpr7
                                        ; implicit-def: $vgpr8
                                        ; implicit-def: $vgpr1_vgpr2
	v_add_co_u32 v3, vcc_lo, s2, v3
	v_add_co_ci_u32_e64 v4, null, s3, v4, vcc_lo
	global_store_dwordx4 v[3:4], v[11:14], off
	global_store_dwordx2 v[3:4], v[9:10], off offset:16
                                        ; implicit-def: $vgpr10
                                        ; implicit-def: $vgpr9
                                        ; implicit-def: $vgpr3_vgpr4
.LBB85_19:
	s_andn2_saveexec_b32 s0, s0
	s_cbranch_execz .LBB85_21
; %bb.20:
	v_lshl_add_u32 v11, v5, 1, v5
	v_mul_f32_e64 v15, v10, -v2
	v_mul_f32_e32 v16, v1, v10
	v_mul_f32_e64 v10, v9, -v2
	v_mul_f32_e32 v18, v1, v9
	v_ashrrev_i32_e32 v12, 31, v11
	v_mul_f32_e64 v9, v8, -v2
	v_mul_f32_e32 v5, v1, v8
	v_fmac_f32_e32 v15, v1, v0
	v_fmac_f32_e32 v16, v2, v0
	v_lshlrev_b64 v[11:12], 3, v[11:12]
	v_fmac_f32_e32 v10, v1, v6
	v_fmac_f32_e32 v18, v2, v6
	;; [unrolled: 1-line block ×4, first 2 shown]
	v_add_co_u32 v19, vcc_lo, s2, v11
	v_add_co_ci_u32_e64 v20, null, s3, v12, vcc_lo
	s_clause 0x1
	global_load_dwordx4 v[11:14], v[19:20], off
	global_load_dwordx2 v[21:22], v[19:20], off offset:16
	s_waitcnt vmcnt(1)
	v_fmac_f32_e32 v15, v3, v11
	v_fmac_f32_e32 v16, v4, v11
	;; [unrolled: 1-line block ×4, first 2 shown]
	s_waitcnt vmcnt(0)
	v_fmac_f32_e32 v9, v3, v21
	v_fmac_f32_e32 v5, v4, v21
	v_fma_f32 v15, -v4, v12, v15
	v_fmac_f32_e32 v16, v3, v12
	v_fma_f32 v17, -v4, v14, v10
	v_fmac_f32_e32 v18, v3, v14
	v_fma_f32 v4, -v4, v22, v9
	v_fmac_f32_e32 v5, v3, v22
	global_store_dwordx4 v[19:20], v[15:18], off
	global_store_dwordx2 v[19:20], v[4:5], off offset:16
.LBB85_21:
	s_endpgm
	.section	.rodata,"a",@progbits
	.p2align	6, 0x0
	.amdhsa_kernel _ZN9rocsparseL19gebsrmvn_3xn_kernelILj128ELj4ELj8E21rocsparse_complex_numIfEEEvi20rocsparse_direction_NS_24const_host_device_scalarIT2_EEPKiS8_PKS5_SA_S6_PS5_21rocsparse_index_base_b
		.amdhsa_group_segment_fixed_size 0
		.amdhsa_private_segment_fixed_size 0
		.amdhsa_kernarg_size 72
		.amdhsa_user_sgpr_count 6
		.amdhsa_user_sgpr_private_segment_buffer 1
		.amdhsa_user_sgpr_dispatch_ptr 0
		.amdhsa_user_sgpr_queue_ptr 0
		.amdhsa_user_sgpr_kernarg_segment_ptr 1
		.amdhsa_user_sgpr_dispatch_id 0
		.amdhsa_user_sgpr_flat_scratch_init 0
		.amdhsa_user_sgpr_private_segment_size 0
		.amdhsa_wavefront_size32 1
		.amdhsa_uses_dynamic_stack 0
		.amdhsa_system_sgpr_private_segment_wavefront_offset 0
		.amdhsa_system_sgpr_workgroup_id_x 1
		.amdhsa_system_sgpr_workgroup_id_y 0
		.amdhsa_system_sgpr_workgroup_id_z 0
		.amdhsa_system_sgpr_workgroup_info 0
		.amdhsa_system_vgpr_workitem_id 0
		.amdhsa_next_free_vgpr 50
		.amdhsa_next_free_sgpr 16
		.amdhsa_reserve_vcc 1
		.amdhsa_reserve_flat_scratch 0
		.amdhsa_float_round_mode_32 0
		.amdhsa_float_round_mode_16_64 0
		.amdhsa_float_denorm_mode_32 3
		.amdhsa_float_denorm_mode_16_64 3
		.amdhsa_dx10_clamp 1
		.amdhsa_ieee_mode 1
		.amdhsa_fp16_overflow 0
		.amdhsa_workgroup_processor_mode 1
		.amdhsa_memory_ordered 1
		.amdhsa_forward_progress 1
		.amdhsa_shared_vgpr_count 0
		.amdhsa_exception_fp_ieee_invalid_op 0
		.amdhsa_exception_fp_denorm_src 0
		.amdhsa_exception_fp_ieee_div_zero 0
		.amdhsa_exception_fp_ieee_overflow 0
		.amdhsa_exception_fp_ieee_underflow 0
		.amdhsa_exception_fp_ieee_inexact 0
		.amdhsa_exception_int_div_zero 0
	.end_amdhsa_kernel
	.section	.text._ZN9rocsparseL19gebsrmvn_3xn_kernelILj128ELj4ELj8E21rocsparse_complex_numIfEEEvi20rocsparse_direction_NS_24const_host_device_scalarIT2_EEPKiS8_PKS5_SA_S6_PS5_21rocsparse_index_base_b,"axG",@progbits,_ZN9rocsparseL19gebsrmvn_3xn_kernelILj128ELj4ELj8E21rocsparse_complex_numIfEEEvi20rocsparse_direction_NS_24const_host_device_scalarIT2_EEPKiS8_PKS5_SA_S6_PS5_21rocsparse_index_base_b,comdat
.Lfunc_end85:
	.size	_ZN9rocsparseL19gebsrmvn_3xn_kernelILj128ELj4ELj8E21rocsparse_complex_numIfEEEvi20rocsparse_direction_NS_24const_host_device_scalarIT2_EEPKiS8_PKS5_SA_S6_PS5_21rocsparse_index_base_b, .Lfunc_end85-_ZN9rocsparseL19gebsrmvn_3xn_kernelILj128ELj4ELj8E21rocsparse_complex_numIfEEEvi20rocsparse_direction_NS_24const_host_device_scalarIT2_EEPKiS8_PKS5_SA_S6_PS5_21rocsparse_index_base_b
                                        ; -- End function
	.set _ZN9rocsparseL19gebsrmvn_3xn_kernelILj128ELj4ELj8E21rocsparse_complex_numIfEEEvi20rocsparse_direction_NS_24const_host_device_scalarIT2_EEPKiS8_PKS5_SA_S6_PS5_21rocsparse_index_base_b.num_vgpr, 50
	.set _ZN9rocsparseL19gebsrmvn_3xn_kernelILj128ELj4ELj8E21rocsparse_complex_numIfEEEvi20rocsparse_direction_NS_24const_host_device_scalarIT2_EEPKiS8_PKS5_SA_S6_PS5_21rocsparse_index_base_b.num_agpr, 0
	.set _ZN9rocsparseL19gebsrmvn_3xn_kernelILj128ELj4ELj8E21rocsparse_complex_numIfEEEvi20rocsparse_direction_NS_24const_host_device_scalarIT2_EEPKiS8_PKS5_SA_S6_PS5_21rocsparse_index_base_b.numbered_sgpr, 16
	.set _ZN9rocsparseL19gebsrmvn_3xn_kernelILj128ELj4ELj8E21rocsparse_complex_numIfEEEvi20rocsparse_direction_NS_24const_host_device_scalarIT2_EEPKiS8_PKS5_SA_S6_PS5_21rocsparse_index_base_b.num_named_barrier, 0
	.set _ZN9rocsparseL19gebsrmvn_3xn_kernelILj128ELj4ELj8E21rocsparse_complex_numIfEEEvi20rocsparse_direction_NS_24const_host_device_scalarIT2_EEPKiS8_PKS5_SA_S6_PS5_21rocsparse_index_base_b.private_seg_size, 0
	.set _ZN9rocsparseL19gebsrmvn_3xn_kernelILj128ELj4ELj8E21rocsparse_complex_numIfEEEvi20rocsparse_direction_NS_24const_host_device_scalarIT2_EEPKiS8_PKS5_SA_S6_PS5_21rocsparse_index_base_b.uses_vcc, 1
	.set _ZN9rocsparseL19gebsrmvn_3xn_kernelILj128ELj4ELj8E21rocsparse_complex_numIfEEEvi20rocsparse_direction_NS_24const_host_device_scalarIT2_EEPKiS8_PKS5_SA_S6_PS5_21rocsparse_index_base_b.uses_flat_scratch, 0
	.set _ZN9rocsparseL19gebsrmvn_3xn_kernelILj128ELj4ELj8E21rocsparse_complex_numIfEEEvi20rocsparse_direction_NS_24const_host_device_scalarIT2_EEPKiS8_PKS5_SA_S6_PS5_21rocsparse_index_base_b.has_dyn_sized_stack, 0
	.set _ZN9rocsparseL19gebsrmvn_3xn_kernelILj128ELj4ELj8E21rocsparse_complex_numIfEEEvi20rocsparse_direction_NS_24const_host_device_scalarIT2_EEPKiS8_PKS5_SA_S6_PS5_21rocsparse_index_base_b.has_recursion, 0
	.set _ZN9rocsparseL19gebsrmvn_3xn_kernelILj128ELj4ELj8E21rocsparse_complex_numIfEEEvi20rocsparse_direction_NS_24const_host_device_scalarIT2_EEPKiS8_PKS5_SA_S6_PS5_21rocsparse_index_base_b.has_indirect_call, 0
	.section	.AMDGPU.csdata,"",@progbits
; Kernel info:
; codeLenInByte = 2628
; TotalNumSgprs: 18
; NumVgprs: 50
; ScratchSize: 0
; MemoryBound: 0
; FloatMode: 240
; IeeeMode: 1
; LDSByteSize: 0 bytes/workgroup (compile time only)
; SGPRBlocks: 0
; VGPRBlocks: 6
; NumSGPRsForWavesPerEU: 18
; NumVGPRsForWavesPerEU: 50
; Occupancy: 16
; WaveLimiterHint : 1
; COMPUTE_PGM_RSRC2:SCRATCH_EN: 0
; COMPUTE_PGM_RSRC2:USER_SGPR: 6
; COMPUTE_PGM_RSRC2:TRAP_HANDLER: 0
; COMPUTE_PGM_RSRC2:TGID_X_EN: 1
; COMPUTE_PGM_RSRC2:TGID_Y_EN: 0
; COMPUTE_PGM_RSRC2:TGID_Z_EN: 0
; COMPUTE_PGM_RSRC2:TIDIG_COMP_CNT: 0
	.section	.text._ZN9rocsparseL19gebsrmvn_3xn_kernelILj128ELj4ELj16E21rocsparse_complex_numIfEEEvi20rocsparse_direction_NS_24const_host_device_scalarIT2_EEPKiS8_PKS5_SA_S6_PS5_21rocsparse_index_base_b,"axG",@progbits,_ZN9rocsparseL19gebsrmvn_3xn_kernelILj128ELj4ELj16E21rocsparse_complex_numIfEEEvi20rocsparse_direction_NS_24const_host_device_scalarIT2_EEPKiS8_PKS5_SA_S6_PS5_21rocsparse_index_base_b,comdat
	.globl	_ZN9rocsparseL19gebsrmvn_3xn_kernelILj128ELj4ELj16E21rocsparse_complex_numIfEEEvi20rocsparse_direction_NS_24const_host_device_scalarIT2_EEPKiS8_PKS5_SA_S6_PS5_21rocsparse_index_base_b ; -- Begin function _ZN9rocsparseL19gebsrmvn_3xn_kernelILj128ELj4ELj16E21rocsparse_complex_numIfEEEvi20rocsparse_direction_NS_24const_host_device_scalarIT2_EEPKiS8_PKS5_SA_S6_PS5_21rocsparse_index_base_b
	.p2align	8
	.type	_ZN9rocsparseL19gebsrmvn_3xn_kernelILj128ELj4ELj16E21rocsparse_complex_numIfEEEvi20rocsparse_direction_NS_24const_host_device_scalarIT2_EEPKiS8_PKS5_SA_S6_PS5_21rocsparse_index_base_b,@function
_ZN9rocsparseL19gebsrmvn_3xn_kernelILj128ELj4ELj16E21rocsparse_complex_numIfEEEvi20rocsparse_direction_NS_24const_host_device_scalarIT2_EEPKiS8_PKS5_SA_S6_PS5_21rocsparse_index_base_b: ; @_ZN9rocsparseL19gebsrmvn_3xn_kernelILj128ELj4ELj16E21rocsparse_complex_numIfEEEvi20rocsparse_direction_NS_24const_host_device_scalarIT2_EEPKiS8_PKS5_SA_S6_PS5_21rocsparse_index_base_b
; %bb.0:
	s_clause 0x2
	s_load_dwordx2 s[2:3], s[4:5], 0x40
	s_load_dwordx2 s[0:1], s[4:5], 0x8
	;; [unrolled: 1-line block ×3, first 2 shown]
	s_add_u32 s7, s4, 8
	s_addc_u32 s10, s5, 0
	s_add_u32 s11, s4, 48
	s_addc_u32 s12, s5, 0
	s_waitcnt lgkmcnt(0)
	s_bitcmp1_b32 s3, 0
	s_cselect_b32 s0, s7, s0
	s_cselect_b32 s1, s10, s1
	v_mov_b32_e32 v1, s0
	v_mov_b32_e32 v2, s1
	s_cselect_b32 s0, s11, s8
	s_cselect_b32 s1, s12, s9
	v_mov_b32_e32 v3, s0
	v_mov_b32_e32 v4, s1
	flat_load_dwordx2 v[1:2], v[1:2]
	flat_load_dwordx2 v[3:4], v[3:4]
	s_waitcnt vmcnt(1) lgkmcnt(1)
	v_cmp_eq_f32_e32 vcc_lo, 0, v1
	v_cmp_eq_f32_e64 s0, 0, v2
	s_and_b32 s3, vcc_lo, s0
	s_mov_b32 s0, -1
	s_and_saveexec_b32 s1, s3
	s_cbranch_execz .LBB86_2
; %bb.1:
	s_waitcnt vmcnt(0) lgkmcnt(0)
	v_cmp_neq_f32_e32 vcc_lo, 1.0, v3
	v_cmp_neq_f32_e64 s0, 0, v4
	s_or_b32 s0, vcc_lo, s0
	s_orn2_b32 s0, s0, exec_lo
.LBB86_2:
	s_or_b32 exec_lo, exec_lo, s1
	s_and_saveexec_b32 s1, s0
	s_cbranch_execz .LBB86_21
; %bb.3:
	s_load_dwordx2 s[0:1], s[4:5], 0x0
	v_lshrrev_b32_e32 v5, 4, v0
	v_lshl_or_b32 v5, s6, 3, v5
	s_waitcnt lgkmcnt(0)
	v_cmp_gt_i32_e32 vcc_lo, s0, v5
	s_and_b32 exec_lo, exec_lo, vcc_lo
	s_cbranch_execz .LBB86_21
; %bb.4:
	s_load_dwordx8 s[8:15], s[4:5], 0x10
	v_ashrrev_i32_e32 v6, 31, v5
	v_and_b32_e32 v0, 15, v0
	s_cmp_lg_u32 s1, 0
	v_lshlrev_b64 v[6:7], 2, v[5:6]
	s_waitcnt lgkmcnt(0)
	v_add_co_u32 v6, vcc_lo, s8, v6
	v_add_co_ci_u32_e64 v7, null, s9, v7, vcc_lo
	global_load_dwordx2 v[6:7], v[6:7], off
	s_waitcnt vmcnt(0)
	v_subrev_nc_u32_e32 v6, s2, v6
	v_subrev_nc_u32_e32 v16, s2, v7
	v_add_nc_u32_e32 v6, v6, v0
	v_cmp_lt_i32_e64 s0, v6, v16
	s_cbranch_scc0 .LBB86_10
; %bb.5:
	v_mov_b32_e32 v13, 0
	v_mov_b32_e32 v17, 0
	;; [unrolled: 1-line block ×6, first 2 shown]
	s_and_saveexec_b32 s3, s0
	s_cbranch_execz .LBB86_9
; %bb.6:
	v_mad_u64_u32 v[7:8], null, v6, 12, 11
	v_mov_b32_e32 v10, 0
	v_mov_b32_e32 v11, v6
	;; [unrolled: 1-line block ×8, first 2 shown]
	s_mov_b32 s6, 0
.LBB86_7:                               ; =>This Inner Loop Header: Depth=1
	v_ashrrev_i32_e32 v12, 31, v11
	v_mov_b32_e32 v29, v10
	v_lshlrev_b64 v[8:9], 2, v[11:12]
	v_add_nc_u32_e32 v11, 16, v11
	v_add_co_u32 v8, vcc_lo, s10, v8
	v_add_co_ci_u32_e64 v9, null, s11, v9, vcc_lo
	global_load_dword v12, v[8:9], off
	v_add_nc_u32_e32 v9, -11, v7
	v_mov_b32_e32 v8, v10
	v_lshlrev_b64 v[20:21], 3, v[9:10]
	v_add_nc_u32_e32 v9, -7, v7
	v_lshlrev_b64 v[22:23], 3, v[7:8]
	v_lshlrev_b64 v[24:25], 3, v[9:10]
	v_add_nc_u32_e32 v9, -6, v7
	v_add_co_u32 v26, vcc_lo, s12, v20
	v_add_co_ci_u32_e64 v27, null, s13, v21, vcc_lo
	v_lshlrev_b64 v[30:31], 3, v[9:10]
	v_add_co_u32 v36, vcc_lo, s12, v22
	v_add_nc_u32_e32 v9, -5, v7
	v_add_co_ci_u32_e64 v37, null, s13, v23, vcc_lo
	v_add_co_u32 v32, vcc_lo, s12, v24
	v_add_co_ci_u32_e64 v33, null, s13, v25, vcc_lo
	v_add_co_u32 v30, vcc_lo, s12, v30
	v_lshlrev_b64 v[34:35], 3, v[9:10]
	v_add_co_ci_u32_e64 v31, null, s13, v31, vcc_lo
	s_clause 0x2
	global_load_dwordx4 v[20:23], v[26:27], off offset:16
	global_load_dwordx4 v[24:27], v[26:27], off
	global_load_dwordx2 v[38:39], v[32:33], off
	v_add_nc_u32_e32 v9, -4, v7
	global_load_dwordx2 v[42:43], v[30:31], off
	v_add_co_u32 v32, vcc_lo, s12, v34
	v_add_co_ci_u32_e64 v33, null, s13, v35, vcc_lo
	v_lshlrev_b64 v[40:41], 3, v[9:10]
	v_add_nc_u32_e32 v9, -3, v7
	global_load_dwordx2 v[46:47], v[32:33], off
	v_lshlrev_b64 v[44:45], 3, v[9:10]
	v_add_nc_u32_e32 v9, -2, v7
	v_add_co_u32 v40, vcc_lo, s12, v40
	v_add_co_ci_u32_e64 v41, null, s13, v41, vcc_lo
	v_lshlrev_b64 v[48:49], 3, v[9:10]
	v_add_nc_u32_e32 v9, -1, v7
	v_add_co_u32 v44, vcc_lo, s12, v44
	v_add_co_ci_u32_e64 v45, null, s13, v45, vcc_lo
	v_add_co_u32 v48, vcc_lo, s12, v48
	v_add_co_ci_u32_e64 v49, null, s13, v49, vcc_lo
	v_add_nc_u32_e32 v7, 0xc0, v7
	s_waitcnt vmcnt(5)
	v_subrev_nc_u32_e32 v8, s2, v12
	v_lshlrev_b32_e32 v28, 2, v8
	v_lshlrev_b64 v[8:9], 3, v[9:10]
	v_lshlrev_b64 v[28:29], 3, v[28:29]
	v_add_co_u32 v8, vcc_lo, s12, v8
	v_add_co_ci_u32_e64 v9, null, s13, v9, vcc_lo
	v_add_co_u32 v32, s1, s14, v28
	v_add_co_ci_u32_e64 v33, null, s15, v29, s1
	v_cmp_ge_i32_e32 vcc_lo, v11, v16
	s_clause 0x1
	global_load_dwordx4 v[28:31], v[32:33], off
	global_load_dwordx4 v[32:35], v[32:33], off offset:16
	s_clause 0x4
	global_load_dwordx2 v[40:41], v[40:41], off
	global_load_dwordx2 v[44:45], v[44:45], off
	;; [unrolled: 1-line block ×5, first 2 shown]
	s_or_b32 s6, vcc_lo, s6
	s_waitcnt vmcnt(6)
	v_fmac_f32_e32 v17, v24, v28
	v_fmac_f32_e32 v13, v25, v28
	v_fmac_f32_e32 v19, v26, v28
	v_fmac_f32_e32 v15, v27, v28
	v_fmac_f32_e32 v18, v20, v28
	v_fmac_f32_e32 v14, v21, v28
	v_fma_f32 v12, -v25, v29, v17
	v_fmac_f32_e32 v13, v24, v29
	v_fma_f32 v17, -v27, v29, v19
	v_fmac_f32_e32 v15, v26, v29
	;; [unrolled: 2-line block ×3, first 2 shown]
	v_fmac_f32_e32 v12, v22, v30
	v_fmac_f32_e32 v13, v23, v30
	;; [unrolled: 1-line block ×6, first 2 shown]
	v_fma_f32 v12, -v23, v31, v12
	v_fmac_f32_e32 v13, v22, v31
	v_fma_f32 v17, -v39, v31, v17
	v_fmac_f32_e32 v15, v38, v31
	;; [unrolled: 2-line block ×3, first 2 shown]
	s_waitcnt vmcnt(5)
	v_fmac_f32_e32 v12, v46, v32
	v_fmac_f32_e32 v13, v47, v32
	s_waitcnt vmcnt(4)
	v_fmac_f32_e32 v17, v40, v32
	v_fmac_f32_e32 v15, v41, v32
	;; [unrolled: 3-line block ×3, first 2 shown]
	v_fma_f32 v12, -v47, v33, v12
	v_fmac_f32_e32 v13, v46, v33
	v_fma_f32 v19, -v41, v33, v17
	v_fmac_f32_e32 v15, v40, v33
	;; [unrolled: 2-line block ×3, first 2 shown]
	s_waitcnt vmcnt(2)
	v_fmac_f32_e32 v12, v48, v34
	v_fmac_f32_e32 v13, v49, v34
	s_waitcnt vmcnt(1)
	v_fmac_f32_e32 v19, v8, v34
	v_fmac_f32_e32 v15, v9, v34
	;; [unrolled: 3-line block ×3, first 2 shown]
	v_fma_f32 v17, -v49, v35, v12
	v_fmac_f32_e32 v13, v48, v35
	v_fma_f32 v19, -v9, v35, v19
	v_fmac_f32_e32 v15, v8, v35
	;; [unrolled: 2-line block ×3, first 2 shown]
	s_andn2_b32 exec_lo, exec_lo, s6
	s_cbranch_execnz .LBB86_7
; %bb.8:
	s_or_b32 exec_lo, exec_lo, s6
.LBB86_9:
	s_or_b32 exec_lo, exec_lo, s3
	s_cbranch_execz .LBB86_11
	s_branch .LBB86_16
.LBB86_10:
                                        ; implicit-def: $vgpr13
                                        ; implicit-def: $vgpr17
                                        ; implicit-def: $vgpr18
                                        ; implicit-def: $vgpr14
                                        ; implicit-def: $vgpr19
                                        ; implicit-def: $vgpr15
.LBB86_11:
	v_mov_b32_e32 v13, 0
	v_mov_b32_e32 v17, 0
	;; [unrolled: 1-line block ×6, first 2 shown]
	s_and_saveexec_b32 s1, s0
	s_cbranch_execz .LBB86_15
; %bb.12:
	v_mad_u64_u32 v[8:9], null, v6, 12, 11
	v_mov_b32_e32 v11, 0
	v_mov_b32_e32 v13, 0
	;; [unrolled: 1-line block ×7, first 2 shown]
	s_mov_b32 s0, 0
.LBB86_13:                              ; =>This Inner Loop Header: Depth=1
	v_ashrrev_i32_e32 v7, 31, v6
	v_add_nc_u32_e32 v20, -7, v8
	v_mov_b32_e32 v21, v11
	v_add_nc_u32_e32 v22, -3, v8
	v_mov_b32_e32 v23, v11
	v_lshlrev_b64 v[9:10], 2, v[6:7]
	v_mov_b32_e32 v29, v11
	v_lshlrev_b64 v[20:21], 3, v[20:21]
	v_add_nc_u32_e32 v6, 16, v6
	v_lshlrev_b64 v[22:23], 3, v[22:23]
	v_add_co_u32 v9, vcc_lo, s10, v9
	v_add_co_ci_u32_e64 v10, null, s11, v10, vcc_lo
	global_load_dword v7, v[9:10], off
	v_add_nc_u32_e32 v10, -11, v8
	v_mov_b32_e32 v9, v11
	v_lshlrev_b64 v[24:25], 3, v[10:11]
	v_add_nc_u32_e32 v10, -6, v8
	v_lshlrev_b64 v[26:27], 3, v[8:9]
	v_lshlrev_b64 v[30:31], 3, v[10:11]
	v_add_nc_u32_e32 v10, -2, v8
	v_add_co_u32 v24, vcc_lo, s12, v24
	v_add_co_ci_u32_e64 v25, null, s13, v25, vcc_lo
	v_lshlrev_b64 v[38:39], 3, v[10:11]
	v_add_nc_u32_e32 v10, -5, v8
	v_add_co_u32 v32, vcc_lo, s12, v20
	v_add_co_ci_u32_e64 v33, null, s13, v21, vcc_lo
	;; [unrolled: 4-line block ×3, first 2 shown]
	v_add_co_u32 v36, vcc_lo, s12, v26
	v_lshlrev_b64 v[48:49], 3, v[10:11]
	v_add_co_ci_u32_e64 v37, null, s13, v27, vcc_lo
	v_add_co_u32 v30, vcc_lo, s12, v30
	v_add_co_ci_u32_e64 v31, null, s13, v31, vcc_lo
	v_add_co_u32 v38, vcc_lo, s12, v38
	v_add_co_ci_u32_e64 v39, null, s13, v39, vcc_lo
	s_clause 0x4
	global_load_dwordx4 v[20:23], v[24:25], off offset:16
	global_load_dwordx4 v[24:27], v[24:25], off
	global_load_dwordx2 v[40:41], v[32:33], off
	global_load_dwordx2 v[42:43], v[34:35], off
	;; [unrolled: 1-line block ×3, first 2 shown]
	s_waitcnt vmcnt(5)
	v_subrev_nc_u32_e32 v7, s2, v7
	v_lshlrev_b32_e32 v28, 2, v7
	v_lshlrev_b64 v[9:10], 3, v[28:29]
	v_add_co_u32 v9, vcc_lo, s14, v9
	v_add_co_ci_u32_e64 v10, null, s15, v10, vcc_lo
	v_add_co_u32 v44, vcc_lo, s12, v44
	v_add_co_ci_u32_e64 v45, null, s13, v45, vcc_lo
	s_clause 0x1
	global_load_dwordx4 v[28:31], v[9:10], off
	global_load_dwordx4 v[32:35], v[9:10], off offset:16
	global_load_dwordx2 v[38:39], v[38:39], off
	v_add_nc_u32_e32 v10, -4, v8
	v_add_co_u32 v48, vcc_lo, s12, v48
	v_add_co_ci_u32_e64 v49, null, s13, v49, vcc_lo
	v_lshlrev_b64 v[9:10], 3, v[10:11]
	s_clause 0x1
	global_load_dwordx2 v[44:45], v[44:45], off
	global_load_dwordx2 v[48:49], v[48:49], off
	v_add_nc_u32_e32 v8, 0xc0, v8
	v_add_co_u32 v9, vcc_lo, s12, v9
	v_add_co_ci_u32_e64 v10, null, s13, v10, vcc_lo
	s_clause 0x1
	global_load_dwordx2 v[9:10], v[9:10], off
	global_load_dwordx2 v[36:37], v[36:37], off
	v_cmp_ge_i32_e32 vcc_lo, v6, v16
	s_or_b32 s0, vcc_lo, s0
	s_waitcnt vmcnt(6)
	v_fmac_f32_e32 v17, v24, v28
	v_fmac_f32_e32 v13, v25, v28
	;; [unrolled: 1-line block ×6, first 2 shown]
	v_fma_f32 v7, -v25, v29, v17
	v_fmac_f32_e32 v13, v24, v29
	v_fma_f32 v12, -v41, v29, v19
	v_fmac_f32_e32 v15, v40, v29
	;; [unrolled: 2-line block ×3, first 2 shown]
	v_fmac_f32_e32 v7, v26, v30
	v_fmac_f32_e32 v13, v27, v30
	;; [unrolled: 1-line block ×4, first 2 shown]
	s_waitcnt vmcnt(4)
	v_fmac_f32_e32 v17, v38, v30
	v_fmac_f32_e32 v14, v39, v30
	v_fma_f32 v7, -v27, v31, v7
	v_fmac_f32_e32 v13, v26, v31
	v_fma_f32 v12, -v47, v31, v12
	;; [unrolled: 2-line block ×3, first 2 shown]
	v_fmac_f32_e32 v14, v38, v31
	v_fmac_f32_e32 v7, v20, v32
	;; [unrolled: 1-line block ×3, first 2 shown]
	s_waitcnt vmcnt(3)
	v_fmac_f32_e32 v12, v44, v32
	v_fmac_f32_e32 v15, v45, v32
	s_waitcnt vmcnt(2)
	v_fmac_f32_e32 v17, v48, v32
	v_fmac_f32_e32 v14, v49, v32
	v_fma_f32 v7, -v21, v33, v7
	v_fmac_f32_e32 v13, v20, v33
	v_fma_f32 v12, -v45, v33, v12
	;; [unrolled: 2-line block ×3, first 2 shown]
	v_fmac_f32_e32 v14, v48, v33
	v_fmac_f32_e32 v7, v22, v34
	;; [unrolled: 1-line block ×3, first 2 shown]
	s_waitcnt vmcnt(1)
	v_fmac_f32_e32 v12, v9, v34
	v_fmac_f32_e32 v15, v10, v34
	s_waitcnt vmcnt(0)
	v_fmac_f32_e32 v18, v36, v34
	v_fmac_f32_e32 v14, v37, v34
	v_fma_f32 v17, -v23, v35, v7
	v_fmac_f32_e32 v13, v22, v35
	v_fma_f32 v19, -v10, v35, v12
	;; [unrolled: 2-line block ×3, first 2 shown]
	v_fmac_f32_e32 v14, v36, v35
	s_andn2_b32 exec_lo, exec_lo, s0
	s_cbranch_execnz .LBB86_13
; %bb.14:
	s_or_b32 exec_lo, exec_lo, s0
.LBB86_15:
	s_or_b32 exec_lo, exec_lo, s1
.LBB86_16:
	v_mbcnt_lo_u32_b32 v6, -1, 0
	v_xor_b32_e32 v7, 8, v6
	v_xor_b32_e32 v16, 4, v6
	v_cmp_gt_i32_e32 vcc_lo, 32, v7
	v_cndmask_b32_e32 v7, v6, v7, vcc_lo
	v_cmp_gt_i32_e32 vcc_lo, 32, v16
	v_lshlrev_b32_e32 v7, 2, v7
	v_cndmask_b32_e32 v16, v6, v16, vcc_lo
	ds_bpermute_b32 v8, v7, v17
	ds_bpermute_b32 v9, v7, v13
	;; [unrolled: 1-line block ×6, first 2 shown]
	v_lshlrev_b32_e32 v16, 2, v16
	s_waitcnt lgkmcnt(5)
	v_add_f32_e32 v8, v17, v8
	s_waitcnt lgkmcnt(4)
	v_add_f32_e32 v9, v13, v9
	s_waitcnt lgkmcnt(3)
	v_add_f32_e32 v10, v19, v10
	s_waitcnt lgkmcnt(2)
	v_add_f32_e32 v11, v15, v11
	s_waitcnt lgkmcnt(1)
	v_add_f32_e32 v12, v18, v12
	s_waitcnt lgkmcnt(0)
	v_add_f32_e32 v7, v14, v7
	ds_bpermute_b32 v13, v16, v8
	ds_bpermute_b32 v14, v16, v9
	;; [unrolled: 1-line block ×6, first 2 shown]
	v_xor_b32_e32 v19, 2, v6
	v_cmp_gt_i32_e32 vcc_lo, 32, v19
	v_cndmask_b32_e32 v19, v6, v19, vcc_lo
	s_waitcnt lgkmcnt(5)
	v_add_f32_e32 v8, v8, v13
	v_lshlrev_b32_e32 v19, 2, v19
	s_waitcnt lgkmcnt(4)
	v_add_f32_e32 v9, v9, v14
	s_waitcnt lgkmcnt(3)
	v_add_f32_e32 v10, v10, v15
	;; [unrolled: 2-line block ×5, first 2 shown]
	ds_bpermute_b32 v7, v19, v8
	ds_bpermute_b32 v11, v19, v9
	;; [unrolled: 1-line block ×6, first 2 shown]
	v_xor_b32_e32 v19, 1, v6
	v_cmp_gt_i32_e32 vcc_lo, 32, v19
	v_cndmask_b32_e32 v6, v6, v19, vcc_lo
	v_cmp_eq_u32_e32 vcc_lo, 15, v0
	v_lshlrev_b32_e32 v19, 2, v6
	s_waitcnt lgkmcnt(5)
	v_add_f32_e32 v6, v8, v7
	s_waitcnt lgkmcnt(4)
	v_add_f32_e32 v9, v9, v11
	;; [unrolled: 2-line block ×6, first 2 shown]
	ds_bpermute_b32 v10, v19, v6
	ds_bpermute_b32 v15, v19, v9
	;; [unrolled: 1-line block ×6, first 2 shown]
	s_and_b32 exec_lo, exec_lo, vcc_lo
	s_cbranch_execz .LBB86_21
; %bb.17:
	s_load_dwordx2 s[2:3], s[4:5], 0x38
	v_cmp_eq_f32_e32 vcc_lo, 0, v3
	v_cmp_eq_f32_e64 s0, 0, v4
	s_waitcnt lgkmcnt(0)
	v_add_f32_e32 v0, v6, v10
	v_add_f32_e32 v10, v9, v15
	;; [unrolled: 1-line block ×6, first 2 shown]
	s_and_b32 s0, vcc_lo, s0
	s_and_saveexec_b32 s1, s0
	s_xor_b32 s0, exec_lo, s1
	s_cbranch_execz .LBB86_19
; %bb.18:
	v_lshl_add_u32 v3, v5, 1, v5
	v_mul_f32_e64 v11, v10, -v2
	v_mul_f32_e32 v12, v1, v10
	v_mul_f32_e64 v13, v9, -v2
	v_mul_f32_e32 v14, v1, v9
	v_ashrrev_i32_e32 v4, 31, v3
	v_mul_f32_e64 v9, v8, -v2
	v_mul_f32_e32 v10, v1, v8
	v_fmac_f32_e32 v11, v1, v0
	v_fmac_f32_e32 v12, v2, v0
	v_lshlrev_b64 v[3:4], 3, v[3:4]
	v_fmac_f32_e32 v13, v1, v6
	v_fmac_f32_e32 v14, v2, v6
	;; [unrolled: 1-line block ×4, first 2 shown]
                                        ; implicit-def: $vgpr5
                                        ; implicit-def: $vgpr0
                                        ; implicit-def: $vgpr6
                                        ; implicit-def: $vgpr7
                                        ; implicit-def: $vgpr8
                                        ; implicit-def: $vgpr1_vgpr2
	v_add_co_u32 v3, vcc_lo, s2, v3
	v_add_co_ci_u32_e64 v4, null, s3, v4, vcc_lo
	global_store_dwordx4 v[3:4], v[11:14], off
	global_store_dwordx2 v[3:4], v[9:10], off offset:16
                                        ; implicit-def: $vgpr10
                                        ; implicit-def: $vgpr9
                                        ; implicit-def: $vgpr3_vgpr4
.LBB86_19:
	s_andn2_saveexec_b32 s0, s0
	s_cbranch_execz .LBB86_21
; %bb.20:
	v_lshl_add_u32 v11, v5, 1, v5
	v_mul_f32_e64 v15, v10, -v2
	v_mul_f32_e32 v16, v1, v10
	v_mul_f32_e64 v10, v9, -v2
	v_mul_f32_e32 v18, v1, v9
	v_ashrrev_i32_e32 v12, 31, v11
	v_mul_f32_e64 v9, v8, -v2
	v_mul_f32_e32 v5, v1, v8
	v_fmac_f32_e32 v15, v1, v0
	v_fmac_f32_e32 v16, v2, v0
	v_lshlrev_b64 v[11:12], 3, v[11:12]
	v_fmac_f32_e32 v10, v1, v6
	v_fmac_f32_e32 v18, v2, v6
	;; [unrolled: 1-line block ×4, first 2 shown]
	v_add_co_u32 v19, vcc_lo, s2, v11
	v_add_co_ci_u32_e64 v20, null, s3, v12, vcc_lo
	s_clause 0x1
	global_load_dwordx4 v[11:14], v[19:20], off
	global_load_dwordx2 v[21:22], v[19:20], off offset:16
	s_waitcnt vmcnt(1)
	v_fmac_f32_e32 v15, v3, v11
	v_fmac_f32_e32 v16, v4, v11
	;; [unrolled: 1-line block ×4, first 2 shown]
	s_waitcnt vmcnt(0)
	v_fmac_f32_e32 v9, v3, v21
	v_fmac_f32_e32 v5, v4, v21
	v_fma_f32 v15, -v4, v12, v15
	v_fmac_f32_e32 v16, v3, v12
	v_fma_f32 v17, -v4, v14, v10
	;; [unrolled: 2-line block ×3, first 2 shown]
	v_fmac_f32_e32 v5, v3, v22
	global_store_dwordx4 v[19:20], v[15:18], off
	global_store_dwordx2 v[19:20], v[4:5], off offset:16
.LBB86_21:
	s_endpgm
	.section	.rodata,"a",@progbits
	.p2align	6, 0x0
	.amdhsa_kernel _ZN9rocsparseL19gebsrmvn_3xn_kernelILj128ELj4ELj16E21rocsparse_complex_numIfEEEvi20rocsparse_direction_NS_24const_host_device_scalarIT2_EEPKiS8_PKS5_SA_S6_PS5_21rocsparse_index_base_b
		.amdhsa_group_segment_fixed_size 0
		.amdhsa_private_segment_fixed_size 0
		.amdhsa_kernarg_size 72
		.amdhsa_user_sgpr_count 6
		.amdhsa_user_sgpr_private_segment_buffer 1
		.amdhsa_user_sgpr_dispatch_ptr 0
		.amdhsa_user_sgpr_queue_ptr 0
		.amdhsa_user_sgpr_kernarg_segment_ptr 1
		.amdhsa_user_sgpr_dispatch_id 0
		.amdhsa_user_sgpr_flat_scratch_init 0
		.amdhsa_user_sgpr_private_segment_size 0
		.amdhsa_wavefront_size32 1
		.amdhsa_uses_dynamic_stack 0
		.amdhsa_system_sgpr_private_segment_wavefront_offset 0
		.amdhsa_system_sgpr_workgroup_id_x 1
		.amdhsa_system_sgpr_workgroup_id_y 0
		.amdhsa_system_sgpr_workgroup_id_z 0
		.amdhsa_system_sgpr_workgroup_info 0
		.amdhsa_system_vgpr_workitem_id 0
		.amdhsa_next_free_vgpr 50
		.amdhsa_next_free_sgpr 16
		.amdhsa_reserve_vcc 1
		.amdhsa_reserve_flat_scratch 0
		.amdhsa_float_round_mode_32 0
		.amdhsa_float_round_mode_16_64 0
		.amdhsa_float_denorm_mode_32 3
		.amdhsa_float_denorm_mode_16_64 3
		.amdhsa_dx10_clamp 1
		.amdhsa_ieee_mode 1
		.amdhsa_fp16_overflow 0
		.amdhsa_workgroup_processor_mode 1
		.amdhsa_memory_ordered 1
		.amdhsa_forward_progress 1
		.amdhsa_shared_vgpr_count 0
		.amdhsa_exception_fp_ieee_invalid_op 0
		.amdhsa_exception_fp_denorm_src 0
		.amdhsa_exception_fp_ieee_div_zero 0
		.amdhsa_exception_fp_ieee_overflow 0
		.amdhsa_exception_fp_ieee_underflow 0
		.amdhsa_exception_fp_ieee_inexact 0
		.amdhsa_exception_int_div_zero 0
	.end_amdhsa_kernel
	.section	.text._ZN9rocsparseL19gebsrmvn_3xn_kernelILj128ELj4ELj16E21rocsparse_complex_numIfEEEvi20rocsparse_direction_NS_24const_host_device_scalarIT2_EEPKiS8_PKS5_SA_S6_PS5_21rocsparse_index_base_b,"axG",@progbits,_ZN9rocsparseL19gebsrmvn_3xn_kernelILj128ELj4ELj16E21rocsparse_complex_numIfEEEvi20rocsparse_direction_NS_24const_host_device_scalarIT2_EEPKiS8_PKS5_SA_S6_PS5_21rocsparse_index_base_b,comdat
.Lfunc_end86:
	.size	_ZN9rocsparseL19gebsrmvn_3xn_kernelILj128ELj4ELj16E21rocsparse_complex_numIfEEEvi20rocsparse_direction_NS_24const_host_device_scalarIT2_EEPKiS8_PKS5_SA_S6_PS5_21rocsparse_index_base_b, .Lfunc_end86-_ZN9rocsparseL19gebsrmvn_3xn_kernelILj128ELj4ELj16E21rocsparse_complex_numIfEEEvi20rocsparse_direction_NS_24const_host_device_scalarIT2_EEPKiS8_PKS5_SA_S6_PS5_21rocsparse_index_base_b
                                        ; -- End function
	.set _ZN9rocsparseL19gebsrmvn_3xn_kernelILj128ELj4ELj16E21rocsparse_complex_numIfEEEvi20rocsparse_direction_NS_24const_host_device_scalarIT2_EEPKiS8_PKS5_SA_S6_PS5_21rocsparse_index_base_b.num_vgpr, 50
	.set _ZN9rocsparseL19gebsrmvn_3xn_kernelILj128ELj4ELj16E21rocsparse_complex_numIfEEEvi20rocsparse_direction_NS_24const_host_device_scalarIT2_EEPKiS8_PKS5_SA_S6_PS5_21rocsparse_index_base_b.num_agpr, 0
	.set _ZN9rocsparseL19gebsrmvn_3xn_kernelILj128ELj4ELj16E21rocsparse_complex_numIfEEEvi20rocsparse_direction_NS_24const_host_device_scalarIT2_EEPKiS8_PKS5_SA_S6_PS5_21rocsparse_index_base_b.numbered_sgpr, 16
	.set _ZN9rocsparseL19gebsrmvn_3xn_kernelILj128ELj4ELj16E21rocsparse_complex_numIfEEEvi20rocsparse_direction_NS_24const_host_device_scalarIT2_EEPKiS8_PKS5_SA_S6_PS5_21rocsparse_index_base_b.num_named_barrier, 0
	.set _ZN9rocsparseL19gebsrmvn_3xn_kernelILj128ELj4ELj16E21rocsparse_complex_numIfEEEvi20rocsparse_direction_NS_24const_host_device_scalarIT2_EEPKiS8_PKS5_SA_S6_PS5_21rocsparse_index_base_b.private_seg_size, 0
	.set _ZN9rocsparseL19gebsrmvn_3xn_kernelILj128ELj4ELj16E21rocsparse_complex_numIfEEEvi20rocsparse_direction_NS_24const_host_device_scalarIT2_EEPKiS8_PKS5_SA_S6_PS5_21rocsparse_index_base_b.uses_vcc, 1
	.set _ZN9rocsparseL19gebsrmvn_3xn_kernelILj128ELj4ELj16E21rocsparse_complex_numIfEEEvi20rocsparse_direction_NS_24const_host_device_scalarIT2_EEPKiS8_PKS5_SA_S6_PS5_21rocsparse_index_base_b.uses_flat_scratch, 0
	.set _ZN9rocsparseL19gebsrmvn_3xn_kernelILj128ELj4ELj16E21rocsparse_complex_numIfEEEvi20rocsparse_direction_NS_24const_host_device_scalarIT2_EEPKiS8_PKS5_SA_S6_PS5_21rocsparse_index_base_b.has_dyn_sized_stack, 0
	.set _ZN9rocsparseL19gebsrmvn_3xn_kernelILj128ELj4ELj16E21rocsparse_complex_numIfEEEvi20rocsparse_direction_NS_24const_host_device_scalarIT2_EEPKiS8_PKS5_SA_S6_PS5_21rocsparse_index_base_b.has_recursion, 0
	.set _ZN9rocsparseL19gebsrmvn_3xn_kernelILj128ELj4ELj16E21rocsparse_complex_numIfEEEvi20rocsparse_direction_NS_24const_host_device_scalarIT2_EEPKiS8_PKS5_SA_S6_PS5_21rocsparse_index_base_b.has_indirect_call, 0
	.section	.AMDGPU.csdata,"",@progbits
; Kernel info:
; codeLenInByte = 2740
; TotalNumSgprs: 18
; NumVgprs: 50
; ScratchSize: 0
; MemoryBound: 0
; FloatMode: 240
; IeeeMode: 1
; LDSByteSize: 0 bytes/workgroup (compile time only)
; SGPRBlocks: 0
; VGPRBlocks: 6
; NumSGPRsForWavesPerEU: 18
; NumVGPRsForWavesPerEU: 50
; Occupancy: 16
; WaveLimiterHint : 1
; COMPUTE_PGM_RSRC2:SCRATCH_EN: 0
; COMPUTE_PGM_RSRC2:USER_SGPR: 6
; COMPUTE_PGM_RSRC2:TRAP_HANDLER: 0
; COMPUTE_PGM_RSRC2:TGID_X_EN: 1
; COMPUTE_PGM_RSRC2:TGID_Y_EN: 0
; COMPUTE_PGM_RSRC2:TGID_Z_EN: 0
; COMPUTE_PGM_RSRC2:TIDIG_COMP_CNT: 0
	.section	.text._ZN9rocsparseL19gebsrmvn_3xn_kernelILj128ELj4ELj32E21rocsparse_complex_numIfEEEvi20rocsparse_direction_NS_24const_host_device_scalarIT2_EEPKiS8_PKS5_SA_S6_PS5_21rocsparse_index_base_b,"axG",@progbits,_ZN9rocsparseL19gebsrmvn_3xn_kernelILj128ELj4ELj32E21rocsparse_complex_numIfEEEvi20rocsparse_direction_NS_24const_host_device_scalarIT2_EEPKiS8_PKS5_SA_S6_PS5_21rocsparse_index_base_b,comdat
	.globl	_ZN9rocsparseL19gebsrmvn_3xn_kernelILj128ELj4ELj32E21rocsparse_complex_numIfEEEvi20rocsparse_direction_NS_24const_host_device_scalarIT2_EEPKiS8_PKS5_SA_S6_PS5_21rocsparse_index_base_b ; -- Begin function _ZN9rocsparseL19gebsrmvn_3xn_kernelILj128ELj4ELj32E21rocsparse_complex_numIfEEEvi20rocsparse_direction_NS_24const_host_device_scalarIT2_EEPKiS8_PKS5_SA_S6_PS5_21rocsparse_index_base_b
	.p2align	8
	.type	_ZN9rocsparseL19gebsrmvn_3xn_kernelILj128ELj4ELj32E21rocsparse_complex_numIfEEEvi20rocsparse_direction_NS_24const_host_device_scalarIT2_EEPKiS8_PKS5_SA_S6_PS5_21rocsparse_index_base_b,@function
_ZN9rocsparseL19gebsrmvn_3xn_kernelILj128ELj4ELj32E21rocsparse_complex_numIfEEEvi20rocsparse_direction_NS_24const_host_device_scalarIT2_EEPKiS8_PKS5_SA_S6_PS5_21rocsparse_index_base_b: ; @_ZN9rocsparseL19gebsrmvn_3xn_kernelILj128ELj4ELj32E21rocsparse_complex_numIfEEEvi20rocsparse_direction_NS_24const_host_device_scalarIT2_EEPKiS8_PKS5_SA_S6_PS5_21rocsparse_index_base_b
; %bb.0:
	s_clause 0x2
	s_load_dwordx2 s[2:3], s[4:5], 0x40
	s_load_dwordx2 s[0:1], s[4:5], 0x8
	s_load_dwordx2 s[8:9], s[4:5], 0x30
	s_add_u32 s7, s4, 8
	s_addc_u32 s10, s5, 0
	s_add_u32 s11, s4, 48
	s_addc_u32 s12, s5, 0
	s_waitcnt lgkmcnt(0)
	s_bitcmp1_b32 s3, 0
	s_cselect_b32 s0, s7, s0
	s_cselect_b32 s1, s10, s1
	v_mov_b32_e32 v1, s0
	v_mov_b32_e32 v2, s1
	s_cselect_b32 s0, s11, s8
	s_cselect_b32 s1, s12, s9
	v_mov_b32_e32 v3, s0
	v_mov_b32_e32 v4, s1
	flat_load_dwordx2 v[1:2], v[1:2]
	flat_load_dwordx2 v[3:4], v[3:4]
	s_waitcnt vmcnt(1) lgkmcnt(1)
	v_cmp_eq_f32_e32 vcc_lo, 0, v1
	v_cmp_eq_f32_e64 s0, 0, v2
	s_and_b32 s3, vcc_lo, s0
	s_mov_b32 s0, -1
	s_and_saveexec_b32 s1, s3
	s_cbranch_execz .LBB87_2
; %bb.1:
	s_waitcnt vmcnt(0) lgkmcnt(0)
	v_cmp_neq_f32_e32 vcc_lo, 1.0, v3
	v_cmp_neq_f32_e64 s0, 0, v4
	s_or_b32 s0, vcc_lo, s0
	s_orn2_b32 s0, s0, exec_lo
.LBB87_2:
	s_or_b32 exec_lo, exec_lo, s1
	s_and_saveexec_b32 s1, s0
	s_cbranch_execz .LBB87_21
; %bb.3:
	s_load_dwordx2 s[0:1], s[4:5], 0x0
	v_lshrrev_b32_e32 v5, 5, v0
	v_lshl_or_b32 v5, s6, 2, v5
	s_waitcnt lgkmcnt(0)
	v_cmp_gt_i32_e32 vcc_lo, s0, v5
	s_and_b32 exec_lo, exec_lo, vcc_lo
	s_cbranch_execz .LBB87_21
; %bb.4:
	s_load_dwordx8 s[8:15], s[4:5], 0x10
	v_ashrrev_i32_e32 v6, 31, v5
	v_and_b32_e32 v0, 31, v0
	s_cmp_lg_u32 s1, 0
	v_lshlrev_b64 v[6:7], 2, v[5:6]
	s_waitcnt lgkmcnt(0)
	v_add_co_u32 v6, vcc_lo, s8, v6
	v_add_co_ci_u32_e64 v7, null, s9, v7, vcc_lo
	global_load_dwordx2 v[6:7], v[6:7], off
	s_waitcnt vmcnt(0)
	v_subrev_nc_u32_e32 v6, s2, v6
	v_subrev_nc_u32_e32 v16, s2, v7
	v_add_nc_u32_e32 v6, v6, v0
	v_cmp_lt_i32_e64 s0, v6, v16
	s_cbranch_scc0 .LBB87_10
; %bb.5:
	v_mov_b32_e32 v13, 0
	v_mov_b32_e32 v17, 0
	;; [unrolled: 1-line block ×6, first 2 shown]
	s_and_saveexec_b32 s3, s0
	s_cbranch_execz .LBB87_9
; %bb.6:
	v_mad_u64_u32 v[7:8], null, v6, 12, 11
	v_mov_b32_e32 v10, 0
	v_mov_b32_e32 v11, v6
	;; [unrolled: 1-line block ×8, first 2 shown]
	s_mov_b32 s6, 0
.LBB87_7:                               ; =>This Inner Loop Header: Depth=1
	v_ashrrev_i32_e32 v12, 31, v11
	v_mov_b32_e32 v29, v10
	v_lshlrev_b64 v[8:9], 2, v[11:12]
	v_add_nc_u32_e32 v11, 32, v11
	v_add_co_u32 v8, vcc_lo, s10, v8
	v_add_co_ci_u32_e64 v9, null, s11, v9, vcc_lo
	global_load_dword v12, v[8:9], off
	v_add_nc_u32_e32 v9, -11, v7
	v_mov_b32_e32 v8, v10
	v_lshlrev_b64 v[20:21], 3, v[9:10]
	v_add_nc_u32_e32 v9, -7, v7
	v_lshlrev_b64 v[22:23], 3, v[7:8]
	v_lshlrev_b64 v[24:25], 3, v[9:10]
	v_add_nc_u32_e32 v9, -6, v7
	v_add_co_u32 v26, vcc_lo, s12, v20
	v_add_co_ci_u32_e64 v27, null, s13, v21, vcc_lo
	v_lshlrev_b64 v[30:31], 3, v[9:10]
	v_add_co_u32 v36, vcc_lo, s12, v22
	v_add_nc_u32_e32 v9, -5, v7
	v_add_co_ci_u32_e64 v37, null, s13, v23, vcc_lo
	v_add_co_u32 v32, vcc_lo, s12, v24
	v_add_co_ci_u32_e64 v33, null, s13, v25, vcc_lo
	v_add_co_u32 v30, vcc_lo, s12, v30
	v_lshlrev_b64 v[34:35], 3, v[9:10]
	v_add_co_ci_u32_e64 v31, null, s13, v31, vcc_lo
	s_clause 0x2
	global_load_dwordx4 v[20:23], v[26:27], off offset:16
	global_load_dwordx4 v[24:27], v[26:27], off
	global_load_dwordx2 v[38:39], v[32:33], off
	v_add_nc_u32_e32 v9, -4, v7
	global_load_dwordx2 v[42:43], v[30:31], off
	v_add_co_u32 v32, vcc_lo, s12, v34
	v_add_co_ci_u32_e64 v33, null, s13, v35, vcc_lo
	v_lshlrev_b64 v[40:41], 3, v[9:10]
	v_add_nc_u32_e32 v9, -3, v7
	global_load_dwordx2 v[46:47], v[32:33], off
	v_lshlrev_b64 v[44:45], 3, v[9:10]
	v_add_nc_u32_e32 v9, -2, v7
	v_add_co_u32 v40, vcc_lo, s12, v40
	v_add_co_ci_u32_e64 v41, null, s13, v41, vcc_lo
	v_lshlrev_b64 v[48:49], 3, v[9:10]
	v_add_nc_u32_e32 v9, -1, v7
	v_add_co_u32 v44, vcc_lo, s12, v44
	v_add_co_ci_u32_e64 v45, null, s13, v45, vcc_lo
	v_add_co_u32 v48, vcc_lo, s12, v48
	v_add_co_ci_u32_e64 v49, null, s13, v49, vcc_lo
	v_add_nc_u32_e32 v7, 0x180, v7
	s_waitcnt vmcnt(5)
	v_subrev_nc_u32_e32 v8, s2, v12
	v_lshlrev_b32_e32 v28, 2, v8
	v_lshlrev_b64 v[8:9], 3, v[9:10]
	v_lshlrev_b64 v[28:29], 3, v[28:29]
	v_add_co_u32 v8, vcc_lo, s12, v8
	v_add_co_ci_u32_e64 v9, null, s13, v9, vcc_lo
	v_add_co_u32 v32, s1, s14, v28
	v_add_co_ci_u32_e64 v33, null, s15, v29, s1
	v_cmp_ge_i32_e32 vcc_lo, v11, v16
	s_clause 0x1
	global_load_dwordx4 v[28:31], v[32:33], off
	global_load_dwordx4 v[32:35], v[32:33], off offset:16
	s_clause 0x4
	global_load_dwordx2 v[40:41], v[40:41], off
	global_load_dwordx2 v[44:45], v[44:45], off
	;; [unrolled: 1-line block ×5, first 2 shown]
	s_or_b32 s6, vcc_lo, s6
	s_waitcnt vmcnt(6)
	v_fmac_f32_e32 v17, v24, v28
	v_fmac_f32_e32 v13, v25, v28
	v_fmac_f32_e32 v19, v26, v28
	v_fmac_f32_e32 v15, v27, v28
	v_fmac_f32_e32 v18, v20, v28
	v_fmac_f32_e32 v14, v21, v28
	v_fma_f32 v12, -v25, v29, v17
	v_fmac_f32_e32 v13, v24, v29
	v_fma_f32 v17, -v27, v29, v19
	v_fmac_f32_e32 v15, v26, v29
	;; [unrolled: 2-line block ×3, first 2 shown]
	v_fmac_f32_e32 v12, v22, v30
	v_fmac_f32_e32 v13, v23, v30
	;; [unrolled: 1-line block ×6, first 2 shown]
	v_fma_f32 v12, -v23, v31, v12
	v_fmac_f32_e32 v13, v22, v31
	v_fma_f32 v17, -v39, v31, v17
	v_fmac_f32_e32 v15, v38, v31
	;; [unrolled: 2-line block ×3, first 2 shown]
	s_waitcnt vmcnt(5)
	v_fmac_f32_e32 v12, v46, v32
	v_fmac_f32_e32 v13, v47, v32
	s_waitcnt vmcnt(4)
	v_fmac_f32_e32 v17, v40, v32
	v_fmac_f32_e32 v15, v41, v32
	;; [unrolled: 3-line block ×3, first 2 shown]
	v_fma_f32 v12, -v47, v33, v12
	v_fmac_f32_e32 v13, v46, v33
	v_fma_f32 v19, -v41, v33, v17
	v_fmac_f32_e32 v15, v40, v33
	;; [unrolled: 2-line block ×3, first 2 shown]
	s_waitcnt vmcnt(2)
	v_fmac_f32_e32 v12, v48, v34
	v_fmac_f32_e32 v13, v49, v34
	s_waitcnt vmcnt(1)
	v_fmac_f32_e32 v19, v8, v34
	v_fmac_f32_e32 v15, v9, v34
	;; [unrolled: 3-line block ×3, first 2 shown]
	v_fma_f32 v17, -v49, v35, v12
	v_fmac_f32_e32 v13, v48, v35
	v_fma_f32 v19, -v9, v35, v19
	v_fmac_f32_e32 v15, v8, v35
	v_fma_f32 v18, -v37, v35, v18
	v_fmac_f32_e32 v14, v36, v35
	s_andn2_b32 exec_lo, exec_lo, s6
	s_cbranch_execnz .LBB87_7
; %bb.8:
	s_or_b32 exec_lo, exec_lo, s6
.LBB87_9:
	s_or_b32 exec_lo, exec_lo, s3
	s_cbranch_execz .LBB87_11
	s_branch .LBB87_16
.LBB87_10:
                                        ; implicit-def: $vgpr13
                                        ; implicit-def: $vgpr17
                                        ; implicit-def: $vgpr18
                                        ; implicit-def: $vgpr14
                                        ; implicit-def: $vgpr19
                                        ; implicit-def: $vgpr15
.LBB87_11:
	v_mov_b32_e32 v13, 0
	v_mov_b32_e32 v17, 0
	;; [unrolled: 1-line block ×6, first 2 shown]
	s_and_saveexec_b32 s1, s0
	s_cbranch_execz .LBB87_15
; %bb.12:
	v_mad_u64_u32 v[8:9], null, v6, 12, 11
	v_mov_b32_e32 v11, 0
	v_mov_b32_e32 v13, 0
	;; [unrolled: 1-line block ×7, first 2 shown]
	s_mov_b32 s0, 0
.LBB87_13:                              ; =>This Inner Loop Header: Depth=1
	v_ashrrev_i32_e32 v7, 31, v6
	v_add_nc_u32_e32 v20, -7, v8
	v_mov_b32_e32 v21, v11
	v_add_nc_u32_e32 v22, -3, v8
	v_mov_b32_e32 v23, v11
	v_lshlrev_b64 v[9:10], 2, v[6:7]
	v_mov_b32_e32 v29, v11
	v_lshlrev_b64 v[20:21], 3, v[20:21]
	v_add_nc_u32_e32 v6, 32, v6
	v_lshlrev_b64 v[22:23], 3, v[22:23]
	v_add_co_u32 v9, vcc_lo, s10, v9
	v_add_co_ci_u32_e64 v10, null, s11, v10, vcc_lo
	global_load_dword v7, v[9:10], off
	v_add_nc_u32_e32 v10, -11, v8
	v_mov_b32_e32 v9, v11
	v_lshlrev_b64 v[24:25], 3, v[10:11]
	v_add_nc_u32_e32 v10, -6, v8
	v_lshlrev_b64 v[26:27], 3, v[8:9]
	v_lshlrev_b64 v[30:31], 3, v[10:11]
	v_add_nc_u32_e32 v10, -2, v8
	v_add_co_u32 v24, vcc_lo, s12, v24
	v_add_co_ci_u32_e64 v25, null, s13, v25, vcc_lo
	v_lshlrev_b64 v[38:39], 3, v[10:11]
	v_add_nc_u32_e32 v10, -5, v8
	v_add_co_u32 v32, vcc_lo, s12, v20
	v_add_co_ci_u32_e64 v33, null, s13, v21, vcc_lo
	;; [unrolled: 4-line block ×3, first 2 shown]
	v_add_co_u32 v36, vcc_lo, s12, v26
	v_lshlrev_b64 v[48:49], 3, v[10:11]
	v_add_co_ci_u32_e64 v37, null, s13, v27, vcc_lo
	v_add_co_u32 v30, vcc_lo, s12, v30
	v_add_co_ci_u32_e64 v31, null, s13, v31, vcc_lo
	v_add_co_u32 v38, vcc_lo, s12, v38
	v_add_co_ci_u32_e64 v39, null, s13, v39, vcc_lo
	s_clause 0x4
	global_load_dwordx4 v[20:23], v[24:25], off offset:16
	global_load_dwordx4 v[24:27], v[24:25], off
	global_load_dwordx2 v[40:41], v[32:33], off
	global_load_dwordx2 v[42:43], v[34:35], off
	;; [unrolled: 1-line block ×3, first 2 shown]
	s_waitcnt vmcnt(5)
	v_subrev_nc_u32_e32 v7, s2, v7
	v_lshlrev_b32_e32 v28, 2, v7
	v_lshlrev_b64 v[9:10], 3, v[28:29]
	v_add_co_u32 v9, vcc_lo, s14, v9
	v_add_co_ci_u32_e64 v10, null, s15, v10, vcc_lo
	v_add_co_u32 v44, vcc_lo, s12, v44
	v_add_co_ci_u32_e64 v45, null, s13, v45, vcc_lo
	s_clause 0x1
	global_load_dwordx4 v[28:31], v[9:10], off
	global_load_dwordx4 v[32:35], v[9:10], off offset:16
	global_load_dwordx2 v[38:39], v[38:39], off
	v_add_nc_u32_e32 v10, -4, v8
	v_add_co_u32 v48, vcc_lo, s12, v48
	v_add_co_ci_u32_e64 v49, null, s13, v49, vcc_lo
	v_lshlrev_b64 v[9:10], 3, v[10:11]
	s_clause 0x1
	global_load_dwordx2 v[44:45], v[44:45], off
	global_load_dwordx2 v[48:49], v[48:49], off
	v_add_nc_u32_e32 v8, 0x180, v8
	v_add_co_u32 v9, vcc_lo, s12, v9
	v_add_co_ci_u32_e64 v10, null, s13, v10, vcc_lo
	s_clause 0x1
	global_load_dwordx2 v[9:10], v[9:10], off
	global_load_dwordx2 v[36:37], v[36:37], off
	v_cmp_ge_i32_e32 vcc_lo, v6, v16
	s_or_b32 s0, vcc_lo, s0
	s_waitcnt vmcnt(6)
	v_fmac_f32_e32 v17, v24, v28
	v_fmac_f32_e32 v13, v25, v28
	v_fmac_f32_e32 v19, v40, v28
	v_fmac_f32_e32 v15, v41, v28
	v_fmac_f32_e32 v18, v42, v28
	v_fmac_f32_e32 v14, v43, v28
	v_fma_f32 v7, -v25, v29, v17
	v_fmac_f32_e32 v13, v24, v29
	v_fma_f32 v12, -v41, v29, v19
	v_fmac_f32_e32 v15, v40, v29
	v_fma_f32 v17, -v43, v29, v18
	v_fmac_f32_e32 v14, v42, v29
	v_fmac_f32_e32 v7, v26, v30
	v_fmac_f32_e32 v13, v27, v30
	;; [unrolled: 1-line block ×4, first 2 shown]
	s_waitcnt vmcnt(4)
	v_fmac_f32_e32 v17, v38, v30
	v_fmac_f32_e32 v14, v39, v30
	v_fma_f32 v7, -v27, v31, v7
	v_fmac_f32_e32 v13, v26, v31
	v_fma_f32 v12, -v47, v31, v12
	v_fmac_f32_e32 v15, v46, v31
	v_fma_f32 v17, -v39, v31, v17
	v_fmac_f32_e32 v14, v38, v31
	v_fmac_f32_e32 v7, v20, v32
	;; [unrolled: 1-line block ×3, first 2 shown]
	s_waitcnt vmcnt(3)
	v_fmac_f32_e32 v12, v44, v32
	v_fmac_f32_e32 v15, v45, v32
	s_waitcnt vmcnt(2)
	v_fmac_f32_e32 v17, v48, v32
	v_fmac_f32_e32 v14, v49, v32
	v_fma_f32 v7, -v21, v33, v7
	v_fmac_f32_e32 v13, v20, v33
	v_fma_f32 v12, -v45, v33, v12
	;; [unrolled: 2-line block ×3, first 2 shown]
	v_fmac_f32_e32 v14, v48, v33
	v_fmac_f32_e32 v7, v22, v34
	;; [unrolled: 1-line block ×3, first 2 shown]
	s_waitcnt vmcnt(1)
	v_fmac_f32_e32 v12, v9, v34
	v_fmac_f32_e32 v15, v10, v34
	s_waitcnt vmcnt(0)
	v_fmac_f32_e32 v18, v36, v34
	v_fmac_f32_e32 v14, v37, v34
	v_fma_f32 v17, -v23, v35, v7
	v_fmac_f32_e32 v13, v22, v35
	v_fma_f32 v19, -v10, v35, v12
	;; [unrolled: 2-line block ×3, first 2 shown]
	v_fmac_f32_e32 v14, v36, v35
	s_andn2_b32 exec_lo, exec_lo, s0
	s_cbranch_execnz .LBB87_13
; %bb.14:
	s_or_b32 exec_lo, exec_lo, s0
.LBB87_15:
	s_or_b32 exec_lo, exec_lo, s1
.LBB87_16:
	v_mbcnt_lo_u32_b32 v6, -1, 0
	v_xor_b32_e32 v7, 16, v6
	v_xor_b32_e32 v16, 8, v6
	v_cmp_gt_i32_e32 vcc_lo, 32, v7
	v_cndmask_b32_e32 v7, v6, v7, vcc_lo
	v_cmp_gt_i32_e32 vcc_lo, 32, v16
	v_lshlrev_b32_e32 v7, 2, v7
	v_cndmask_b32_e32 v16, v6, v16, vcc_lo
	ds_bpermute_b32 v8, v7, v17
	ds_bpermute_b32 v9, v7, v13
	;; [unrolled: 1-line block ×6, first 2 shown]
	v_lshlrev_b32_e32 v16, 2, v16
	s_waitcnt lgkmcnt(5)
	v_add_f32_e32 v8, v17, v8
	s_waitcnt lgkmcnt(4)
	v_add_f32_e32 v9, v13, v9
	;; [unrolled: 2-line block ×6, first 2 shown]
	ds_bpermute_b32 v13, v16, v8
	ds_bpermute_b32 v14, v16, v9
	;; [unrolled: 1-line block ×6, first 2 shown]
	v_xor_b32_e32 v19, 4, v6
	v_cmp_gt_i32_e32 vcc_lo, 32, v19
	v_cndmask_b32_e32 v19, v6, v19, vcc_lo
	s_waitcnt lgkmcnt(5)
	v_add_f32_e32 v8, v8, v13
	v_lshlrev_b32_e32 v19, 2, v19
	s_waitcnt lgkmcnt(4)
	v_add_f32_e32 v9, v9, v14
	s_waitcnt lgkmcnt(3)
	v_add_f32_e32 v10, v10, v15
	;; [unrolled: 2-line block ×5, first 2 shown]
	ds_bpermute_b32 v13, v19, v8
	ds_bpermute_b32 v14, v19, v9
	;; [unrolled: 1-line block ×6, first 2 shown]
	v_xor_b32_e32 v19, 2, v6
	v_cmp_gt_i32_e32 vcc_lo, 32, v19
	v_cndmask_b32_e32 v19, v6, v19, vcc_lo
	s_waitcnt lgkmcnt(5)
	v_add_f32_e32 v8, v8, v13
	v_lshlrev_b32_e32 v19, 2, v19
	s_waitcnt lgkmcnt(4)
	v_add_f32_e32 v9, v9, v14
	s_waitcnt lgkmcnt(3)
	v_add_f32_e32 v10, v10, v15
	;; [unrolled: 2-line block ×5, first 2 shown]
	ds_bpermute_b32 v7, v19, v8
	ds_bpermute_b32 v11, v19, v9
	;; [unrolled: 1-line block ×6, first 2 shown]
	v_xor_b32_e32 v19, 1, v6
	v_cmp_gt_i32_e32 vcc_lo, 32, v19
	v_cndmask_b32_e32 v6, v6, v19, vcc_lo
	v_cmp_eq_u32_e32 vcc_lo, 31, v0
	v_lshlrev_b32_e32 v19, 2, v6
	s_waitcnt lgkmcnt(5)
	v_add_f32_e32 v6, v8, v7
	s_waitcnt lgkmcnt(4)
	v_add_f32_e32 v9, v9, v11
	;; [unrolled: 2-line block ×6, first 2 shown]
	ds_bpermute_b32 v10, v19, v6
	ds_bpermute_b32 v15, v19, v9
	;; [unrolled: 1-line block ×6, first 2 shown]
	s_and_b32 exec_lo, exec_lo, vcc_lo
	s_cbranch_execz .LBB87_21
; %bb.17:
	s_load_dwordx2 s[2:3], s[4:5], 0x38
	v_cmp_eq_f32_e32 vcc_lo, 0, v3
	v_cmp_eq_f32_e64 s0, 0, v4
	s_waitcnt lgkmcnt(0)
	v_add_f32_e32 v0, v6, v10
	v_add_f32_e32 v10, v9, v15
	;; [unrolled: 1-line block ×6, first 2 shown]
	s_and_b32 s0, vcc_lo, s0
	s_and_saveexec_b32 s1, s0
	s_xor_b32 s0, exec_lo, s1
	s_cbranch_execz .LBB87_19
; %bb.18:
	v_lshl_add_u32 v3, v5, 1, v5
	v_mul_f32_e64 v11, v10, -v2
	v_mul_f32_e32 v12, v1, v10
	v_mul_f32_e64 v13, v9, -v2
	v_mul_f32_e32 v14, v1, v9
	v_ashrrev_i32_e32 v4, 31, v3
	v_mul_f32_e64 v9, v8, -v2
	v_mul_f32_e32 v10, v1, v8
	v_fmac_f32_e32 v11, v1, v0
	v_fmac_f32_e32 v12, v2, v0
	v_lshlrev_b64 v[3:4], 3, v[3:4]
	v_fmac_f32_e32 v13, v1, v6
	v_fmac_f32_e32 v14, v2, v6
	;; [unrolled: 1-line block ×4, first 2 shown]
                                        ; implicit-def: $vgpr5
                                        ; implicit-def: $vgpr0
                                        ; implicit-def: $vgpr6
                                        ; implicit-def: $vgpr7
                                        ; implicit-def: $vgpr8
                                        ; implicit-def: $vgpr1_vgpr2
	v_add_co_u32 v3, vcc_lo, s2, v3
	v_add_co_ci_u32_e64 v4, null, s3, v4, vcc_lo
	global_store_dwordx4 v[3:4], v[11:14], off
	global_store_dwordx2 v[3:4], v[9:10], off offset:16
                                        ; implicit-def: $vgpr10
                                        ; implicit-def: $vgpr9
                                        ; implicit-def: $vgpr3_vgpr4
.LBB87_19:
	s_andn2_saveexec_b32 s0, s0
	s_cbranch_execz .LBB87_21
; %bb.20:
	v_lshl_add_u32 v11, v5, 1, v5
	v_mul_f32_e64 v15, v10, -v2
	v_mul_f32_e32 v16, v1, v10
	v_mul_f32_e64 v10, v9, -v2
	v_mul_f32_e32 v18, v1, v9
	v_ashrrev_i32_e32 v12, 31, v11
	v_mul_f32_e64 v9, v8, -v2
	v_mul_f32_e32 v5, v1, v8
	v_fmac_f32_e32 v15, v1, v0
	v_fmac_f32_e32 v16, v2, v0
	v_lshlrev_b64 v[11:12], 3, v[11:12]
	v_fmac_f32_e32 v10, v1, v6
	v_fmac_f32_e32 v18, v2, v6
	;; [unrolled: 1-line block ×4, first 2 shown]
	v_add_co_u32 v19, vcc_lo, s2, v11
	v_add_co_ci_u32_e64 v20, null, s3, v12, vcc_lo
	s_clause 0x1
	global_load_dwordx4 v[11:14], v[19:20], off
	global_load_dwordx2 v[21:22], v[19:20], off offset:16
	s_waitcnt vmcnt(1)
	v_fmac_f32_e32 v15, v3, v11
	v_fmac_f32_e32 v16, v4, v11
	v_fmac_f32_e32 v10, v3, v13
	v_fmac_f32_e32 v18, v4, v13
	s_waitcnt vmcnt(0)
	v_fmac_f32_e32 v9, v3, v21
	v_fmac_f32_e32 v5, v4, v21
	v_fma_f32 v15, -v4, v12, v15
	v_fmac_f32_e32 v16, v3, v12
	v_fma_f32 v17, -v4, v14, v10
	;; [unrolled: 2-line block ×3, first 2 shown]
	v_fmac_f32_e32 v5, v3, v22
	global_store_dwordx4 v[19:20], v[15:18], off
	global_store_dwordx2 v[19:20], v[4:5], off offset:16
.LBB87_21:
	s_endpgm
	.section	.rodata,"a",@progbits
	.p2align	6, 0x0
	.amdhsa_kernel _ZN9rocsparseL19gebsrmvn_3xn_kernelILj128ELj4ELj32E21rocsparse_complex_numIfEEEvi20rocsparse_direction_NS_24const_host_device_scalarIT2_EEPKiS8_PKS5_SA_S6_PS5_21rocsparse_index_base_b
		.amdhsa_group_segment_fixed_size 0
		.amdhsa_private_segment_fixed_size 0
		.amdhsa_kernarg_size 72
		.amdhsa_user_sgpr_count 6
		.amdhsa_user_sgpr_private_segment_buffer 1
		.amdhsa_user_sgpr_dispatch_ptr 0
		.amdhsa_user_sgpr_queue_ptr 0
		.amdhsa_user_sgpr_kernarg_segment_ptr 1
		.amdhsa_user_sgpr_dispatch_id 0
		.amdhsa_user_sgpr_flat_scratch_init 0
		.amdhsa_user_sgpr_private_segment_size 0
		.amdhsa_wavefront_size32 1
		.amdhsa_uses_dynamic_stack 0
		.amdhsa_system_sgpr_private_segment_wavefront_offset 0
		.amdhsa_system_sgpr_workgroup_id_x 1
		.amdhsa_system_sgpr_workgroup_id_y 0
		.amdhsa_system_sgpr_workgroup_id_z 0
		.amdhsa_system_sgpr_workgroup_info 0
		.amdhsa_system_vgpr_workitem_id 0
		.amdhsa_next_free_vgpr 50
		.amdhsa_next_free_sgpr 16
		.amdhsa_reserve_vcc 1
		.amdhsa_reserve_flat_scratch 0
		.amdhsa_float_round_mode_32 0
		.amdhsa_float_round_mode_16_64 0
		.amdhsa_float_denorm_mode_32 3
		.amdhsa_float_denorm_mode_16_64 3
		.amdhsa_dx10_clamp 1
		.amdhsa_ieee_mode 1
		.amdhsa_fp16_overflow 0
		.amdhsa_workgroup_processor_mode 1
		.amdhsa_memory_ordered 1
		.amdhsa_forward_progress 1
		.amdhsa_shared_vgpr_count 0
		.amdhsa_exception_fp_ieee_invalid_op 0
		.amdhsa_exception_fp_denorm_src 0
		.amdhsa_exception_fp_ieee_div_zero 0
		.amdhsa_exception_fp_ieee_overflow 0
		.amdhsa_exception_fp_ieee_underflow 0
		.amdhsa_exception_fp_ieee_inexact 0
		.amdhsa_exception_int_div_zero 0
	.end_amdhsa_kernel
	.section	.text._ZN9rocsparseL19gebsrmvn_3xn_kernelILj128ELj4ELj32E21rocsparse_complex_numIfEEEvi20rocsparse_direction_NS_24const_host_device_scalarIT2_EEPKiS8_PKS5_SA_S6_PS5_21rocsparse_index_base_b,"axG",@progbits,_ZN9rocsparseL19gebsrmvn_3xn_kernelILj128ELj4ELj32E21rocsparse_complex_numIfEEEvi20rocsparse_direction_NS_24const_host_device_scalarIT2_EEPKiS8_PKS5_SA_S6_PS5_21rocsparse_index_base_b,comdat
.Lfunc_end87:
	.size	_ZN9rocsparseL19gebsrmvn_3xn_kernelILj128ELj4ELj32E21rocsparse_complex_numIfEEEvi20rocsparse_direction_NS_24const_host_device_scalarIT2_EEPKiS8_PKS5_SA_S6_PS5_21rocsparse_index_base_b, .Lfunc_end87-_ZN9rocsparseL19gebsrmvn_3xn_kernelILj128ELj4ELj32E21rocsparse_complex_numIfEEEvi20rocsparse_direction_NS_24const_host_device_scalarIT2_EEPKiS8_PKS5_SA_S6_PS5_21rocsparse_index_base_b
                                        ; -- End function
	.set _ZN9rocsparseL19gebsrmvn_3xn_kernelILj128ELj4ELj32E21rocsparse_complex_numIfEEEvi20rocsparse_direction_NS_24const_host_device_scalarIT2_EEPKiS8_PKS5_SA_S6_PS5_21rocsparse_index_base_b.num_vgpr, 50
	.set _ZN9rocsparseL19gebsrmvn_3xn_kernelILj128ELj4ELj32E21rocsparse_complex_numIfEEEvi20rocsparse_direction_NS_24const_host_device_scalarIT2_EEPKiS8_PKS5_SA_S6_PS5_21rocsparse_index_base_b.num_agpr, 0
	.set _ZN9rocsparseL19gebsrmvn_3xn_kernelILj128ELj4ELj32E21rocsparse_complex_numIfEEEvi20rocsparse_direction_NS_24const_host_device_scalarIT2_EEPKiS8_PKS5_SA_S6_PS5_21rocsparse_index_base_b.numbered_sgpr, 16
	.set _ZN9rocsparseL19gebsrmvn_3xn_kernelILj128ELj4ELj32E21rocsparse_complex_numIfEEEvi20rocsparse_direction_NS_24const_host_device_scalarIT2_EEPKiS8_PKS5_SA_S6_PS5_21rocsparse_index_base_b.num_named_barrier, 0
	.set _ZN9rocsparseL19gebsrmvn_3xn_kernelILj128ELj4ELj32E21rocsparse_complex_numIfEEEvi20rocsparse_direction_NS_24const_host_device_scalarIT2_EEPKiS8_PKS5_SA_S6_PS5_21rocsparse_index_base_b.private_seg_size, 0
	.set _ZN9rocsparseL19gebsrmvn_3xn_kernelILj128ELj4ELj32E21rocsparse_complex_numIfEEEvi20rocsparse_direction_NS_24const_host_device_scalarIT2_EEPKiS8_PKS5_SA_S6_PS5_21rocsparse_index_base_b.uses_vcc, 1
	.set _ZN9rocsparseL19gebsrmvn_3xn_kernelILj128ELj4ELj32E21rocsparse_complex_numIfEEEvi20rocsparse_direction_NS_24const_host_device_scalarIT2_EEPKiS8_PKS5_SA_S6_PS5_21rocsparse_index_base_b.uses_flat_scratch, 0
	.set _ZN9rocsparseL19gebsrmvn_3xn_kernelILj128ELj4ELj32E21rocsparse_complex_numIfEEEvi20rocsparse_direction_NS_24const_host_device_scalarIT2_EEPKiS8_PKS5_SA_S6_PS5_21rocsparse_index_base_b.has_dyn_sized_stack, 0
	.set _ZN9rocsparseL19gebsrmvn_3xn_kernelILj128ELj4ELj32E21rocsparse_complex_numIfEEEvi20rocsparse_direction_NS_24const_host_device_scalarIT2_EEPKiS8_PKS5_SA_S6_PS5_21rocsparse_index_base_b.has_recursion, 0
	.set _ZN9rocsparseL19gebsrmvn_3xn_kernelILj128ELj4ELj32E21rocsparse_complex_numIfEEEvi20rocsparse_direction_NS_24const_host_device_scalarIT2_EEPKiS8_PKS5_SA_S6_PS5_21rocsparse_index_base_b.has_indirect_call, 0
	.section	.AMDGPU.csdata,"",@progbits
; Kernel info:
; codeLenInByte = 2852
; TotalNumSgprs: 18
; NumVgprs: 50
; ScratchSize: 0
; MemoryBound: 0
; FloatMode: 240
; IeeeMode: 1
; LDSByteSize: 0 bytes/workgroup (compile time only)
; SGPRBlocks: 0
; VGPRBlocks: 6
; NumSGPRsForWavesPerEU: 18
; NumVGPRsForWavesPerEU: 50
; Occupancy: 16
; WaveLimiterHint : 1
; COMPUTE_PGM_RSRC2:SCRATCH_EN: 0
; COMPUTE_PGM_RSRC2:USER_SGPR: 6
; COMPUTE_PGM_RSRC2:TRAP_HANDLER: 0
; COMPUTE_PGM_RSRC2:TGID_X_EN: 1
; COMPUTE_PGM_RSRC2:TGID_Y_EN: 0
; COMPUTE_PGM_RSRC2:TGID_Z_EN: 0
; COMPUTE_PGM_RSRC2:TIDIG_COMP_CNT: 0
	.section	.text._ZN9rocsparseL19gebsrmvn_3xn_kernelILj128ELj4ELj64E21rocsparse_complex_numIfEEEvi20rocsparse_direction_NS_24const_host_device_scalarIT2_EEPKiS8_PKS5_SA_S6_PS5_21rocsparse_index_base_b,"axG",@progbits,_ZN9rocsparseL19gebsrmvn_3xn_kernelILj128ELj4ELj64E21rocsparse_complex_numIfEEEvi20rocsparse_direction_NS_24const_host_device_scalarIT2_EEPKiS8_PKS5_SA_S6_PS5_21rocsparse_index_base_b,comdat
	.globl	_ZN9rocsparseL19gebsrmvn_3xn_kernelILj128ELj4ELj64E21rocsparse_complex_numIfEEEvi20rocsparse_direction_NS_24const_host_device_scalarIT2_EEPKiS8_PKS5_SA_S6_PS5_21rocsparse_index_base_b ; -- Begin function _ZN9rocsparseL19gebsrmvn_3xn_kernelILj128ELj4ELj64E21rocsparse_complex_numIfEEEvi20rocsparse_direction_NS_24const_host_device_scalarIT2_EEPKiS8_PKS5_SA_S6_PS5_21rocsparse_index_base_b
	.p2align	8
	.type	_ZN9rocsparseL19gebsrmvn_3xn_kernelILj128ELj4ELj64E21rocsparse_complex_numIfEEEvi20rocsparse_direction_NS_24const_host_device_scalarIT2_EEPKiS8_PKS5_SA_S6_PS5_21rocsparse_index_base_b,@function
_ZN9rocsparseL19gebsrmvn_3xn_kernelILj128ELj4ELj64E21rocsparse_complex_numIfEEEvi20rocsparse_direction_NS_24const_host_device_scalarIT2_EEPKiS8_PKS5_SA_S6_PS5_21rocsparse_index_base_b: ; @_ZN9rocsparseL19gebsrmvn_3xn_kernelILj128ELj4ELj64E21rocsparse_complex_numIfEEEvi20rocsparse_direction_NS_24const_host_device_scalarIT2_EEPKiS8_PKS5_SA_S6_PS5_21rocsparse_index_base_b
; %bb.0:
	s_clause 0x2
	s_load_dwordx2 s[2:3], s[4:5], 0x40
	s_load_dwordx2 s[0:1], s[4:5], 0x8
	;; [unrolled: 1-line block ×3, first 2 shown]
	s_add_u32 s7, s4, 8
	s_addc_u32 s10, s5, 0
	s_add_u32 s11, s4, 48
	s_addc_u32 s12, s5, 0
	s_waitcnt lgkmcnt(0)
	s_bitcmp1_b32 s3, 0
	s_cselect_b32 s0, s7, s0
	s_cselect_b32 s1, s10, s1
	v_mov_b32_e32 v1, s0
	v_mov_b32_e32 v2, s1
	s_cselect_b32 s0, s11, s8
	s_cselect_b32 s1, s12, s9
	v_mov_b32_e32 v3, s0
	v_mov_b32_e32 v4, s1
	flat_load_dwordx2 v[1:2], v[1:2]
	flat_load_dwordx2 v[3:4], v[3:4]
	s_waitcnt vmcnt(1) lgkmcnt(1)
	v_cmp_eq_f32_e32 vcc_lo, 0, v1
	v_cmp_eq_f32_e64 s0, 0, v2
	s_and_b32 s3, vcc_lo, s0
	s_mov_b32 s0, -1
	s_and_saveexec_b32 s1, s3
	s_cbranch_execz .LBB88_2
; %bb.1:
	s_waitcnt vmcnt(0) lgkmcnt(0)
	v_cmp_neq_f32_e32 vcc_lo, 1.0, v3
	v_cmp_neq_f32_e64 s0, 0, v4
	s_or_b32 s0, vcc_lo, s0
	s_orn2_b32 s0, s0, exec_lo
.LBB88_2:
	s_or_b32 exec_lo, exec_lo, s1
	s_and_saveexec_b32 s1, s0
	s_cbranch_execz .LBB88_21
; %bb.3:
	s_load_dwordx2 s[0:1], s[4:5], 0x0
	v_lshrrev_b32_e32 v5, 6, v0
	v_lshl_or_b32 v5, s6, 1, v5
	s_waitcnt lgkmcnt(0)
	v_cmp_gt_i32_e32 vcc_lo, s0, v5
	s_and_b32 exec_lo, exec_lo, vcc_lo
	s_cbranch_execz .LBB88_21
; %bb.4:
	s_load_dwordx8 s[8:15], s[4:5], 0x10
	v_ashrrev_i32_e32 v6, 31, v5
	v_and_b32_e32 v0, 63, v0
	s_cmp_lg_u32 s1, 0
	v_lshlrev_b64 v[6:7], 2, v[5:6]
	s_waitcnt lgkmcnt(0)
	v_add_co_u32 v6, vcc_lo, s8, v6
	v_add_co_ci_u32_e64 v7, null, s9, v7, vcc_lo
	global_load_dwordx2 v[6:7], v[6:7], off
	s_waitcnt vmcnt(0)
	v_subrev_nc_u32_e32 v6, s2, v6
	v_subrev_nc_u32_e32 v18, s2, v7
	v_add_nc_u32_e32 v6, v6, v0
	v_cmp_lt_i32_e64 s0, v6, v18
	s_cbranch_scc0 .LBB88_10
; %bb.5:
	v_mov_b32_e32 v13, 0
	v_mov_b32_e32 v16, 0
	;; [unrolled: 1-line block ×6, first 2 shown]
	s_and_saveexec_b32 s3, s0
	s_cbranch_execz .LBB88_9
; %bb.6:
	v_mad_u64_u32 v[7:8], null, v6, 12, 11
	v_mov_b32_e32 v10, 0
	v_mov_b32_e32 v11, v6
	;; [unrolled: 1-line block ×8, first 2 shown]
	s_mov_b32 s6, 0
.LBB88_7:                               ; =>This Inner Loop Header: Depth=1
	v_ashrrev_i32_e32 v12, 31, v11
	v_mov_b32_e32 v29, v10
	v_lshlrev_b64 v[8:9], 2, v[11:12]
	v_add_nc_u32_e32 v11, 64, v11
	v_add_co_u32 v8, vcc_lo, s10, v8
	v_add_co_ci_u32_e64 v9, null, s11, v9, vcc_lo
	global_load_dword v12, v[8:9], off
	v_add_nc_u32_e32 v9, -11, v7
	v_mov_b32_e32 v8, v10
	v_lshlrev_b64 v[20:21], 3, v[9:10]
	v_add_nc_u32_e32 v9, -7, v7
	v_lshlrev_b64 v[22:23], 3, v[7:8]
	v_lshlrev_b64 v[24:25], 3, v[9:10]
	v_add_nc_u32_e32 v9, -6, v7
	v_add_co_u32 v26, vcc_lo, s12, v20
	v_add_co_ci_u32_e64 v27, null, s13, v21, vcc_lo
	v_lshlrev_b64 v[30:31], 3, v[9:10]
	v_add_co_u32 v36, vcc_lo, s12, v22
	v_add_nc_u32_e32 v9, -5, v7
	v_add_co_ci_u32_e64 v37, null, s13, v23, vcc_lo
	v_add_co_u32 v32, vcc_lo, s12, v24
	v_add_co_ci_u32_e64 v33, null, s13, v25, vcc_lo
	v_add_co_u32 v30, vcc_lo, s12, v30
	v_lshlrev_b64 v[34:35], 3, v[9:10]
	v_add_co_ci_u32_e64 v31, null, s13, v31, vcc_lo
	s_clause 0x2
	global_load_dwordx4 v[20:23], v[26:27], off offset:16
	global_load_dwordx4 v[24:27], v[26:27], off
	global_load_dwordx2 v[38:39], v[32:33], off
	v_add_nc_u32_e32 v9, -4, v7
	global_load_dwordx2 v[42:43], v[30:31], off
	v_add_co_u32 v32, vcc_lo, s12, v34
	v_add_co_ci_u32_e64 v33, null, s13, v35, vcc_lo
	v_lshlrev_b64 v[40:41], 3, v[9:10]
	v_add_nc_u32_e32 v9, -3, v7
	global_load_dwordx2 v[46:47], v[32:33], off
	v_lshlrev_b64 v[44:45], 3, v[9:10]
	v_add_nc_u32_e32 v9, -2, v7
	v_add_co_u32 v40, vcc_lo, s12, v40
	v_add_co_ci_u32_e64 v41, null, s13, v41, vcc_lo
	v_lshlrev_b64 v[48:49], 3, v[9:10]
	v_add_nc_u32_e32 v9, -1, v7
	v_add_co_u32 v44, vcc_lo, s12, v44
	v_add_co_ci_u32_e64 v45, null, s13, v45, vcc_lo
	v_add_co_u32 v48, vcc_lo, s12, v48
	v_add_co_ci_u32_e64 v49, null, s13, v49, vcc_lo
	v_add_nc_u32_e32 v7, 0x300, v7
	s_waitcnt vmcnt(5)
	v_subrev_nc_u32_e32 v8, s2, v12
	v_lshlrev_b32_e32 v28, 2, v8
	v_lshlrev_b64 v[8:9], 3, v[9:10]
	v_lshlrev_b64 v[28:29], 3, v[28:29]
	v_add_co_u32 v8, vcc_lo, s12, v8
	v_add_co_ci_u32_e64 v9, null, s13, v9, vcc_lo
	v_add_co_u32 v32, s1, s14, v28
	v_add_co_ci_u32_e64 v33, null, s15, v29, s1
	v_cmp_ge_i32_e32 vcc_lo, v11, v18
	s_clause 0x1
	global_load_dwordx4 v[28:31], v[32:33], off
	global_load_dwordx4 v[32:35], v[32:33], off offset:16
	s_clause 0x4
	global_load_dwordx2 v[40:41], v[40:41], off
	global_load_dwordx2 v[44:45], v[44:45], off
	global_load_dwordx2 v[48:49], v[48:49], off
	global_load_dwordx2 v[8:9], v[8:9], off
	global_load_dwordx2 v[36:37], v[36:37], off
	s_or_b32 s6, vcc_lo, s6
	s_waitcnt vmcnt(6)
	v_fmac_f32_e32 v16, v24, v28
	v_fmac_f32_e32 v13, v25, v28
	;; [unrolled: 1-line block ×6, first 2 shown]
	v_fma_f32 v12, -v25, v29, v16
	v_fmac_f32_e32 v13, v24, v29
	v_fma_f32 v16, -v27, v29, v19
	v_fmac_f32_e32 v15, v26, v29
	;; [unrolled: 2-line block ×3, first 2 shown]
	v_fmac_f32_e32 v12, v22, v30
	v_fmac_f32_e32 v13, v23, v30
	;; [unrolled: 1-line block ×6, first 2 shown]
	v_fma_f32 v12, -v23, v31, v12
	v_fmac_f32_e32 v13, v22, v31
	v_fma_f32 v16, -v39, v31, v16
	v_fmac_f32_e32 v15, v38, v31
	;; [unrolled: 2-line block ×3, first 2 shown]
	s_waitcnt vmcnt(5)
	v_fmac_f32_e32 v12, v46, v32
	v_fmac_f32_e32 v13, v47, v32
	s_waitcnt vmcnt(4)
	v_fmac_f32_e32 v16, v40, v32
	v_fmac_f32_e32 v15, v41, v32
	;; [unrolled: 3-line block ×3, first 2 shown]
	v_fma_f32 v12, -v47, v33, v12
	v_fmac_f32_e32 v13, v46, v33
	v_fma_f32 v19, -v41, v33, v16
	v_fmac_f32_e32 v15, v40, v33
	;; [unrolled: 2-line block ×3, first 2 shown]
	s_waitcnt vmcnt(2)
	v_fmac_f32_e32 v12, v48, v34
	v_fmac_f32_e32 v13, v49, v34
	s_waitcnt vmcnt(1)
	v_fmac_f32_e32 v19, v8, v34
	v_fmac_f32_e32 v15, v9, v34
	s_waitcnt vmcnt(0)
	v_fmac_f32_e32 v17, v36, v34
	v_fmac_f32_e32 v14, v37, v34
	v_fma_f32 v16, -v49, v35, v12
	v_fmac_f32_e32 v13, v48, v35
	v_fma_f32 v19, -v9, v35, v19
	v_fmac_f32_e32 v15, v8, v35
	;; [unrolled: 2-line block ×3, first 2 shown]
	s_andn2_b32 exec_lo, exec_lo, s6
	s_cbranch_execnz .LBB88_7
; %bb.8:
	s_or_b32 exec_lo, exec_lo, s6
.LBB88_9:
	s_or_b32 exec_lo, exec_lo, s3
	s_cbranch_execz .LBB88_11
	s_branch .LBB88_16
.LBB88_10:
                                        ; implicit-def: $vgpr13
                                        ; implicit-def: $vgpr16
                                        ; implicit-def: $vgpr17
                                        ; implicit-def: $vgpr14
                                        ; implicit-def: $vgpr19
                                        ; implicit-def: $vgpr15
.LBB88_11:
	v_mov_b32_e32 v13, 0
	v_mov_b32_e32 v16, 0
	;; [unrolled: 1-line block ×6, first 2 shown]
	s_and_saveexec_b32 s1, s0
	s_cbranch_execz .LBB88_15
; %bb.12:
	v_mad_u64_u32 v[8:9], null, v6, 12, 11
	v_mov_b32_e32 v11, 0
	v_mov_b32_e32 v13, 0
	;; [unrolled: 1-line block ×7, first 2 shown]
	s_mov_b32 s0, 0
.LBB88_13:                              ; =>This Inner Loop Header: Depth=1
	v_ashrrev_i32_e32 v7, 31, v6
	v_add_nc_u32_e32 v20, -7, v8
	v_mov_b32_e32 v21, v11
	v_add_nc_u32_e32 v22, -3, v8
	v_mov_b32_e32 v23, v11
	v_lshlrev_b64 v[9:10], 2, v[6:7]
	v_mov_b32_e32 v29, v11
	v_lshlrev_b64 v[20:21], 3, v[20:21]
	v_add_nc_u32_e32 v6, 64, v6
	v_lshlrev_b64 v[22:23], 3, v[22:23]
	v_add_co_u32 v9, vcc_lo, s10, v9
	v_add_co_ci_u32_e64 v10, null, s11, v10, vcc_lo
	global_load_dword v7, v[9:10], off
	v_add_nc_u32_e32 v10, -11, v8
	v_mov_b32_e32 v9, v11
	v_lshlrev_b64 v[24:25], 3, v[10:11]
	v_add_nc_u32_e32 v10, -6, v8
	v_lshlrev_b64 v[26:27], 3, v[8:9]
	v_lshlrev_b64 v[30:31], 3, v[10:11]
	v_add_nc_u32_e32 v10, -2, v8
	v_add_co_u32 v24, vcc_lo, s12, v24
	v_add_co_ci_u32_e64 v25, null, s13, v25, vcc_lo
	v_lshlrev_b64 v[38:39], 3, v[10:11]
	v_add_nc_u32_e32 v10, -5, v8
	v_add_co_u32 v32, vcc_lo, s12, v20
	v_add_co_ci_u32_e64 v33, null, s13, v21, vcc_lo
	;; [unrolled: 4-line block ×3, first 2 shown]
	v_add_co_u32 v36, vcc_lo, s12, v26
	v_lshlrev_b64 v[48:49], 3, v[10:11]
	v_add_co_ci_u32_e64 v37, null, s13, v27, vcc_lo
	v_add_co_u32 v30, vcc_lo, s12, v30
	v_add_co_ci_u32_e64 v31, null, s13, v31, vcc_lo
	v_add_co_u32 v38, vcc_lo, s12, v38
	v_add_co_ci_u32_e64 v39, null, s13, v39, vcc_lo
	s_clause 0x4
	global_load_dwordx4 v[20:23], v[24:25], off offset:16
	global_load_dwordx4 v[24:27], v[24:25], off
	global_load_dwordx2 v[40:41], v[32:33], off
	global_load_dwordx2 v[42:43], v[34:35], off
	;; [unrolled: 1-line block ×3, first 2 shown]
	s_waitcnt vmcnt(5)
	v_subrev_nc_u32_e32 v7, s2, v7
	v_lshlrev_b32_e32 v28, 2, v7
	v_lshlrev_b64 v[9:10], 3, v[28:29]
	v_add_co_u32 v9, vcc_lo, s14, v9
	v_add_co_ci_u32_e64 v10, null, s15, v10, vcc_lo
	v_add_co_u32 v44, vcc_lo, s12, v44
	v_add_co_ci_u32_e64 v45, null, s13, v45, vcc_lo
	s_clause 0x1
	global_load_dwordx4 v[28:31], v[9:10], off
	global_load_dwordx4 v[32:35], v[9:10], off offset:16
	global_load_dwordx2 v[38:39], v[38:39], off
	v_add_nc_u32_e32 v10, -4, v8
	v_add_co_u32 v48, vcc_lo, s12, v48
	v_add_co_ci_u32_e64 v49, null, s13, v49, vcc_lo
	v_lshlrev_b64 v[9:10], 3, v[10:11]
	s_clause 0x1
	global_load_dwordx2 v[44:45], v[44:45], off
	global_load_dwordx2 v[48:49], v[48:49], off
	v_add_nc_u32_e32 v8, 0x300, v8
	v_add_co_u32 v9, vcc_lo, s12, v9
	v_add_co_ci_u32_e64 v10, null, s13, v10, vcc_lo
	s_clause 0x1
	global_load_dwordx2 v[9:10], v[9:10], off
	global_load_dwordx2 v[36:37], v[36:37], off
	v_cmp_ge_i32_e32 vcc_lo, v6, v18
	s_or_b32 s0, vcc_lo, s0
	s_waitcnt vmcnt(6)
	v_fmac_f32_e32 v16, v24, v28
	v_fmac_f32_e32 v13, v25, v28
	;; [unrolled: 1-line block ×6, first 2 shown]
	v_fma_f32 v7, -v25, v29, v16
	v_fmac_f32_e32 v13, v24, v29
	v_fma_f32 v12, -v41, v29, v19
	v_fmac_f32_e32 v15, v40, v29
	;; [unrolled: 2-line block ×3, first 2 shown]
	v_fmac_f32_e32 v7, v26, v30
	v_fmac_f32_e32 v13, v27, v30
	;; [unrolled: 1-line block ×4, first 2 shown]
	s_waitcnt vmcnt(4)
	v_fmac_f32_e32 v16, v38, v30
	v_fmac_f32_e32 v14, v39, v30
	v_fma_f32 v7, -v27, v31, v7
	v_fmac_f32_e32 v13, v26, v31
	v_fma_f32 v12, -v47, v31, v12
	;; [unrolled: 2-line block ×3, first 2 shown]
	v_fmac_f32_e32 v14, v38, v31
	v_fmac_f32_e32 v7, v20, v32
	;; [unrolled: 1-line block ×3, first 2 shown]
	s_waitcnt vmcnt(3)
	v_fmac_f32_e32 v12, v44, v32
	v_fmac_f32_e32 v15, v45, v32
	s_waitcnt vmcnt(2)
	v_fmac_f32_e32 v16, v48, v32
	v_fmac_f32_e32 v14, v49, v32
	v_fma_f32 v7, -v21, v33, v7
	v_fmac_f32_e32 v13, v20, v33
	v_fma_f32 v12, -v45, v33, v12
	;; [unrolled: 2-line block ×3, first 2 shown]
	v_fmac_f32_e32 v14, v48, v33
	v_fmac_f32_e32 v7, v22, v34
	;; [unrolled: 1-line block ×3, first 2 shown]
	s_waitcnt vmcnt(1)
	v_fmac_f32_e32 v12, v9, v34
	v_fmac_f32_e32 v15, v10, v34
	s_waitcnt vmcnt(0)
	v_fmac_f32_e32 v17, v36, v34
	v_fmac_f32_e32 v14, v37, v34
	v_fma_f32 v16, -v23, v35, v7
	v_fmac_f32_e32 v13, v22, v35
	v_fma_f32 v19, -v10, v35, v12
	;; [unrolled: 2-line block ×3, first 2 shown]
	v_fmac_f32_e32 v14, v36, v35
	s_andn2_b32 exec_lo, exec_lo, s0
	s_cbranch_execnz .LBB88_13
; %bb.14:
	s_or_b32 exec_lo, exec_lo, s0
.LBB88_15:
	s_or_b32 exec_lo, exec_lo, s1
.LBB88_16:
	v_mbcnt_lo_u32_b32 v6, -1, 0
	v_or_b32_e32 v7, 32, v6
	v_xor_b32_e32 v18, 16, v6
	v_cmp_gt_i32_e32 vcc_lo, 32, v7
	v_cndmask_b32_e32 v7, v6, v7, vcc_lo
	v_cmp_gt_i32_e32 vcc_lo, 32, v18
	v_lshlrev_b32_e32 v7, 2, v7
	v_cndmask_b32_e32 v18, v6, v18, vcc_lo
	ds_bpermute_b32 v8, v7, v16
	ds_bpermute_b32 v9, v7, v13
	;; [unrolled: 1-line block ×6, first 2 shown]
	v_lshlrev_b32_e32 v18, 2, v18
	s_waitcnt lgkmcnt(5)
	v_add_f32_e32 v8, v16, v8
	s_waitcnt lgkmcnt(4)
	v_add_f32_e32 v9, v13, v9
	;; [unrolled: 2-line block ×6, first 2 shown]
	ds_bpermute_b32 v13, v18, v8
	ds_bpermute_b32 v14, v18, v9
	ds_bpermute_b32 v15, v18, v10
	ds_bpermute_b32 v16, v18, v11
	ds_bpermute_b32 v17, v18, v12
	ds_bpermute_b32 v18, v18, v7
	v_xor_b32_e32 v19, 8, v6
	v_cmp_gt_i32_e32 vcc_lo, 32, v19
	v_cndmask_b32_e32 v19, v6, v19, vcc_lo
	s_waitcnt lgkmcnt(5)
	v_add_f32_e32 v8, v8, v13
	v_lshlrev_b32_e32 v19, 2, v19
	s_waitcnt lgkmcnt(4)
	v_add_f32_e32 v9, v9, v14
	s_waitcnt lgkmcnt(3)
	v_add_f32_e32 v10, v10, v15
	s_waitcnt lgkmcnt(2)
	v_add_f32_e32 v11, v11, v16
	s_waitcnt lgkmcnt(1)
	v_add_f32_e32 v12, v12, v17
	s_waitcnt lgkmcnt(0)
	v_add_f32_e32 v7, v7, v18
	ds_bpermute_b32 v13, v19, v8
	ds_bpermute_b32 v14, v19, v9
	ds_bpermute_b32 v15, v19, v10
	ds_bpermute_b32 v16, v19, v11
	ds_bpermute_b32 v17, v19, v12
	ds_bpermute_b32 v18, v19, v7
	v_xor_b32_e32 v19, 4, v6
	v_cmp_gt_i32_e32 vcc_lo, 32, v19
	v_cndmask_b32_e32 v19, v6, v19, vcc_lo
	s_waitcnt lgkmcnt(5)
	v_add_f32_e32 v8, v8, v13
	v_lshlrev_b32_e32 v19, 2, v19
	s_waitcnt lgkmcnt(4)
	v_add_f32_e32 v9, v9, v14
	s_waitcnt lgkmcnt(3)
	v_add_f32_e32 v10, v10, v15
	s_waitcnt lgkmcnt(2)
	v_add_f32_e32 v11, v11, v16
	s_waitcnt lgkmcnt(1)
	v_add_f32_e32 v12, v12, v17
	s_waitcnt lgkmcnt(0)
	v_add_f32_e32 v7, v7, v18
	;; [unrolled: 22-line block ×3, first 2 shown]
	ds_bpermute_b32 v7, v19, v8
	ds_bpermute_b32 v11, v19, v9
	;; [unrolled: 1-line block ×6, first 2 shown]
	v_xor_b32_e32 v19, 1, v6
	v_cmp_gt_i32_e32 vcc_lo, 32, v19
	v_cndmask_b32_e32 v6, v6, v19, vcc_lo
	v_cmp_eq_u32_e32 vcc_lo, 63, v0
	v_lshlrev_b32_e32 v19, 2, v6
	s_waitcnt lgkmcnt(5)
	v_add_f32_e32 v6, v8, v7
	s_waitcnt lgkmcnt(4)
	v_add_f32_e32 v9, v9, v11
	;; [unrolled: 2-line block ×6, first 2 shown]
	ds_bpermute_b32 v10, v19, v6
	ds_bpermute_b32 v15, v19, v9
	;; [unrolled: 1-line block ×6, first 2 shown]
	s_and_b32 exec_lo, exec_lo, vcc_lo
	s_cbranch_execz .LBB88_21
; %bb.17:
	s_load_dwordx2 s[2:3], s[4:5], 0x38
	v_cmp_eq_f32_e32 vcc_lo, 0, v3
	v_cmp_eq_f32_e64 s0, 0, v4
	s_waitcnt lgkmcnt(0)
	v_add_f32_e32 v0, v6, v10
	v_add_f32_e32 v10, v9, v15
	v_add_f32_e32 v6, v11, v16
	v_add_f32_e32 v9, v12, v17
	v_add_f32_e32 v7, v7, v13
	v_add_f32_e32 v8, v8, v14
	s_and_b32 s0, vcc_lo, s0
	s_and_saveexec_b32 s1, s0
	s_xor_b32 s0, exec_lo, s1
	s_cbranch_execz .LBB88_19
; %bb.18:
	v_lshl_add_u32 v3, v5, 1, v5
	v_mul_f32_e64 v11, v10, -v2
	v_mul_f32_e32 v12, v1, v10
	v_mul_f32_e64 v13, v9, -v2
	v_mul_f32_e32 v14, v1, v9
	v_ashrrev_i32_e32 v4, 31, v3
	v_mul_f32_e64 v9, v8, -v2
	v_mul_f32_e32 v10, v1, v8
	v_fmac_f32_e32 v11, v1, v0
	v_fmac_f32_e32 v12, v2, v0
	v_lshlrev_b64 v[3:4], 3, v[3:4]
	v_fmac_f32_e32 v13, v1, v6
	v_fmac_f32_e32 v14, v2, v6
	v_fmac_f32_e32 v9, v1, v7
	v_fmac_f32_e32 v10, v2, v7
                                        ; implicit-def: $vgpr5
                                        ; implicit-def: $vgpr0
                                        ; implicit-def: $vgpr6
                                        ; implicit-def: $vgpr7
                                        ; implicit-def: $vgpr8
                                        ; implicit-def: $vgpr1_vgpr2
	v_add_co_u32 v3, vcc_lo, s2, v3
	v_add_co_ci_u32_e64 v4, null, s3, v4, vcc_lo
	global_store_dwordx4 v[3:4], v[11:14], off
	global_store_dwordx2 v[3:4], v[9:10], off offset:16
                                        ; implicit-def: $vgpr10
                                        ; implicit-def: $vgpr9
                                        ; implicit-def: $vgpr3_vgpr4
.LBB88_19:
	s_andn2_saveexec_b32 s0, s0
	s_cbranch_execz .LBB88_21
; %bb.20:
	v_lshl_add_u32 v11, v5, 1, v5
	v_mul_f32_e64 v15, v10, -v2
	v_mul_f32_e32 v16, v1, v10
	v_mul_f32_e64 v10, v9, -v2
	v_mul_f32_e32 v18, v1, v9
	v_ashrrev_i32_e32 v12, 31, v11
	v_mul_f32_e64 v9, v8, -v2
	v_mul_f32_e32 v5, v1, v8
	v_fmac_f32_e32 v15, v1, v0
	v_fmac_f32_e32 v16, v2, v0
	v_lshlrev_b64 v[11:12], 3, v[11:12]
	v_fmac_f32_e32 v10, v1, v6
	v_fmac_f32_e32 v18, v2, v6
	;; [unrolled: 1-line block ×4, first 2 shown]
	v_add_co_u32 v19, vcc_lo, s2, v11
	v_add_co_ci_u32_e64 v20, null, s3, v12, vcc_lo
	s_clause 0x1
	global_load_dwordx4 v[11:14], v[19:20], off
	global_load_dwordx2 v[21:22], v[19:20], off offset:16
	s_waitcnt vmcnt(1)
	v_fmac_f32_e32 v15, v3, v11
	v_fmac_f32_e32 v16, v4, v11
	v_fmac_f32_e32 v10, v3, v13
	v_fmac_f32_e32 v18, v4, v13
	s_waitcnt vmcnt(0)
	v_fmac_f32_e32 v9, v3, v21
	v_fmac_f32_e32 v5, v4, v21
	v_fma_f32 v15, -v4, v12, v15
	v_fmac_f32_e32 v16, v3, v12
	v_fma_f32 v17, -v4, v14, v10
	;; [unrolled: 2-line block ×3, first 2 shown]
	v_fmac_f32_e32 v5, v3, v22
	global_store_dwordx4 v[19:20], v[15:18], off
	global_store_dwordx2 v[19:20], v[4:5], off offset:16
.LBB88_21:
	s_endpgm
	.section	.rodata,"a",@progbits
	.p2align	6, 0x0
	.amdhsa_kernel _ZN9rocsparseL19gebsrmvn_3xn_kernelILj128ELj4ELj64E21rocsparse_complex_numIfEEEvi20rocsparse_direction_NS_24const_host_device_scalarIT2_EEPKiS8_PKS5_SA_S6_PS5_21rocsparse_index_base_b
		.amdhsa_group_segment_fixed_size 0
		.amdhsa_private_segment_fixed_size 0
		.amdhsa_kernarg_size 72
		.amdhsa_user_sgpr_count 6
		.amdhsa_user_sgpr_private_segment_buffer 1
		.amdhsa_user_sgpr_dispatch_ptr 0
		.amdhsa_user_sgpr_queue_ptr 0
		.amdhsa_user_sgpr_kernarg_segment_ptr 1
		.amdhsa_user_sgpr_dispatch_id 0
		.amdhsa_user_sgpr_flat_scratch_init 0
		.amdhsa_user_sgpr_private_segment_size 0
		.amdhsa_wavefront_size32 1
		.amdhsa_uses_dynamic_stack 0
		.amdhsa_system_sgpr_private_segment_wavefront_offset 0
		.amdhsa_system_sgpr_workgroup_id_x 1
		.amdhsa_system_sgpr_workgroup_id_y 0
		.amdhsa_system_sgpr_workgroup_id_z 0
		.amdhsa_system_sgpr_workgroup_info 0
		.amdhsa_system_vgpr_workitem_id 0
		.amdhsa_next_free_vgpr 50
		.amdhsa_next_free_sgpr 16
		.amdhsa_reserve_vcc 1
		.amdhsa_reserve_flat_scratch 0
		.amdhsa_float_round_mode_32 0
		.amdhsa_float_round_mode_16_64 0
		.amdhsa_float_denorm_mode_32 3
		.amdhsa_float_denorm_mode_16_64 3
		.amdhsa_dx10_clamp 1
		.amdhsa_ieee_mode 1
		.amdhsa_fp16_overflow 0
		.amdhsa_workgroup_processor_mode 1
		.amdhsa_memory_ordered 1
		.amdhsa_forward_progress 1
		.amdhsa_shared_vgpr_count 0
		.amdhsa_exception_fp_ieee_invalid_op 0
		.amdhsa_exception_fp_denorm_src 0
		.amdhsa_exception_fp_ieee_div_zero 0
		.amdhsa_exception_fp_ieee_overflow 0
		.amdhsa_exception_fp_ieee_underflow 0
		.amdhsa_exception_fp_ieee_inexact 0
		.amdhsa_exception_int_div_zero 0
	.end_amdhsa_kernel
	.section	.text._ZN9rocsparseL19gebsrmvn_3xn_kernelILj128ELj4ELj64E21rocsparse_complex_numIfEEEvi20rocsparse_direction_NS_24const_host_device_scalarIT2_EEPKiS8_PKS5_SA_S6_PS5_21rocsparse_index_base_b,"axG",@progbits,_ZN9rocsparseL19gebsrmvn_3xn_kernelILj128ELj4ELj64E21rocsparse_complex_numIfEEEvi20rocsparse_direction_NS_24const_host_device_scalarIT2_EEPKiS8_PKS5_SA_S6_PS5_21rocsparse_index_base_b,comdat
.Lfunc_end88:
	.size	_ZN9rocsparseL19gebsrmvn_3xn_kernelILj128ELj4ELj64E21rocsparse_complex_numIfEEEvi20rocsparse_direction_NS_24const_host_device_scalarIT2_EEPKiS8_PKS5_SA_S6_PS5_21rocsparse_index_base_b, .Lfunc_end88-_ZN9rocsparseL19gebsrmvn_3xn_kernelILj128ELj4ELj64E21rocsparse_complex_numIfEEEvi20rocsparse_direction_NS_24const_host_device_scalarIT2_EEPKiS8_PKS5_SA_S6_PS5_21rocsparse_index_base_b
                                        ; -- End function
	.set _ZN9rocsparseL19gebsrmvn_3xn_kernelILj128ELj4ELj64E21rocsparse_complex_numIfEEEvi20rocsparse_direction_NS_24const_host_device_scalarIT2_EEPKiS8_PKS5_SA_S6_PS5_21rocsparse_index_base_b.num_vgpr, 50
	.set _ZN9rocsparseL19gebsrmvn_3xn_kernelILj128ELj4ELj64E21rocsparse_complex_numIfEEEvi20rocsparse_direction_NS_24const_host_device_scalarIT2_EEPKiS8_PKS5_SA_S6_PS5_21rocsparse_index_base_b.num_agpr, 0
	.set _ZN9rocsparseL19gebsrmvn_3xn_kernelILj128ELj4ELj64E21rocsparse_complex_numIfEEEvi20rocsparse_direction_NS_24const_host_device_scalarIT2_EEPKiS8_PKS5_SA_S6_PS5_21rocsparse_index_base_b.numbered_sgpr, 16
	.set _ZN9rocsparseL19gebsrmvn_3xn_kernelILj128ELj4ELj64E21rocsparse_complex_numIfEEEvi20rocsparse_direction_NS_24const_host_device_scalarIT2_EEPKiS8_PKS5_SA_S6_PS5_21rocsparse_index_base_b.num_named_barrier, 0
	.set _ZN9rocsparseL19gebsrmvn_3xn_kernelILj128ELj4ELj64E21rocsparse_complex_numIfEEEvi20rocsparse_direction_NS_24const_host_device_scalarIT2_EEPKiS8_PKS5_SA_S6_PS5_21rocsparse_index_base_b.private_seg_size, 0
	.set _ZN9rocsparseL19gebsrmvn_3xn_kernelILj128ELj4ELj64E21rocsparse_complex_numIfEEEvi20rocsparse_direction_NS_24const_host_device_scalarIT2_EEPKiS8_PKS5_SA_S6_PS5_21rocsparse_index_base_b.uses_vcc, 1
	.set _ZN9rocsparseL19gebsrmvn_3xn_kernelILj128ELj4ELj64E21rocsparse_complex_numIfEEEvi20rocsparse_direction_NS_24const_host_device_scalarIT2_EEPKiS8_PKS5_SA_S6_PS5_21rocsparse_index_base_b.uses_flat_scratch, 0
	.set _ZN9rocsparseL19gebsrmvn_3xn_kernelILj128ELj4ELj64E21rocsparse_complex_numIfEEEvi20rocsparse_direction_NS_24const_host_device_scalarIT2_EEPKiS8_PKS5_SA_S6_PS5_21rocsparse_index_base_b.has_dyn_sized_stack, 0
	.set _ZN9rocsparseL19gebsrmvn_3xn_kernelILj128ELj4ELj64E21rocsparse_complex_numIfEEEvi20rocsparse_direction_NS_24const_host_device_scalarIT2_EEPKiS8_PKS5_SA_S6_PS5_21rocsparse_index_base_b.has_recursion, 0
	.set _ZN9rocsparseL19gebsrmvn_3xn_kernelILj128ELj4ELj64E21rocsparse_complex_numIfEEEvi20rocsparse_direction_NS_24const_host_device_scalarIT2_EEPKiS8_PKS5_SA_S6_PS5_21rocsparse_index_base_b.has_indirect_call, 0
	.section	.AMDGPU.csdata,"",@progbits
; Kernel info:
; codeLenInByte = 2964
; TotalNumSgprs: 18
; NumVgprs: 50
; ScratchSize: 0
; MemoryBound: 0
; FloatMode: 240
; IeeeMode: 1
; LDSByteSize: 0 bytes/workgroup (compile time only)
; SGPRBlocks: 0
; VGPRBlocks: 6
; NumSGPRsForWavesPerEU: 18
; NumVGPRsForWavesPerEU: 50
; Occupancy: 16
; WaveLimiterHint : 1
; COMPUTE_PGM_RSRC2:SCRATCH_EN: 0
; COMPUTE_PGM_RSRC2:USER_SGPR: 6
; COMPUTE_PGM_RSRC2:TRAP_HANDLER: 0
; COMPUTE_PGM_RSRC2:TGID_X_EN: 1
; COMPUTE_PGM_RSRC2:TGID_Y_EN: 0
; COMPUTE_PGM_RSRC2:TGID_Z_EN: 0
; COMPUTE_PGM_RSRC2:TIDIG_COMP_CNT: 0
	.section	.text._ZN9rocsparseL19gebsrmvn_3xn_kernelILj128ELj5ELj4E21rocsparse_complex_numIfEEEvi20rocsparse_direction_NS_24const_host_device_scalarIT2_EEPKiS8_PKS5_SA_S6_PS5_21rocsparse_index_base_b,"axG",@progbits,_ZN9rocsparseL19gebsrmvn_3xn_kernelILj128ELj5ELj4E21rocsparse_complex_numIfEEEvi20rocsparse_direction_NS_24const_host_device_scalarIT2_EEPKiS8_PKS5_SA_S6_PS5_21rocsparse_index_base_b,comdat
	.globl	_ZN9rocsparseL19gebsrmvn_3xn_kernelILj128ELj5ELj4E21rocsparse_complex_numIfEEEvi20rocsparse_direction_NS_24const_host_device_scalarIT2_EEPKiS8_PKS5_SA_S6_PS5_21rocsparse_index_base_b ; -- Begin function _ZN9rocsparseL19gebsrmvn_3xn_kernelILj128ELj5ELj4E21rocsparse_complex_numIfEEEvi20rocsparse_direction_NS_24const_host_device_scalarIT2_EEPKiS8_PKS5_SA_S6_PS5_21rocsparse_index_base_b
	.p2align	8
	.type	_ZN9rocsparseL19gebsrmvn_3xn_kernelILj128ELj5ELj4E21rocsparse_complex_numIfEEEvi20rocsparse_direction_NS_24const_host_device_scalarIT2_EEPKiS8_PKS5_SA_S6_PS5_21rocsparse_index_base_b,@function
_ZN9rocsparseL19gebsrmvn_3xn_kernelILj128ELj5ELj4E21rocsparse_complex_numIfEEEvi20rocsparse_direction_NS_24const_host_device_scalarIT2_EEPKiS8_PKS5_SA_S6_PS5_21rocsparse_index_base_b: ; @_ZN9rocsparseL19gebsrmvn_3xn_kernelILj128ELj5ELj4E21rocsparse_complex_numIfEEEvi20rocsparse_direction_NS_24const_host_device_scalarIT2_EEPKiS8_PKS5_SA_S6_PS5_21rocsparse_index_base_b
; %bb.0:
	s_clause 0x2
	s_load_dwordx2 s[2:3], s[4:5], 0x40
	s_load_dwordx2 s[0:1], s[4:5], 0x8
	;; [unrolled: 1-line block ×3, first 2 shown]
	s_add_u32 s7, s4, 8
	s_addc_u32 s10, s5, 0
	s_add_u32 s11, s4, 48
	s_addc_u32 s12, s5, 0
	s_waitcnt lgkmcnt(0)
	s_bitcmp1_b32 s3, 0
	s_cselect_b32 s0, s7, s0
	s_cselect_b32 s1, s10, s1
	v_mov_b32_e32 v1, s0
	v_mov_b32_e32 v2, s1
	s_cselect_b32 s0, s11, s8
	s_cselect_b32 s1, s12, s9
	v_mov_b32_e32 v3, s0
	v_mov_b32_e32 v4, s1
	flat_load_dwordx2 v[1:2], v[1:2]
	flat_load_dwordx2 v[3:4], v[3:4]
	s_waitcnt vmcnt(1) lgkmcnt(1)
	v_cmp_eq_f32_e32 vcc_lo, 0, v1
	v_cmp_eq_f32_e64 s0, 0, v2
	s_and_b32 s3, vcc_lo, s0
	s_mov_b32 s0, -1
	s_and_saveexec_b32 s1, s3
	s_cbranch_execz .LBB89_2
; %bb.1:
	s_waitcnt vmcnt(0) lgkmcnt(0)
	v_cmp_neq_f32_e32 vcc_lo, 1.0, v3
	v_cmp_neq_f32_e64 s0, 0, v4
	s_or_b32 s0, vcc_lo, s0
	s_orn2_b32 s0, s0, exec_lo
.LBB89_2:
	s_or_b32 exec_lo, exec_lo, s1
	s_and_saveexec_b32 s1, s0
	s_cbranch_execz .LBB89_21
; %bb.3:
	s_load_dwordx2 s[0:1], s[4:5], 0x0
	v_lshrrev_b32_e32 v5, 2, v0
	v_lshl_or_b32 v5, s6, 5, v5
	s_waitcnt lgkmcnt(0)
	v_cmp_gt_i32_e32 vcc_lo, s0, v5
	s_and_b32 exec_lo, exec_lo, vcc_lo
	s_cbranch_execz .LBB89_21
; %bb.4:
	s_load_dwordx8 s[8:15], s[4:5], 0x10
	v_ashrrev_i32_e32 v6, 31, v5
	v_and_b32_e32 v0, 3, v0
	s_cmp_lg_u32 s1, 0
	v_lshlrev_b64 v[6:7], 2, v[5:6]
	s_waitcnt lgkmcnt(0)
	v_add_co_u32 v6, vcc_lo, s8, v6
	v_add_co_ci_u32_e64 v7, null, s9, v7, vcc_lo
	global_load_dwordx2 v[6:7], v[6:7], off
	s_waitcnt vmcnt(0)
	v_subrev_nc_u32_e32 v6, s2, v6
	v_subrev_nc_u32_e32 v16, s2, v7
	v_add_nc_u32_e32 v6, v6, v0
	v_cmp_lt_i32_e64 s0, v6, v16
	s_cbranch_scc0 .LBB89_10
; %bb.5:
	v_mov_b32_e32 v13, 0
	v_mov_b32_e32 v17, 0
	;; [unrolled: 1-line block ×6, first 2 shown]
	s_and_saveexec_b32 s1, s0
	s_cbranch_execz .LBB89_9
; %bb.6:
	v_mad_u64_u32 v[7:8], null, v6, 15, 14
	v_mov_b32_e32 v10, 0
	v_mov_b32_e32 v11, v6
	;; [unrolled: 1-line block ×8, first 2 shown]
	s_mov_b32 s3, 0
.LBB89_7:                               ; =>This Inner Loop Header: Depth=1
	v_ashrrev_i32_e32 v12, 31, v11
	v_mov_b32_e32 v21, v10
	v_lshlrev_b64 v[8:9], 2, v[11:12]
	v_add_nc_u32_e32 v11, 4, v11
	v_add_co_u32 v8, vcc_lo, s10, v8
	v_add_co_ci_u32_e64 v9, null, s11, v9, vcc_lo
	global_load_dword v12, v[8:9], off
	v_add_nc_u32_e32 v9, -14, v7
	v_mov_b32_e32 v8, v10
	v_lshlrev_b64 v[22:23], 3, v[9:10]
	v_add_nc_u32_e32 v9, -13, v7
	v_lshlrev_b64 v[24:25], 3, v[7:8]
	v_lshlrev_b64 v[26:27], 3, v[9:10]
	v_add_nc_u32_e32 v9, -12, v7
	v_add_co_u32 v22, vcc_lo, s12, v22
	v_add_co_ci_u32_e64 v23, null, s13, v23, vcc_lo
	v_lshlrev_b64 v[28:29], 3, v[9:10]
	v_add_nc_u32_e32 v9, -11, v7
	v_add_co_u32 v24, vcc_lo, s12, v24
	v_add_co_ci_u32_e64 v25, null, s13, v25, vcc_lo
	v_lshlrev_b64 v[8:9], 3, v[9:10]
	v_add_co_u32 v26, vcc_lo, s12, v26
	v_add_co_ci_u32_e64 v27, null, s13, v27, vcc_lo
	v_add_co_u32 v28, vcc_lo, s12, v28
	v_add_co_ci_u32_e64 v29, null, s13, v29, vcc_lo
	;; [unrolled: 2-line block ×3, first 2 shown]
	s_clause 0x3
	global_load_dwordx2 v[22:23], v[22:23], off
	global_load_dwordx2 v[26:27], v[26:27], off
	;; [unrolled: 1-line block ×4, first 2 shown]
	s_waitcnt vmcnt(4)
	v_subrev_nc_u32_e32 v8, s2, v12
	v_lshl_add_u32 v20, v8, 2, v8
	v_add_nc_u32_e32 v9, 1, v20
	v_lshlrev_b64 v[32:33], 3, v[20:21]
	v_lshlrev_b64 v[34:35], 3, v[9:10]
	v_add_nc_u32_e32 v9, -10, v7
	v_add_co_u32 v32, vcc_lo, s14, v32
	v_add_co_ci_u32_e64 v33, null, s15, v33, vcc_lo
	v_lshlrev_b64 v[36:37], 3, v[9:10]
	v_add_nc_u32_e32 v9, -9, v7
	v_add_co_u32 v34, vcc_lo, s14, v34
	v_add_co_ci_u32_e64 v35, null, s15, v35, vcc_lo
	v_lshlrev_b64 v[38:39], 3, v[9:10]
	v_add_nc_u32_e32 v9, -8, v7
	v_add_co_u32 v36, vcc_lo, s12, v36
	s_clause 0x1
	global_load_dwordx2 v[32:33], v[32:33], off
	global_load_dwordx2 v[34:35], v[34:35], off
	v_lshlrev_b64 v[40:41], 3, v[9:10]
	v_add_nc_u32_e32 v9, 2, v20
	v_add_co_ci_u32_e64 v37, null, s13, v37, vcc_lo
	v_add_co_u32 v38, vcc_lo, s12, v38
	v_lshlrev_b64 v[42:43], 3, v[9:10]
	v_add_nc_u32_e32 v9, -7, v7
	v_add_co_ci_u32_e64 v39, null, s13, v39, vcc_lo
	v_add_co_u32 v40, vcc_lo, s12, v40
	v_lshlrev_b64 v[44:45], 3, v[9:10]
	v_add_nc_u32_e32 v9, -6, v7
	;; [unrolled: 4-line block ×3, first 2 shown]
	v_add_co_ci_u32_e64 v43, null, s15, v43, vcc_lo
	v_add_co_u32 v44, vcc_lo, s12, v44
	v_lshlrev_b64 v[48:49], 3, v[9:10]
	v_add_nc_u32_e32 v9, 3, v20
	v_add_co_ci_u32_e64 v45, null, s13, v45, vcc_lo
	v_add_co_u32 v46, vcc_lo, s12, v46
	v_lshlrev_b64 v[50:51], 3, v[9:10]
	v_add_nc_u32_e32 v9, -4, v7
	s_clause 0x2
	global_load_dwordx2 v[36:37], v[36:37], off
	global_load_dwordx2 v[38:39], v[38:39], off
	;; [unrolled: 1-line block ×3, first 2 shown]
	v_add_co_ci_u32_e64 v47, null, s13, v47, vcc_lo
	v_lshlrev_b64 v[52:53], 3, v[9:10]
	v_add_nc_u32_e32 v9, -3, v7
	v_add_co_u32 v48, vcc_lo, s12, v48
	v_add_co_ci_u32_e64 v49, null, s13, v49, vcc_lo
	v_add_co_u32 v50, vcc_lo, s14, v50
	v_lshlrev_b64 v[54:55], 3, v[9:10]
	v_add_nc_u32_e32 v9, -2, v7
	v_add_co_ci_u32_e64 v51, null, s15, v51, vcc_lo
	v_add_co_u32 v52, vcc_lo, s12, v52
	v_add_co_ci_u32_e64 v53, null, s13, v53, vcc_lo
	v_lshlrev_b64 v[56:57], 3, v[9:10]
	v_add_nc_u32_e32 v9, 4, v20
	global_load_dwordx2 v[42:43], v[42:43], off
	s_clause 0x3
	global_load_dwordx2 v[44:45], v[44:45], off
	global_load_dwordx2 v[46:47], v[46:47], off
	global_load_dwordx2 v[48:49], v[48:49], off
	global_load_dwordx2 v[20:21], v[52:53], off
	v_add_co_u32 v52, vcc_lo, s12, v54
	v_add_co_ci_u32_e64 v53, null, s13, v55, vcc_lo
	v_lshlrev_b64 v[54:55], 3, v[9:10]
	v_add_nc_u32_e32 v9, -1, v7
	global_load_dwordx2 v[50:51], v[50:51], off
	v_add_co_u32 v56, vcc_lo, s12, v56
	global_load_dwordx2 v[52:53], v[52:53], off
	v_lshlrev_b64 v[8:9], 3, v[9:10]
	v_add_co_ci_u32_e64 v57, null, s13, v57, vcc_lo
	v_add_co_u32 v54, vcc_lo, s14, v54
	v_add_co_ci_u32_e64 v55, null, s15, v55, vcc_lo
	v_add_co_u32 v8, vcc_lo, s12, v8
	v_add_co_ci_u32_e64 v9, null, s13, v9, vcc_lo
	global_load_dwordx2 v[56:57], v[56:57], off
	global_load_dwordx2 v[54:55], v[54:55], off
	s_clause 0x1
	global_load_dwordx2 v[8:9], v[8:9], off
	global_load_dwordx2 v[24:25], v[24:25], off
	v_cmp_ge_i32_e32 vcc_lo, v11, v16
	v_add_nc_u32_e32 v7, 60, v7
	s_or_b32 s3, vcc_lo, s3
	s_waitcnt vmcnt(15)
	v_fmac_f32_e32 v17, v22, v32
	v_fmac_f32_e32 v13, v23, v32
	;; [unrolled: 1-line block ×6, first 2 shown]
	v_fma_f32 v12, -v23, v33, v17
	v_fmac_f32_e32 v13, v22, v33
	v_fma_f32 v17, -v27, v33, v19
	v_fmac_f32_e32 v15, v26, v33
	v_fma_f32 v18, -v29, v33, v18
	v_fmac_f32_e32 v14, v28, v33
	s_waitcnt vmcnt(14)
	v_fmac_f32_e32 v12, v30, v34
	v_fmac_f32_e32 v13, v31, v34
	v_fma_f32 v12, -v31, v35, v12
	v_fmac_f32_e32 v13, v30, v35
	s_waitcnt vmcnt(13)
	v_fmac_f32_e32 v17, v36, v34
	v_fmac_f32_e32 v15, v37, v34
	s_waitcnt vmcnt(12)
	v_fmac_f32_e32 v18, v38, v34
	v_fmac_f32_e32 v14, v39, v34
	v_fma_f32 v17, -v37, v35, v17
	v_fmac_f32_e32 v15, v36, v35
	v_fma_f32 v18, -v39, v35, v18
	v_fmac_f32_e32 v14, v38, v35
	s_waitcnt vmcnt(10)
	v_fmac_f32_e32 v12, v40, v42
	v_fmac_f32_e32 v13, v41, v42
	s_waitcnt vmcnt(9)
	v_fmac_f32_e32 v17, v44, v42
	;; [unrolled: 3-line block ×3, first 2 shown]
	v_fmac_f32_e32 v14, v47, v42
	v_fma_f32 v12, -v41, v43, v12
	v_fmac_f32_e32 v13, v40, v43
	v_fma_f32 v17, -v45, v43, v17
	;; [unrolled: 2-line block ×3, first 2 shown]
	v_fmac_f32_e32 v14, v46, v43
	s_waitcnt vmcnt(5)
	v_fmac_f32_e32 v12, v48, v50
	v_fmac_f32_e32 v13, v49, v50
	;; [unrolled: 1-line block ×4, first 2 shown]
	s_waitcnt vmcnt(4)
	v_fmac_f32_e32 v18, v52, v50
	v_fmac_f32_e32 v14, v53, v50
	v_fma_f32 v12, -v49, v51, v12
	v_fmac_f32_e32 v13, v48, v51
	v_fma_f32 v19, -v21, v51, v17
	;; [unrolled: 2-line block ×3, first 2 shown]
	v_fmac_f32_e32 v14, v52, v51
	s_waitcnt vmcnt(2)
	v_fmac_f32_e32 v12, v56, v54
	v_fmac_f32_e32 v13, v57, v54
	s_waitcnt vmcnt(1)
	v_fmac_f32_e32 v19, v8, v54
	v_fmac_f32_e32 v15, v9, v54
	s_waitcnt vmcnt(0)
	v_fmac_f32_e32 v18, v24, v54
	v_fmac_f32_e32 v14, v25, v54
	v_fma_f32 v17, -v57, v55, v12
	v_fmac_f32_e32 v13, v56, v55
	v_fma_f32 v19, -v9, v55, v19
	;; [unrolled: 2-line block ×3, first 2 shown]
	v_fmac_f32_e32 v14, v24, v55
	s_andn2_b32 exec_lo, exec_lo, s3
	s_cbranch_execnz .LBB89_7
; %bb.8:
	s_or_b32 exec_lo, exec_lo, s3
.LBB89_9:
	s_or_b32 exec_lo, exec_lo, s1
	s_cbranch_execz .LBB89_11
	s_branch .LBB89_16
.LBB89_10:
                                        ; implicit-def: $vgpr13
                                        ; implicit-def: $vgpr17
                                        ; implicit-def: $vgpr18
                                        ; implicit-def: $vgpr14
                                        ; implicit-def: $vgpr19
                                        ; implicit-def: $vgpr15
.LBB89_11:
	v_mov_b32_e32 v13, 0
	v_mov_b32_e32 v17, 0
	;; [unrolled: 1-line block ×6, first 2 shown]
	s_and_saveexec_b32 s1, s0
	s_cbranch_execz .LBB89_15
; %bb.12:
	v_mad_u64_u32 v[8:9], null, v6, 15, 14
	v_mov_b32_e32 v11, 0
	v_mov_b32_e32 v13, 0
	;; [unrolled: 1-line block ×7, first 2 shown]
	s_mov_b32 s0, 0
.LBB89_13:                              ; =>This Inner Loop Header: Depth=1
	v_ashrrev_i32_e32 v7, 31, v6
	v_add_nc_u32_e32 v20, -9, v8
	v_mov_b32_e32 v21, v11
	v_add_nc_u32_e32 v22, -4, v8
	v_mov_b32_e32 v23, v11
	v_lshlrev_b64 v[9:10], 2, v[6:7]
	v_mov_b32_e32 v24, v11
	v_lshlrev_b64 v[20:21], 3, v[20:21]
	v_add_nc_u32_e32 v6, 4, v6
	v_lshlrev_b64 v[22:23], 3, v[22:23]
	v_add_co_u32 v9, vcc_lo, s10, v9
	v_add_co_ci_u32_e64 v10, null, s11, v10, vcc_lo
	global_load_dword v7, v[9:10], off
	v_add_nc_u32_e32 v10, -14, v8
	v_mov_b32_e32 v9, v11
	v_lshlrev_b64 v[25:26], 3, v[10:11]
	v_add_nc_u32_e32 v10, -13, v8
	v_lshlrev_b64 v[27:28], 3, v[8:9]
	v_lshlrev_b64 v[9:10], 3, v[10:11]
	v_add_co_u32 v25, vcc_lo, s12, v25
	v_add_co_ci_u32_e64 v26, null, s13, v26, vcc_lo
	v_add_co_u32 v20, vcc_lo, s12, v20
	v_add_co_ci_u32_e64 v21, null, s13, v21, vcc_lo
	;; [unrolled: 2-line block ×5, first 2 shown]
	s_clause 0x3
	global_load_dwordx2 v[25:26], v[25:26], off
	global_load_dwordx2 v[20:21], v[20:21], off
	;; [unrolled: 1-line block ×4, first 2 shown]
	s_waitcnt vmcnt(4)
	v_subrev_nc_u32_e32 v7, s2, v7
	v_lshl_add_u32 v23, v7, 2, v7
	v_add_nc_u32_e32 v10, 1, v23
	v_lshlrev_b64 v[33:34], 3, v[23:24]
	v_lshlrev_b64 v[35:36], 3, v[10:11]
	v_add_nc_u32_e32 v10, -8, v8
	v_add_co_u32 v33, vcc_lo, s14, v33
	v_add_co_ci_u32_e64 v34, null, s15, v34, vcc_lo
	v_lshlrev_b64 v[37:38], 3, v[10:11]
	v_add_nc_u32_e32 v10, -3, v8
	v_add_co_u32 v35, vcc_lo, s14, v35
	v_add_co_ci_u32_e64 v36, null, s15, v36, vcc_lo
	v_lshlrev_b64 v[39:40], 3, v[10:11]
	v_add_nc_u32_e32 v10, -12, v8
	v_add_co_u32 v37, vcc_lo, s12, v37
	s_clause 0x1
	global_load_dwordx2 v[33:34], v[33:34], off
	global_load_dwordx2 v[35:36], v[35:36], off
	v_lshlrev_b64 v[41:42], 3, v[10:11]
	v_add_nc_u32_e32 v10, 2, v23
	v_add_co_ci_u32_e64 v38, null, s13, v38, vcc_lo
	v_add_co_u32 v39, vcc_lo, s12, v39
	v_lshlrev_b64 v[43:44], 3, v[10:11]
	v_add_nc_u32_e32 v10, -7, v8
	v_add_co_ci_u32_e64 v40, null, s13, v40, vcc_lo
	v_add_co_u32 v41, vcc_lo, s12, v41
	v_lshlrev_b64 v[45:46], 3, v[10:11]
	v_add_nc_u32_e32 v10, -2, v8
	v_add_co_ci_u32_e64 v42, null, s13, v42, vcc_lo
	v_add_co_u32 v43, vcc_lo, s14, v43
	v_lshlrev_b64 v[47:48], 3, v[10:11]
	v_add_nc_u32_e32 v10, -11, v8
	v_add_co_ci_u32_e64 v44, null, s15, v44, vcc_lo
	v_add_co_u32 v45, vcc_lo, s12, v45
	v_lshlrev_b64 v[49:50], 3, v[10:11]
	v_add_nc_u32_e32 v10, 3, v23
	v_add_co_ci_u32_e64 v46, null, s13, v46, vcc_lo
	v_add_co_u32 v47, vcc_lo, s12, v47
	v_lshlrev_b64 v[51:52], 3, v[10:11]
	v_add_nc_u32_e32 v10, -6, v8
	s_clause 0x2
	global_load_dwordx2 v[37:38], v[37:38], off
	global_load_dwordx2 v[39:40], v[39:40], off
	;; [unrolled: 1-line block ×3, first 2 shown]
	v_add_co_ci_u32_e64 v48, null, s13, v48, vcc_lo
	v_lshlrev_b64 v[53:54], 3, v[10:11]
	v_add_nc_u32_e32 v10, -1, v8
	v_add_co_u32 v49, vcc_lo, s12, v49
	v_add_co_ci_u32_e64 v50, null, s13, v50, vcc_lo
	v_add_co_u32 v51, vcc_lo, s14, v51
	v_lshlrev_b64 v[55:56], 3, v[10:11]
	v_add_nc_u32_e32 v10, -10, v8
	v_add_co_ci_u32_e64 v52, null, s15, v52, vcc_lo
	v_add_co_u32 v53, vcc_lo, s12, v53
	v_add_co_ci_u32_e64 v54, null, s13, v54, vcc_lo
	v_lshlrev_b64 v[57:58], 3, v[10:11]
	v_add_nc_u32_e32 v10, 4, v23
	global_load_dwordx2 v[43:44], v[43:44], off
	s_clause 0x3
	global_load_dwordx2 v[45:46], v[45:46], off
	global_load_dwordx2 v[47:48], v[47:48], off
	;; [unrolled: 1-line block ×4, first 2 shown]
	v_add_co_u32 v53, vcc_lo, s12, v55
	v_add_co_ci_u32_e64 v54, null, s13, v56, vcc_lo
	v_lshlrev_b64 v[55:56], 3, v[10:11]
	v_add_nc_u32_e32 v10, -5, v8
	global_load_dwordx2 v[51:52], v[51:52], off
	v_add_co_u32 v57, vcc_lo, s12, v57
	global_load_dwordx2 v[53:54], v[53:54], off
	v_lshlrev_b64 v[9:10], 3, v[10:11]
	v_add_co_ci_u32_e64 v58, null, s13, v58, vcc_lo
	v_add_co_u32 v55, vcc_lo, s14, v55
	v_add_co_ci_u32_e64 v56, null, s15, v56, vcc_lo
	v_add_co_u32 v9, vcc_lo, s12, v9
	v_add_co_ci_u32_e64 v10, null, s13, v10, vcc_lo
	global_load_dwordx2 v[57:58], v[57:58], off
	global_load_dwordx2 v[55:56], v[55:56], off
	s_clause 0x1
	global_load_dwordx2 v[9:10], v[9:10], off
	global_load_dwordx2 v[27:28], v[27:28], off
	v_cmp_ge_i32_e32 vcc_lo, v6, v16
	v_add_nc_u32_e32 v8, 60, v8
	s_or_b32 s0, vcc_lo, s0
	s_waitcnt vmcnt(15)
	v_fmac_f32_e32 v17, v25, v33
	v_fmac_f32_e32 v13, v26, v33
	;; [unrolled: 1-line block ×6, first 2 shown]
	v_fma_f32 v7, -v26, v34, v17
	v_fmac_f32_e32 v13, v25, v34
	v_fma_f32 v12, -v21, v34, v19
	v_fmac_f32_e32 v15, v20, v34
	;; [unrolled: 2-line block ×3, first 2 shown]
	s_waitcnt vmcnt(14)
	v_fmac_f32_e32 v7, v31, v35
	v_fmac_f32_e32 v13, v32, v35
	v_fma_f32 v7, -v32, v36, v7
	v_fmac_f32_e32 v13, v31, v36
	s_waitcnt vmcnt(13)
	v_fmac_f32_e32 v12, v37, v35
	v_fmac_f32_e32 v15, v38, v35
	s_waitcnt vmcnt(12)
	v_fmac_f32_e32 v17, v39, v35
	v_fmac_f32_e32 v14, v40, v35
	v_fma_f32 v12, -v38, v36, v12
	v_fmac_f32_e32 v15, v37, v36
	v_fma_f32 v17, -v40, v36, v17
	v_fmac_f32_e32 v14, v39, v36
	s_waitcnt vmcnt(10)
	v_fmac_f32_e32 v7, v41, v43
	v_fmac_f32_e32 v13, v42, v43
	s_waitcnt vmcnt(9)
	v_fmac_f32_e32 v12, v45, v43
	;; [unrolled: 3-line block ×3, first 2 shown]
	v_fmac_f32_e32 v14, v48, v43
	v_fma_f32 v7, -v42, v44, v7
	v_fmac_f32_e32 v13, v41, v44
	v_fma_f32 v12, -v46, v44, v12
	;; [unrolled: 2-line block ×3, first 2 shown]
	v_fmac_f32_e32 v14, v47, v44
	s_waitcnt vmcnt(5)
	v_fmac_f32_e32 v7, v49, v51
	v_fmac_f32_e32 v13, v50, v51
	;; [unrolled: 1-line block ×4, first 2 shown]
	s_waitcnt vmcnt(4)
	v_fmac_f32_e32 v17, v53, v51
	v_fmac_f32_e32 v14, v54, v51
	v_fma_f32 v7, -v50, v52, v7
	v_fmac_f32_e32 v13, v49, v52
	v_fma_f32 v12, -v23, v52, v12
	;; [unrolled: 2-line block ×3, first 2 shown]
	v_fmac_f32_e32 v14, v53, v52
	s_waitcnt vmcnt(2)
	v_fmac_f32_e32 v7, v57, v55
	v_fmac_f32_e32 v13, v58, v55
	s_waitcnt vmcnt(1)
	v_fmac_f32_e32 v12, v9, v55
	v_fmac_f32_e32 v15, v10, v55
	s_waitcnt vmcnt(0)
	v_fmac_f32_e32 v18, v27, v55
	v_fmac_f32_e32 v14, v28, v55
	v_fma_f32 v17, -v58, v56, v7
	v_fmac_f32_e32 v13, v57, v56
	v_fma_f32 v19, -v10, v56, v12
	;; [unrolled: 2-line block ×3, first 2 shown]
	v_fmac_f32_e32 v14, v27, v56
	s_andn2_b32 exec_lo, exec_lo, s0
	s_cbranch_execnz .LBB89_13
; %bb.14:
	s_or_b32 exec_lo, exec_lo, s0
.LBB89_15:
	s_or_b32 exec_lo, exec_lo, s1
.LBB89_16:
	v_mbcnt_lo_u32_b32 v6, -1, 0
	v_xor_b32_e32 v7, 2, v6
	v_cmp_gt_i32_e32 vcc_lo, 32, v7
	v_cndmask_b32_e32 v7, v6, v7, vcc_lo
	v_lshlrev_b32_e32 v7, 2, v7
	ds_bpermute_b32 v8, v7, v17
	ds_bpermute_b32 v9, v7, v13
	ds_bpermute_b32 v10, v7, v19
	ds_bpermute_b32 v12, v7, v15
	ds_bpermute_b32 v16, v7, v18
	ds_bpermute_b32 v20, v7, v14
	v_xor_b32_e32 v7, 1, v6
	v_cmp_gt_i32_e32 vcc_lo, 32, v7
	v_cndmask_b32_e32 v6, v6, v7, vcc_lo
	v_cmp_eq_u32_e32 vcc_lo, 3, v0
	v_lshlrev_b32_e32 v21, 2, v6
	s_waitcnt lgkmcnt(5)
	v_add_f32_e32 v6, v17, v8
	s_waitcnt lgkmcnt(4)
	v_add_f32_e32 v9, v13, v9
	;; [unrolled: 2-line block ×6, first 2 shown]
	ds_bpermute_b32 v10, v21, v6
	ds_bpermute_b32 v15, v21, v9
	;; [unrolled: 1-line block ×6, first 2 shown]
	s_and_b32 exec_lo, exec_lo, vcc_lo
	s_cbranch_execz .LBB89_21
; %bb.17:
	s_load_dwordx2 s[2:3], s[4:5], 0x38
	v_cmp_eq_f32_e32 vcc_lo, 0, v3
	v_cmp_eq_f32_e64 s0, 0, v4
	s_waitcnt lgkmcnt(0)
	v_add_f32_e32 v0, v6, v10
	v_add_f32_e32 v10, v9, v15
	;; [unrolled: 1-line block ×6, first 2 shown]
	s_and_b32 s0, vcc_lo, s0
	s_and_saveexec_b32 s1, s0
	s_xor_b32 s0, exec_lo, s1
	s_cbranch_execz .LBB89_19
; %bb.18:
	v_lshl_add_u32 v3, v5, 1, v5
	v_mul_f32_e64 v11, v10, -v2
	v_mul_f32_e32 v12, v1, v10
	v_mul_f32_e64 v13, v9, -v2
	v_mul_f32_e32 v14, v1, v9
	v_ashrrev_i32_e32 v4, 31, v3
	v_mul_f32_e64 v9, v8, -v2
	v_mul_f32_e32 v10, v1, v8
	v_fmac_f32_e32 v11, v1, v0
	v_fmac_f32_e32 v12, v2, v0
	v_lshlrev_b64 v[3:4], 3, v[3:4]
	v_fmac_f32_e32 v13, v1, v6
	v_fmac_f32_e32 v14, v2, v6
	;; [unrolled: 1-line block ×4, first 2 shown]
                                        ; implicit-def: $vgpr5
                                        ; implicit-def: $vgpr0
                                        ; implicit-def: $vgpr6
                                        ; implicit-def: $vgpr7
                                        ; implicit-def: $vgpr8
                                        ; implicit-def: $vgpr1_vgpr2
	v_add_co_u32 v3, vcc_lo, s2, v3
	v_add_co_ci_u32_e64 v4, null, s3, v4, vcc_lo
	global_store_dwordx4 v[3:4], v[11:14], off
	global_store_dwordx2 v[3:4], v[9:10], off offset:16
                                        ; implicit-def: $vgpr10
                                        ; implicit-def: $vgpr9
                                        ; implicit-def: $vgpr3_vgpr4
.LBB89_19:
	s_andn2_saveexec_b32 s0, s0
	s_cbranch_execz .LBB89_21
; %bb.20:
	v_lshl_add_u32 v11, v5, 1, v5
	v_mul_f32_e64 v15, v10, -v2
	v_mul_f32_e32 v16, v1, v10
	v_mul_f32_e64 v10, v9, -v2
	v_mul_f32_e32 v18, v1, v9
	v_ashrrev_i32_e32 v12, 31, v11
	v_mul_f32_e64 v9, v8, -v2
	v_mul_f32_e32 v5, v1, v8
	v_fmac_f32_e32 v15, v1, v0
	v_fmac_f32_e32 v16, v2, v0
	v_lshlrev_b64 v[11:12], 3, v[11:12]
	v_fmac_f32_e32 v10, v1, v6
	v_fmac_f32_e32 v18, v2, v6
	;; [unrolled: 1-line block ×4, first 2 shown]
	v_add_co_u32 v19, vcc_lo, s2, v11
	v_add_co_ci_u32_e64 v20, null, s3, v12, vcc_lo
	s_clause 0x1
	global_load_dwordx4 v[11:14], v[19:20], off
	global_load_dwordx2 v[21:22], v[19:20], off offset:16
	s_waitcnt vmcnt(1)
	v_fmac_f32_e32 v15, v3, v11
	v_fmac_f32_e32 v16, v4, v11
	;; [unrolled: 1-line block ×4, first 2 shown]
	s_waitcnt vmcnt(0)
	v_fmac_f32_e32 v9, v3, v21
	v_fmac_f32_e32 v5, v4, v21
	v_fma_f32 v15, -v4, v12, v15
	v_fmac_f32_e32 v16, v3, v12
	v_fma_f32 v17, -v4, v14, v10
	;; [unrolled: 2-line block ×3, first 2 shown]
	v_fmac_f32_e32 v5, v3, v22
	global_store_dwordx4 v[19:20], v[15:18], off
	global_store_dwordx2 v[19:20], v[4:5], off offset:16
.LBB89_21:
	s_endpgm
	.section	.rodata,"a",@progbits
	.p2align	6, 0x0
	.amdhsa_kernel _ZN9rocsparseL19gebsrmvn_3xn_kernelILj128ELj5ELj4E21rocsparse_complex_numIfEEEvi20rocsparse_direction_NS_24const_host_device_scalarIT2_EEPKiS8_PKS5_SA_S6_PS5_21rocsparse_index_base_b
		.amdhsa_group_segment_fixed_size 0
		.amdhsa_private_segment_fixed_size 0
		.amdhsa_kernarg_size 72
		.amdhsa_user_sgpr_count 6
		.amdhsa_user_sgpr_private_segment_buffer 1
		.amdhsa_user_sgpr_dispatch_ptr 0
		.amdhsa_user_sgpr_queue_ptr 0
		.amdhsa_user_sgpr_kernarg_segment_ptr 1
		.amdhsa_user_sgpr_dispatch_id 0
		.amdhsa_user_sgpr_flat_scratch_init 0
		.amdhsa_user_sgpr_private_segment_size 0
		.amdhsa_wavefront_size32 1
		.amdhsa_uses_dynamic_stack 0
		.amdhsa_system_sgpr_private_segment_wavefront_offset 0
		.amdhsa_system_sgpr_workgroup_id_x 1
		.amdhsa_system_sgpr_workgroup_id_y 0
		.amdhsa_system_sgpr_workgroup_id_z 0
		.amdhsa_system_sgpr_workgroup_info 0
		.amdhsa_system_vgpr_workitem_id 0
		.amdhsa_next_free_vgpr 59
		.amdhsa_next_free_sgpr 16
		.amdhsa_reserve_vcc 1
		.amdhsa_reserve_flat_scratch 0
		.amdhsa_float_round_mode_32 0
		.amdhsa_float_round_mode_16_64 0
		.amdhsa_float_denorm_mode_32 3
		.amdhsa_float_denorm_mode_16_64 3
		.amdhsa_dx10_clamp 1
		.amdhsa_ieee_mode 1
		.amdhsa_fp16_overflow 0
		.amdhsa_workgroup_processor_mode 1
		.amdhsa_memory_ordered 1
		.amdhsa_forward_progress 1
		.amdhsa_shared_vgpr_count 0
		.amdhsa_exception_fp_ieee_invalid_op 0
		.amdhsa_exception_fp_denorm_src 0
		.amdhsa_exception_fp_ieee_div_zero 0
		.amdhsa_exception_fp_ieee_overflow 0
		.amdhsa_exception_fp_ieee_underflow 0
		.amdhsa_exception_fp_ieee_inexact 0
		.amdhsa_exception_int_div_zero 0
	.end_amdhsa_kernel
	.section	.text._ZN9rocsparseL19gebsrmvn_3xn_kernelILj128ELj5ELj4E21rocsparse_complex_numIfEEEvi20rocsparse_direction_NS_24const_host_device_scalarIT2_EEPKiS8_PKS5_SA_S6_PS5_21rocsparse_index_base_b,"axG",@progbits,_ZN9rocsparseL19gebsrmvn_3xn_kernelILj128ELj5ELj4E21rocsparse_complex_numIfEEEvi20rocsparse_direction_NS_24const_host_device_scalarIT2_EEPKiS8_PKS5_SA_S6_PS5_21rocsparse_index_base_b,comdat
.Lfunc_end89:
	.size	_ZN9rocsparseL19gebsrmvn_3xn_kernelILj128ELj5ELj4E21rocsparse_complex_numIfEEEvi20rocsparse_direction_NS_24const_host_device_scalarIT2_EEPKiS8_PKS5_SA_S6_PS5_21rocsparse_index_base_b, .Lfunc_end89-_ZN9rocsparseL19gebsrmvn_3xn_kernelILj128ELj5ELj4E21rocsparse_complex_numIfEEEvi20rocsparse_direction_NS_24const_host_device_scalarIT2_EEPKiS8_PKS5_SA_S6_PS5_21rocsparse_index_base_b
                                        ; -- End function
	.set _ZN9rocsparseL19gebsrmvn_3xn_kernelILj128ELj5ELj4E21rocsparse_complex_numIfEEEvi20rocsparse_direction_NS_24const_host_device_scalarIT2_EEPKiS8_PKS5_SA_S6_PS5_21rocsparse_index_base_b.num_vgpr, 59
	.set _ZN9rocsparseL19gebsrmvn_3xn_kernelILj128ELj5ELj4E21rocsparse_complex_numIfEEEvi20rocsparse_direction_NS_24const_host_device_scalarIT2_EEPKiS8_PKS5_SA_S6_PS5_21rocsparse_index_base_b.num_agpr, 0
	.set _ZN9rocsparseL19gebsrmvn_3xn_kernelILj128ELj5ELj4E21rocsparse_complex_numIfEEEvi20rocsparse_direction_NS_24const_host_device_scalarIT2_EEPKiS8_PKS5_SA_S6_PS5_21rocsparse_index_base_b.numbered_sgpr, 16
	.set _ZN9rocsparseL19gebsrmvn_3xn_kernelILj128ELj5ELj4E21rocsparse_complex_numIfEEEvi20rocsparse_direction_NS_24const_host_device_scalarIT2_EEPKiS8_PKS5_SA_S6_PS5_21rocsparse_index_base_b.num_named_barrier, 0
	.set _ZN9rocsparseL19gebsrmvn_3xn_kernelILj128ELj5ELj4E21rocsparse_complex_numIfEEEvi20rocsparse_direction_NS_24const_host_device_scalarIT2_EEPKiS8_PKS5_SA_S6_PS5_21rocsparse_index_base_b.private_seg_size, 0
	.set _ZN9rocsparseL19gebsrmvn_3xn_kernelILj128ELj5ELj4E21rocsparse_complex_numIfEEEvi20rocsparse_direction_NS_24const_host_device_scalarIT2_EEPKiS8_PKS5_SA_S6_PS5_21rocsparse_index_base_b.uses_vcc, 1
	.set _ZN9rocsparseL19gebsrmvn_3xn_kernelILj128ELj5ELj4E21rocsparse_complex_numIfEEEvi20rocsparse_direction_NS_24const_host_device_scalarIT2_EEPKiS8_PKS5_SA_S6_PS5_21rocsparse_index_base_b.uses_flat_scratch, 0
	.set _ZN9rocsparseL19gebsrmvn_3xn_kernelILj128ELj5ELj4E21rocsparse_complex_numIfEEEvi20rocsparse_direction_NS_24const_host_device_scalarIT2_EEPKiS8_PKS5_SA_S6_PS5_21rocsparse_index_base_b.has_dyn_sized_stack, 0
	.set _ZN9rocsparseL19gebsrmvn_3xn_kernelILj128ELj5ELj4E21rocsparse_complex_numIfEEEvi20rocsparse_direction_NS_24const_host_device_scalarIT2_EEPKiS8_PKS5_SA_S6_PS5_21rocsparse_index_base_b.has_recursion, 0
	.set _ZN9rocsparseL19gebsrmvn_3xn_kernelILj128ELj5ELj4E21rocsparse_complex_numIfEEEvi20rocsparse_direction_NS_24const_host_device_scalarIT2_EEPKiS8_PKS5_SA_S6_PS5_21rocsparse_index_base_b.has_indirect_call, 0
	.section	.AMDGPU.csdata,"",@progbits
; Kernel info:
; codeLenInByte = 3380
; TotalNumSgprs: 18
; NumVgprs: 59
; ScratchSize: 0
; MemoryBound: 0
; FloatMode: 240
; IeeeMode: 1
; LDSByteSize: 0 bytes/workgroup (compile time only)
; SGPRBlocks: 0
; VGPRBlocks: 7
; NumSGPRsForWavesPerEU: 18
; NumVGPRsForWavesPerEU: 59
; Occupancy: 16
; WaveLimiterHint : 1
; COMPUTE_PGM_RSRC2:SCRATCH_EN: 0
; COMPUTE_PGM_RSRC2:USER_SGPR: 6
; COMPUTE_PGM_RSRC2:TRAP_HANDLER: 0
; COMPUTE_PGM_RSRC2:TGID_X_EN: 1
; COMPUTE_PGM_RSRC2:TGID_Y_EN: 0
; COMPUTE_PGM_RSRC2:TGID_Z_EN: 0
; COMPUTE_PGM_RSRC2:TIDIG_COMP_CNT: 0
	.section	.text._ZN9rocsparseL19gebsrmvn_3xn_kernelILj128ELj5ELj8E21rocsparse_complex_numIfEEEvi20rocsparse_direction_NS_24const_host_device_scalarIT2_EEPKiS8_PKS5_SA_S6_PS5_21rocsparse_index_base_b,"axG",@progbits,_ZN9rocsparseL19gebsrmvn_3xn_kernelILj128ELj5ELj8E21rocsparse_complex_numIfEEEvi20rocsparse_direction_NS_24const_host_device_scalarIT2_EEPKiS8_PKS5_SA_S6_PS5_21rocsparse_index_base_b,comdat
	.globl	_ZN9rocsparseL19gebsrmvn_3xn_kernelILj128ELj5ELj8E21rocsparse_complex_numIfEEEvi20rocsparse_direction_NS_24const_host_device_scalarIT2_EEPKiS8_PKS5_SA_S6_PS5_21rocsparse_index_base_b ; -- Begin function _ZN9rocsparseL19gebsrmvn_3xn_kernelILj128ELj5ELj8E21rocsparse_complex_numIfEEEvi20rocsparse_direction_NS_24const_host_device_scalarIT2_EEPKiS8_PKS5_SA_S6_PS5_21rocsparse_index_base_b
	.p2align	8
	.type	_ZN9rocsparseL19gebsrmvn_3xn_kernelILj128ELj5ELj8E21rocsparse_complex_numIfEEEvi20rocsparse_direction_NS_24const_host_device_scalarIT2_EEPKiS8_PKS5_SA_S6_PS5_21rocsparse_index_base_b,@function
_ZN9rocsparseL19gebsrmvn_3xn_kernelILj128ELj5ELj8E21rocsparse_complex_numIfEEEvi20rocsparse_direction_NS_24const_host_device_scalarIT2_EEPKiS8_PKS5_SA_S6_PS5_21rocsparse_index_base_b: ; @_ZN9rocsparseL19gebsrmvn_3xn_kernelILj128ELj5ELj8E21rocsparse_complex_numIfEEEvi20rocsparse_direction_NS_24const_host_device_scalarIT2_EEPKiS8_PKS5_SA_S6_PS5_21rocsparse_index_base_b
; %bb.0:
	s_clause 0x2
	s_load_dwordx2 s[2:3], s[4:5], 0x40
	s_load_dwordx2 s[0:1], s[4:5], 0x8
	s_load_dwordx2 s[8:9], s[4:5], 0x30
	s_add_u32 s7, s4, 8
	s_addc_u32 s10, s5, 0
	s_add_u32 s11, s4, 48
	s_addc_u32 s12, s5, 0
	s_waitcnt lgkmcnt(0)
	s_bitcmp1_b32 s3, 0
	s_cselect_b32 s0, s7, s0
	s_cselect_b32 s1, s10, s1
	v_mov_b32_e32 v1, s0
	v_mov_b32_e32 v2, s1
	s_cselect_b32 s0, s11, s8
	s_cselect_b32 s1, s12, s9
	v_mov_b32_e32 v3, s0
	v_mov_b32_e32 v4, s1
	flat_load_dwordx2 v[1:2], v[1:2]
	flat_load_dwordx2 v[3:4], v[3:4]
	s_waitcnt vmcnt(1) lgkmcnt(1)
	v_cmp_eq_f32_e32 vcc_lo, 0, v1
	v_cmp_eq_f32_e64 s0, 0, v2
	s_and_b32 s3, vcc_lo, s0
	s_mov_b32 s0, -1
	s_and_saveexec_b32 s1, s3
	s_cbranch_execz .LBB90_2
; %bb.1:
	s_waitcnt vmcnt(0) lgkmcnt(0)
	v_cmp_neq_f32_e32 vcc_lo, 1.0, v3
	v_cmp_neq_f32_e64 s0, 0, v4
	s_or_b32 s0, vcc_lo, s0
	s_orn2_b32 s0, s0, exec_lo
.LBB90_2:
	s_or_b32 exec_lo, exec_lo, s1
	s_and_saveexec_b32 s1, s0
	s_cbranch_execz .LBB90_21
; %bb.3:
	s_load_dwordx2 s[0:1], s[4:5], 0x0
	v_lshrrev_b32_e32 v5, 3, v0
	v_lshl_or_b32 v5, s6, 4, v5
	s_waitcnt lgkmcnt(0)
	v_cmp_gt_i32_e32 vcc_lo, s0, v5
	s_and_b32 exec_lo, exec_lo, vcc_lo
	s_cbranch_execz .LBB90_21
; %bb.4:
	s_load_dwordx8 s[8:15], s[4:5], 0x10
	v_ashrrev_i32_e32 v6, 31, v5
	v_and_b32_e32 v0, 7, v0
	s_cmp_lg_u32 s1, 0
	v_lshlrev_b64 v[6:7], 2, v[5:6]
	s_waitcnt lgkmcnt(0)
	v_add_co_u32 v6, vcc_lo, s8, v6
	v_add_co_ci_u32_e64 v7, null, s9, v7, vcc_lo
	global_load_dwordx2 v[6:7], v[6:7], off
	s_waitcnt vmcnt(0)
	v_subrev_nc_u32_e32 v6, s2, v6
	v_subrev_nc_u32_e32 v16, s2, v7
	v_add_nc_u32_e32 v6, v6, v0
	v_cmp_lt_i32_e64 s0, v6, v16
	s_cbranch_scc0 .LBB90_10
; %bb.5:
	v_mov_b32_e32 v13, 0
	v_mov_b32_e32 v17, 0
	;; [unrolled: 1-line block ×6, first 2 shown]
	s_and_saveexec_b32 s1, s0
	s_cbranch_execz .LBB90_9
; %bb.6:
	v_mad_u64_u32 v[7:8], null, v6, 15, 14
	v_mov_b32_e32 v10, 0
	v_mov_b32_e32 v11, v6
	v_mov_b32_e32 v13, 0
	v_mov_b32_e32 v17, 0
	v_mov_b32_e32 v18, 0
	v_mov_b32_e32 v14, 0
	v_mov_b32_e32 v19, 0
	v_mov_b32_e32 v15, 0
	s_mov_b32 s3, 0
.LBB90_7:                               ; =>This Inner Loop Header: Depth=1
	v_ashrrev_i32_e32 v12, 31, v11
	v_mov_b32_e32 v21, v10
	v_lshlrev_b64 v[8:9], 2, v[11:12]
	v_add_nc_u32_e32 v11, 8, v11
	v_add_co_u32 v8, vcc_lo, s10, v8
	v_add_co_ci_u32_e64 v9, null, s11, v9, vcc_lo
	global_load_dword v12, v[8:9], off
	v_add_nc_u32_e32 v9, -14, v7
	v_mov_b32_e32 v8, v10
	v_lshlrev_b64 v[22:23], 3, v[9:10]
	v_add_nc_u32_e32 v9, -13, v7
	v_lshlrev_b64 v[24:25], 3, v[7:8]
	v_lshlrev_b64 v[26:27], 3, v[9:10]
	v_add_nc_u32_e32 v9, -12, v7
	v_add_co_u32 v22, vcc_lo, s12, v22
	v_add_co_ci_u32_e64 v23, null, s13, v23, vcc_lo
	v_lshlrev_b64 v[28:29], 3, v[9:10]
	v_add_nc_u32_e32 v9, -11, v7
	v_add_co_u32 v24, vcc_lo, s12, v24
	v_add_co_ci_u32_e64 v25, null, s13, v25, vcc_lo
	v_lshlrev_b64 v[8:9], 3, v[9:10]
	v_add_co_u32 v26, vcc_lo, s12, v26
	v_add_co_ci_u32_e64 v27, null, s13, v27, vcc_lo
	v_add_co_u32 v28, vcc_lo, s12, v28
	v_add_co_ci_u32_e64 v29, null, s13, v29, vcc_lo
	;; [unrolled: 2-line block ×3, first 2 shown]
	s_clause 0x3
	global_load_dwordx2 v[22:23], v[22:23], off
	global_load_dwordx2 v[26:27], v[26:27], off
	;; [unrolled: 1-line block ×4, first 2 shown]
	s_waitcnt vmcnt(4)
	v_subrev_nc_u32_e32 v8, s2, v12
	v_lshl_add_u32 v20, v8, 2, v8
	v_add_nc_u32_e32 v9, 1, v20
	v_lshlrev_b64 v[32:33], 3, v[20:21]
	v_lshlrev_b64 v[34:35], 3, v[9:10]
	v_add_nc_u32_e32 v9, -10, v7
	v_add_co_u32 v32, vcc_lo, s14, v32
	v_add_co_ci_u32_e64 v33, null, s15, v33, vcc_lo
	v_lshlrev_b64 v[36:37], 3, v[9:10]
	v_add_nc_u32_e32 v9, -9, v7
	v_add_co_u32 v34, vcc_lo, s14, v34
	v_add_co_ci_u32_e64 v35, null, s15, v35, vcc_lo
	v_lshlrev_b64 v[38:39], 3, v[9:10]
	v_add_nc_u32_e32 v9, -8, v7
	v_add_co_u32 v36, vcc_lo, s12, v36
	s_clause 0x1
	global_load_dwordx2 v[32:33], v[32:33], off
	global_load_dwordx2 v[34:35], v[34:35], off
	v_lshlrev_b64 v[40:41], 3, v[9:10]
	v_add_nc_u32_e32 v9, 2, v20
	v_add_co_ci_u32_e64 v37, null, s13, v37, vcc_lo
	v_add_co_u32 v38, vcc_lo, s12, v38
	v_lshlrev_b64 v[42:43], 3, v[9:10]
	v_add_nc_u32_e32 v9, -7, v7
	v_add_co_ci_u32_e64 v39, null, s13, v39, vcc_lo
	v_add_co_u32 v40, vcc_lo, s12, v40
	v_lshlrev_b64 v[44:45], 3, v[9:10]
	v_add_nc_u32_e32 v9, -6, v7
	;; [unrolled: 4-line block ×3, first 2 shown]
	v_add_co_ci_u32_e64 v43, null, s15, v43, vcc_lo
	v_add_co_u32 v44, vcc_lo, s12, v44
	v_lshlrev_b64 v[48:49], 3, v[9:10]
	v_add_nc_u32_e32 v9, 3, v20
	v_add_co_ci_u32_e64 v45, null, s13, v45, vcc_lo
	v_add_co_u32 v46, vcc_lo, s12, v46
	v_lshlrev_b64 v[50:51], 3, v[9:10]
	v_add_nc_u32_e32 v9, -4, v7
	s_clause 0x2
	global_load_dwordx2 v[36:37], v[36:37], off
	global_load_dwordx2 v[38:39], v[38:39], off
	;; [unrolled: 1-line block ×3, first 2 shown]
	v_add_co_ci_u32_e64 v47, null, s13, v47, vcc_lo
	v_lshlrev_b64 v[52:53], 3, v[9:10]
	v_add_nc_u32_e32 v9, -3, v7
	v_add_co_u32 v48, vcc_lo, s12, v48
	v_add_co_ci_u32_e64 v49, null, s13, v49, vcc_lo
	v_add_co_u32 v50, vcc_lo, s14, v50
	v_lshlrev_b64 v[54:55], 3, v[9:10]
	v_add_nc_u32_e32 v9, -2, v7
	v_add_co_ci_u32_e64 v51, null, s15, v51, vcc_lo
	v_add_co_u32 v52, vcc_lo, s12, v52
	v_add_co_ci_u32_e64 v53, null, s13, v53, vcc_lo
	v_lshlrev_b64 v[56:57], 3, v[9:10]
	v_add_nc_u32_e32 v9, 4, v20
	global_load_dwordx2 v[42:43], v[42:43], off
	s_clause 0x3
	global_load_dwordx2 v[44:45], v[44:45], off
	global_load_dwordx2 v[46:47], v[46:47], off
	;; [unrolled: 1-line block ×4, first 2 shown]
	v_add_co_u32 v52, vcc_lo, s12, v54
	v_add_co_ci_u32_e64 v53, null, s13, v55, vcc_lo
	v_lshlrev_b64 v[54:55], 3, v[9:10]
	v_add_nc_u32_e32 v9, -1, v7
	global_load_dwordx2 v[50:51], v[50:51], off
	v_add_co_u32 v56, vcc_lo, s12, v56
	global_load_dwordx2 v[52:53], v[52:53], off
	v_lshlrev_b64 v[8:9], 3, v[9:10]
	v_add_co_ci_u32_e64 v57, null, s13, v57, vcc_lo
	v_add_co_u32 v54, vcc_lo, s14, v54
	v_add_co_ci_u32_e64 v55, null, s15, v55, vcc_lo
	v_add_co_u32 v8, vcc_lo, s12, v8
	v_add_co_ci_u32_e64 v9, null, s13, v9, vcc_lo
	global_load_dwordx2 v[56:57], v[56:57], off
	global_load_dwordx2 v[54:55], v[54:55], off
	s_clause 0x1
	global_load_dwordx2 v[8:9], v[8:9], off
	global_load_dwordx2 v[24:25], v[24:25], off
	v_cmp_ge_i32_e32 vcc_lo, v11, v16
	v_add_nc_u32_e32 v7, 0x78, v7
	s_or_b32 s3, vcc_lo, s3
	s_waitcnt vmcnt(15)
	v_fmac_f32_e32 v17, v22, v32
	v_fmac_f32_e32 v13, v23, v32
	v_fmac_f32_e32 v19, v26, v32
	v_fmac_f32_e32 v15, v27, v32
	v_fmac_f32_e32 v18, v28, v32
	v_fmac_f32_e32 v14, v29, v32
	v_fma_f32 v12, -v23, v33, v17
	v_fmac_f32_e32 v13, v22, v33
	v_fma_f32 v17, -v27, v33, v19
	v_fmac_f32_e32 v15, v26, v33
	;; [unrolled: 2-line block ×3, first 2 shown]
	s_waitcnt vmcnt(14)
	v_fmac_f32_e32 v12, v30, v34
	v_fmac_f32_e32 v13, v31, v34
	v_fma_f32 v12, -v31, v35, v12
	v_fmac_f32_e32 v13, v30, v35
	s_waitcnt vmcnt(13)
	v_fmac_f32_e32 v17, v36, v34
	v_fmac_f32_e32 v15, v37, v34
	s_waitcnt vmcnt(12)
	v_fmac_f32_e32 v18, v38, v34
	v_fmac_f32_e32 v14, v39, v34
	v_fma_f32 v17, -v37, v35, v17
	v_fmac_f32_e32 v15, v36, v35
	v_fma_f32 v18, -v39, v35, v18
	v_fmac_f32_e32 v14, v38, v35
	s_waitcnt vmcnt(10)
	v_fmac_f32_e32 v12, v40, v42
	v_fmac_f32_e32 v13, v41, v42
	s_waitcnt vmcnt(9)
	v_fmac_f32_e32 v17, v44, v42
	;; [unrolled: 3-line block ×3, first 2 shown]
	v_fmac_f32_e32 v14, v47, v42
	v_fma_f32 v12, -v41, v43, v12
	v_fmac_f32_e32 v13, v40, v43
	v_fma_f32 v17, -v45, v43, v17
	;; [unrolled: 2-line block ×3, first 2 shown]
	v_fmac_f32_e32 v14, v46, v43
	s_waitcnt vmcnt(5)
	v_fmac_f32_e32 v12, v48, v50
	v_fmac_f32_e32 v13, v49, v50
	;; [unrolled: 1-line block ×4, first 2 shown]
	s_waitcnt vmcnt(4)
	v_fmac_f32_e32 v18, v52, v50
	v_fmac_f32_e32 v14, v53, v50
	v_fma_f32 v12, -v49, v51, v12
	v_fmac_f32_e32 v13, v48, v51
	v_fma_f32 v19, -v21, v51, v17
	;; [unrolled: 2-line block ×3, first 2 shown]
	v_fmac_f32_e32 v14, v52, v51
	s_waitcnt vmcnt(2)
	v_fmac_f32_e32 v12, v56, v54
	v_fmac_f32_e32 v13, v57, v54
	s_waitcnt vmcnt(1)
	v_fmac_f32_e32 v19, v8, v54
	;; [unrolled: 3-line block ×3, first 2 shown]
	v_fmac_f32_e32 v14, v25, v54
	v_fma_f32 v17, -v57, v55, v12
	v_fmac_f32_e32 v13, v56, v55
	v_fma_f32 v19, -v9, v55, v19
	;; [unrolled: 2-line block ×3, first 2 shown]
	v_fmac_f32_e32 v14, v24, v55
	s_andn2_b32 exec_lo, exec_lo, s3
	s_cbranch_execnz .LBB90_7
; %bb.8:
	s_or_b32 exec_lo, exec_lo, s3
.LBB90_9:
	s_or_b32 exec_lo, exec_lo, s1
	s_cbranch_execz .LBB90_11
	s_branch .LBB90_16
.LBB90_10:
                                        ; implicit-def: $vgpr13
                                        ; implicit-def: $vgpr17
                                        ; implicit-def: $vgpr18
                                        ; implicit-def: $vgpr14
                                        ; implicit-def: $vgpr19
                                        ; implicit-def: $vgpr15
.LBB90_11:
	v_mov_b32_e32 v13, 0
	v_mov_b32_e32 v17, 0
	v_mov_b32_e32 v18, 0
	v_mov_b32_e32 v14, 0
	v_mov_b32_e32 v19, 0
	v_mov_b32_e32 v15, 0
	s_and_saveexec_b32 s1, s0
	s_cbranch_execz .LBB90_15
; %bb.12:
	v_mad_u64_u32 v[8:9], null, v6, 15, 14
	v_mov_b32_e32 v11, 0
	v_mov_b32_e32 v13, 0
	;; [unrolled: 1-line block ×7, first 2 shown]
	s_mov_b32 s0, 0
.LBB90_13:                              ; =>This Inner Loop Header: Depth=1
	v_ashrrev_i32_e32 v7, 31, v6
	v_add_nc_u32_e32 v20, -9, v8
	v_mov_b32_e32 v21, v11
	v_add_nc_u32_e32 v22, -4, v8
	v_mov_b32_e32 v23, v11
	v_lshlrev_b64 v[9:10], 2, v[6:7]
	v_mov_b32_e32 v24, v11
	v_lshlrev_b64 v[20:21], 3, v[20:21]
	v_add_nc_u32_e32 v6, 8, v6
	v_lshlrev_b64 v[22:23], 3, v[22:23]
	v_add_co_u32 v9, vcc_lo, s10, v9
	v_add_co_ci_u32_e64 v10, null, s11, v10, vcc_lo
	global_load_dword v7, v[9:10], off
	v_add_nc_u32_e32 v10, -14, v8
	v_mov_b32_e32 v9, v11
	v_lshlrev_b64 v[25:26], 3, v[10:11]
	v_add_nc_u32_e32 v10, -13, v8
	v_lshlrev_b64 v[27:28], 3, v[8:9]
	v_lshlrev_b64 v[9:10], 3, v[10:11]
	v_add_co_u32 v25, vcc_lo, s12, v25
	v_add_co_ci_u32_e64 v26, null, s13, v26, vcc_lo
	v_add_co_u32 v20, vcc_lo, s12, v20
	v_add_co_ci_u32_e64 v21, null, s13, v21, vcc_lo
	;; [unrolled: 2-line block ×5, first 2 shown]
	s_clause 0x3
	global_load_dwordx2 v[25:26], v[25:26], off
	global_load_dwordx2 v[20:21], v[20:21], off
	;; [unrolled: 1-line block ×4, first 2 shown]
	s_waitcnt vmcnt(4)
	v_subrev_nc_u32_e32 v7, s2, v7
	v_lshl_add_u32 v23, v7, 2, v7
	v_add_nc_u32_e32 v10, 1, v23
	v_lshlrev_b64 v[33:34], 3, v[23:24]
	v_lshlrev_b64 v[35:36], 3, v[10:11]
	v_add_nc_u32_e32 v10, -8, v8
	v_add_co_u32 v33, vcc_lo, s14, v33
	v_add_co_ci_u32_e64 v34, null, s15, v34, vcc_lo
	v_lshlrev_b64 v[37:38], 3, v[10:11]
	v_add_nc_u32_e32 v10, -3, v8
	v_add_co_u32 v35, vcc_lo, s14, v35
	v_add_co_ci_u32_e64 v36, null, s15, v36, vcc_lo
	v_lshlrev_b64 v[39:40], 3, v[10:11]
	v_add_nc_u32_e32 v10, -12, v8
	v_add_co_u32 v37, vcc_lo, s12, v37
	s_clause 0x1
	global_load_dwordx2 v[33:34], v[33:34], off
	global_load_dwordx2 v[35:36], v[35:36], off
	v_lshlrev_b64 v[41:42], 3, v[10:11]
	v_add_nc_u32_e32 v10, 2, v23
	v_add_co_ci_u32_e64 v38, null, s13, v38, vcc_lo
	v_add_co_u32 v39, vcc_lo, s12, v39
	v_lshlrev_b64 v[43:44], 3, v[10:11]
	v_add_nc_u32_e32 v10, -7, v8
	v_add_co_ci_u32_e64 v40, null, s13, v40, vcc_lo
	v_add_co_u32 v41, vcc_lo, s12, v41
	v_lshlrev_b64 v[45:46], 3, v[10:11]
	v_add_nc_u32_e32 v10, -2, v8
	;; [unrolled: 4-line block ×3, first 2 shown]
	v_add_co_ci_u32_e64 v44, null, s15, v44, vcc_lo
	v_add_co_u32 v45, vcc_lo, s12, v45
	v_lshlrev_b64 v[49:50], 3, v[10:11]
	v_add_nc_u32_e32 v10, 3, v23
	v_add_co_ci_u32_e64 v46, null, s13, v46, vcc_lo
	v_add_co_u32 v47, vcc_lo, s12, v47
	v_lshlrev_b64 v[51:52], 3, v[10:11]
	v_add_nc_u32_e32 v10, -6, v8
	s_clause 0x2
	global_load_dwordx2 v[37:38], v[37:38], off
	global_load_dwordx2 v[39:40], v[39:40], off
	;; [unrolled: 1-line block ×3, first 2 shown]
	v_add_co_ci_u32_e64 v48, null, s13, v48, vcc_lo
	v_lshlrev_b64 v[53:54], 3, v[10:11]
	v_add_nc_u32_e32 v10, -1, v8
	v_add_co_u32 v49, vcc_lo, s12, v49
	v_add_co_ci_u32_e64 v50, null, s13, v50, vcc_lo
	v_add_co_u32 v51, vcc_lo, s14, v51
	v_lshlrev_b64 v[55:56], 3, v[10:11]
	v_add_nc_u32_e32 v10, -10, v8
	v_add_co_ci_u32_e64 v52, null, s15, v52, vcc_lo
	v_add_co_u32 v53, vcc_lo, s12, v53
	v_add_co_ci_u32_e64 v54, null, s13, v54, vcc_lo
	v_lshlrev_b64 v[57:58], 3, v[10:11]
	v_add_nc_u32_e32 v10, 4, v23
	global_load_dwordx2 v[43:44], v[43:44], off
	s_clause 0x3
	global_load_dwordx2 v[45:46], v[45:46], off
	global_load_dwordx2 v[47:48], v[47:48], off
	;; [unrolled: 1-line block ×4, first 2 shown]
	v_add_co_u32 v53, vcc_lo, s12, v55
	v_add_co_ci_u32_e64 v54, null, s13, v56, vcc_lo
	v_lshlrev_b64 v[55:56], 3, v[10:11]
	v_add_nc_u32_e32 v10, -5, v8
	global_load_dwordx2 v[51:52], v[51:52], off
	v_add_co_u32 v57, vcc_lo, s12, v57
	global_load_dwordx2 v[53:54], v[53:54], off
	v_lshlrev_b64 v[9:10], 3, v[10:11]
	v_add_co_ci_u32_e64 v58, null, s13, v58, vcc_lo
	v_add_co_u32 v55, vcc_lo, s14, v55
	v_add_co_ci_u32_e64 v56, null, s15, v56, vcc_lo
	v_add_co_u32 v9, vcc_lo, s12, v9
	v_add_co_ci_u32_e64 v10, null, s13, v10, vcc_lo
	global_load_dwordx2 v[57:58], v[57:58], off
	global_load_dwordx2 v[55:56], v[55:56], off
	s_clause 0x1
	global_load_dwordx2 v[9:10], v[9:10], off
	global_load_dwordx2 v[27:28], v[27:28], off
	v_cmp_ge_i32_e32 vcc_lo, v6, v16
	v_add_nc_u32_e32 v8, 0x78, v8
	s_or_b32 s0, vcc_lo, s0
	s_waitcnt vmcnt(15)
	v_fmac_f32_e32 v17, v25, v33
	v_fmac_f32_e32 v13, v26, v33
	v_fmac_f32_e32 v19, v20, v33
	v_fmac_f32_e32 v15, v21, v33
	v_fmac_f32_e32 v18, v29, v33
	v_fmac_f32_e32 v14, v30, v33
	v_fma_f32 v7, -v26, v34, v17
	v_fmac_f32_e32 v13, v25, v34
	v_fma_f32 v12, -v21, v34, v19
	v_fmac_f32_e32 v15, v20, v34
	;; [unrolled: 2-line block ×3, first 2 shown]
	s_waitcnt vmcnt(14)
	v_fmac_f32_e32 v7, v31, v35
	v_fmac_f32_e32 v13, v32, v35
	v_fma_f32 v7, -v32, v36, v7
	v_fmac_f32_e32 v13, v31, v36
	s_waitcnt vmcnt(13)
	v_fmac_f32_e32 v12, v37, v35
	v_fmac_f32_e32 v15, v38, v35
	s_waitcnt vmcnt(12)
	v_fmac_f32_e32 v17, v39, v35
	v_fmac_f32_e32 v14, v40, v35
	v_fma_f32 v12, -v38, v36, v12
	v_fmac_f32_e32 v15, v37, v36
	v_fma_f32 v17, -v40, v36, v17
	v_fmac_f32_e32 v14, v39, v36
	s_waitcnt vmcnt(10)
	v_fmac_f32_e32 v7, v41, v43
	v_fmac_f32_e32 v13, v42, v43
	s_waitcnt vmcnt(9)
	v_fmac_f32_e32 v12, v45, v43
	;; [unrolled: 3-line block ×3, first 2 shown]
	v_fmac_f32_e32 v14, v48, v43
	v_fma_f32 v7, -v42, v44, v7
	v_fmac_f32_e32 v13, v41, v44
	v_fma_f32 v12, -v46, v44, v12
	;; [unrolled: 2-line block ×3, first 2 shown]
	v_fmac_f32_e32 v14, v47, v44
	s_waitcnt vmcnt(5)
	v_fmac_f32_e32 v7, v49, v51
	v_fmac_f32_e32 v13, v50, v51
	;; [unrolled: 1-line block ×4, first 2 shown]
	s_waitcnt vmcnt(4)
	v_fmac_f32_e32 v17, v53, v51
	v_fmac_f32_e32 v14, v54, v51
	v_fma_f32 v7, -v50, v52, v7
	v_fmac_f32_e32 v13, v49, v52
	v_fma_f32 v12, -v23, v52, v12
	;; [unrolled: 2-line block ×3, first 2 shown]
	v_fmac_f32_e32 v14, v53, v52
	s_waitcnt vmcnt(2)
	v_fmac_f32_e32 v7, v57, v55
	v_fmac_f32_e32 v13, v58, v55
	s_waitcnt vmcnt(1)
	v_fmac_f32_e32 v12, v9, v55
	;; [unrolled: 3-line block ×3, first 2 shown]
	v_fmac_f32_e32 v14, v28, v55
	v_fma_f32 v17, -v58, v56, v7
	v_fmac_f32_e32 v13, v57, v56
	v_fma_f32 v19, -v10, v56, v12
	;; [unrolled: 2-line block ×3, first 2 shown]
	v_fmac_f32_e32 v14, v27, v56
	s_andn2_b32 exec_lo, exec_lo, s0
	s_cbranch_execnz .LBB90_13
; %bb.14:
	s_or_b32 exec_lo, exec_lo, s0
.LBB90_15:
	s_or_b32 exec_lo, exec_lo, s1
.LBB90_16:
	v_mbcnt_lo_u32_b32 v6, -1, 0
	v_xor_b32_e32 v7, 4, v6
	v_xor_b32_e32 v16, 2, v6
	v_cmp_gt_i32_e32 vcc_lo, 32, v7
	v_cndmask_b32_e32 v7, v6, v7, vcc_lo
	v_cmp_gt_i32_e32 vcc_lo, 32, v16
	v_lshlrev_b32_e32 v7, 2, v7
	v_cndmask_b32_e32 v16, v6, v16, vcc_lo
	ds_bpermute_b32 v8, v7, v17
	ds_bpermute_b32 v9, v7, v13
	;; [unrolled: 1-line block ×6, first 2 shown]
	v_lshlrev_b32_e32 v16, 2, v16
	s_waitcnt lgkmcnt(5)
	v_add_f32_e32 v8, v17, v8
	s_waitcnt lgkmcnt(4)
	v_add_f32_e32 v9, v13, v9
	;; [unrolled: 2-line block ×6, first 2 shown]
	ds_bpermute_b32 v7, v16, v8
	ds_bpermute_b32 v11, v16, v9
	ds_bpermute_b32 v12, v16, v10
	ds_bpermute_b32 v17, v16, v13
	ds_bpermute_b32 v18, v16, v15
	ds_bpermute_b32 v16, v16, v14
	v_xor_b32_e32 v19, 1, v6
	v_cmp_gt_i32_e32 vcc_lo, 32, v19
	v_cndmask_b32_e32 v6, v6, v19, vcc_lo
	v_cmp_eq_u32_e32 vcc_lo, 7, v0
	v_lshlrev_b32_e32 v19, 2, v6
	s_waitcnt lgkmcnt(5)
	v_add_f32_e32 v6, v8, v7
	s_waitcnt lgkmcnt(4)
	v_add_f32_e32 v9, v9, v11
	;; [unrolled: 2-line block ×6, first 2 shown]
	ds_bpermute_b32 v10, v19, v6
	ds_bpermute_b32 v15, v19, v9
	ds_bpermute_b32 v16, v19, v11
	ds_bpermute_b32 v17, v19, v12
	ds_bpermute_b32 v13, v19, v7
	ds_bpermute_b32 v14, v19, v8
	s_and_b32 exec_lo, exec_lo, vcc_lo
	s_cbranch_execz .LBB90_21
; %bb.17:
	s_load_dwordx2 s[2:3], s[4:5], 0x38
	v_cmp_eq_f32_e32 vcc_lo, 0, v3
	v_cmp_eq_f32_e64 s0, 0, v4
	s_waitcnt lgkmcnt(0)
	v_add_f32_e32 v0, v6, v10
	v_add_f32_e32 v10, v9, v15
	;; [unrolled: 1-line block ×6, first 2 shown]
	s_and_b32 s0, vcc_lo, s0
	s_and_saveexec_b32 s1, s0
	s_xor_b32 s0, exec_lo, s1
	s_cbranch_execz .LBB90_19
; %bb.18:
	v_lshl_add_u32 v3, v5, 1, v5
	v_mul_f32_e64 v11, v10, -v2
	v_mul_f32_e32 v12, v1, v10
	v_mul_f32_e64 v13, v9, -v2
	v_mul_f32_e32 v14, v1, v9
	v_ashrrev_i32_e32 v4, 31, v3
	v_mul_f32_e64 v9, v8, -v2
	v_mul_f32_e32 v10, v1, v8
	v_fmac_f32_e32 v11, v1, v0
	v_fmac_f32_e32 v12, v2, v0
	v_lshlrev_b64 v[3:4], 3, v[3:4]
	v_fmac_f32_e32 v13, v1, v6
	v_fmac_f32_e32 v14, v2, v6
	;; [unrolled: 1-line block ×4, first 2 shown]
                                        ; implicit-def: $vgpr5
                                        ; implicit-def: $vgpr0
                                        ; implicit-def: $vgpr6
                                        ; implicit-def: $vgpr7
                                        ; implicit-def: $vgpr8
                                        ; implicit-def: $vgpr1_vgpr2
	v_add_co_u32 v3, vcc_lo, s2, v3
	v_add_co_ci_u32_e64 v4, null, s3, v4, vcc_lo
	global_store_dwordx4 v[3:4], v[11:14], off
	global_store_dwordx2 v[3:4], v[9:10], off offset:16
                                        ; implicit-def: $vgpr10
                                        ; implicit-def: $vgpr9
                                        ; implicit-def: $vgpr3_vgpr4
.LBB90_19:
	s_andn2_saveexec_b32 s0, s0
	s_cbranch_execz .LBB90_21
; %bb.20:
	v_lshl_add_u32 v11, v5, 1, v5
	v_mul_f32_e64 v15, v10, -v2
	v_mul_f32_e32 v16, v1, v10
	v_mul_f32_e64 v10, v9, -v2
	v_mul_f32_e32 v18, v1, v9
	v_ashrrev_i32_e32 v12, 31, v11
	v_mul_f32_e64 v9, v8, -v2
	v_mul_f32_e32 v5, v1, v8
	v_fmac_f32_e32 v15, v1, v0
	v_fmac_f32_e32 v16, v2, v0
	v_lshlrev_b64 v[11:12], 3, v[11:12]
	v_fmac_f32_e32 v10, v1, v6
	v_fmac_f32_e32 v18, v2, v6
	;; [unrolled: 1-line block ×4, first 2 shown]
	v_add_co_u32 v19, vcc_lo, s2, v11
	v_add_co_ci_u32_e64 v20, null, s3, v12, vcc_lo
	s_clause 0x1
	global_load_dwordx4 v[11:14], v[19:20], off
	global_load_dwordx2 v[21:22], v[19:20], off offset:16
	s_waitcnt vmcnt(1)
	v_fmac_f32_e32 v15, v3, v11
	v_fmac_f32_e32 v16, v4, v11
	;; [unrolled: 1-line block ×4, first 2 shown]
	s_waitcnt vmcnt(0)
	v_fmac_f32_e32 v9, v3, v21
	v_fmac_f32_e32 v5, v4, v21
	v_fma_f32 v15, -v4, v12, v15
	v_fmac_f32_e32 v16, v3, v12
	v_fma_f32 v17, -v4, v14, v10
	;; [unrolled: 2-line block ×3, first 2 shown]
	v_fmac_f32_e32 v5, v3, v22
	global_store_dwordx4 v[19:20], v[15:18], off
	global_store_dwordx2 v[19:20], v[4:5], off offset:16
.LBB90_21:
	s_endpgm
	.section	.rodata,"a",@progbits
	.p2align	6, 0x0
	.amdhsa_kernel _ZN9rocsparseL19gebsrmvn_3xn_kernelILj128ELj5ELj8E21rocsparse_complex_numIfEEEvi20rocsparse_direction_NS_24const_host_device_scalarIT2_EEPKiS8_PKS5_SA_S6_PS5_21rocsparse_index_base_b
		.amdhsa_group_segment_fixed_size 0
		.amdhsa_private_segment_fixed_size 0
		.amdhsa_kernarg_size 72
		.amdhsa_user_sgpr_count 6
		.amdhsa_user_sgpr_private_segment_buffer 1
		.amdhsa_user_sgpr_dispatch_ptr 0
		.amdhsa_user_sgpr_queue_ptr 0
		.amdhsa_user_sgpr_kernarg_segment_ptr 1
		.amdhsa_user_sgpr_dispatch_id 0
		.amdhsa_user_sgpr_flat_scratch_init 0
		.amdhsa_user_sgpr_private_segment_size 0
		.amdhsa_wavefront_size32 1
		.amdhsa_uses_dynamic_stack 0
		.amdhsa_system_sgpr_private_segment_wavefront_offset 0
		.amdhsa_system_sgpr_workgroup_id_x 1
		.amdhsa_system_sgpr_workgroup_id_y 0
		.amdhsa_system_sgpr_workgroup_id_z 0
		.amdhsa_system_sgpr_workgroup_info 0
		.amdhsa_system_vgpr_workitem_id 0
		.amdhsa_next_free_vgpr 59
		.amdhsa_next_free_sgpr 16
		.amdhsa_reserve_vcc 1
		.amdhsa_reserve_flat_scratch 0
		.amdhsa_float_round_mode_32 0
		.amdhsa_float_round_mode_16_64 0
		.amdhsa_float_denorm_mode_32 3
		.amdhsa_float_denorm_mode_16_64 3
		.amdhsa_dx10_clamp 1
		.amdhsa_ieee_mode 1
		.amdhsa_fp16_overflow 0
		.amdhsa_workgroup_processor_mode 1
		.amdhsa_memory_ordered 1
		.amdhsa_forward_progress 1
		.amdhsa_shared_vgpr_count 0
		.amdhsa_exception_fp_ieee_invalid_op 0
		.amdhsa_exception_fp_denorm_src 0
		.amdhsa_exception_fp_ieee_div_zero 0
		.amdhsa_exception_fp_ieee_overflow 0
		.amdhsa_exception_fp_ieee_underflow 0
		.amdhsa_exception_fp_ieee_inexact 0
		.amdhsa_exception_int_div_zero 0
	.end_amdhsa_kernel
	.section	.text._ZN9rocsparseL19gebsrmvn_3xn_kernelILj128ELj5ELj8E21rocsparse_complex_numIfEEEvi20rocsparse_direction_NS_24const_host_device_scalarIT2_EEPKiS8_PKS5_SA_S6_PS5_21rocsparse_index_base_b,"axG",@progbits,_ZN9rocsparseL19gebsrmvn_3xn_kernelILj128ELj5ELj8E21rocsparse_complex_numIfEEEvi20rocsparse_direction_NS_24const_host_device_scalarIT2_EEPKiS8_PKS5_SA_S6_PS5_21rocsparse_index_base_b,comdat
.Lfunc_end90:
	.size	_ZN9rocsparseL19gebsrmvn_3xn_kernelILj128ELj5ELj8E21rocsparse_complex_numIfEEEvi20rocsparse_direction_NS_24const_host_device_scalarIT2_EEPKiS8_PKS5_SA_S6_PS5_21rocsparse_index_base_b, .Lfunc_end90-_ZN9rocsparseL19gebsrmvn_3xn_kernelILj128ELj5ELj8E21rocsparse_complex_numIfEEEvi20rocsparse_direction_NS_24const_host_device_scalarIT2_EEPKiS8_PKS5_SA_S6_PS5_21rocsparse_index_base_b
                                        ; -- End function
	.set _ZN9rocsparseL19gebsrmvn_3xn_kernelILj128ELj5ELj8E21rocsparse_complex_numIfEEEvi20rocsparse_direction_NS_24const_host_device_scalarIT2_EEPKiS8_PKS5_SA_S6_PS5_21rocsparse_index_base_b.num_vgpr, 59
	.set _ZN9rocsparseL19gebsrmvn_3xn_kernelILj128ELj5ELj8E21rocsparse_complex_numIfEEEvi20rocsparse_direction_NS_24const_host_device_scalarIT2_EEPKiS8_PKS5_SA_S6_PS5_21rocsparse_index_base_b.num_agpr, 0
	.set _ZN9rocsparseL19gebsrmvn_3xn_kernelILj128ELj5ELj8E21rocsparse_complex_numIfEEEvi20rocsparse_direction_NS_24const_host_device_scalarIT2_EEPKiS8_PKS5_SA_S6_PS5_21rocsparse_index_base_b.numbered_sgpr, 16
	.set _ZN9rocsparseL19gebsrmvn_3xn_kernelILj128ELj5ELj8E21rocsparse_complex_numIfEEEvi20rocsparse_direction_NS_24const_host_device_scalarIT2_EEPKiS8_PKS5_SA_S6_PS5_21rocsparse_index_base_b.num_named_barrier, 0
	.set _ZN9rocsparseL19gebsrmvn_3xn_kernelILj128ELj5ELj8E21rocsparse_complex_numIfEEEvi20rocsparse_direction_NS_24const_host_device_scalarIT2_EEPKiS8_PKS5_SA_S6_PS5_21rocsparse_index_base_b.private_seg_size, 0
	.set _ZN9rocsparseL19gebsrmvn_3xn_kernelILj128ELj5ELj8E21rocsparse_complex_numIfEEEvi20rocsparse_direction_NS_24const_host_device_scalarIT2_EEPKiS8_PKS5_SA_S6_PS5_21rocsparse_index_base_b.uses_vcc, 1
	.set _ZN9rocsparseL19gebsrmvn_3xn_kernelILj128ELj5ELj8E21rocsparse_complex_numIfEEEvi20rocsparse_direction_NS_24const_host_device_scalarIT2_EEPKiS8_PKS5_SA_S6_PS5_21rocsparse_index_base_b.uses_flat_scratch, 0
	.set _ZN9rocsparseL19gebsrmvn_3xn_kernelILj128ELj5ELj8E21rocsparse_complex_numIfEEEvi20rocsparse_direction_NS_24const_host_device_scalarIT2_EEPKiS8_PKS5_SA_S6_PS5_21rocsparse_index_base_b.has_dyn_sized_stack, 0
	.set _ZN9rocsparseL19gebsrmvn_3xn_kernelILj128ELj5ELj8E21rocsparse_complex_numIfEEEvi20rocsparse_direction_NS_24const_host_device_scalarIT2_EEPKiS8_PKS5_SA_S6_PS5_21rocsparse_index_base_b.has_recursion, 0
	.set _ZN9rocsparseL19gebsrmvn_3xn_kernelILj128ELj5ELj8E21rocsparse_complex_numIfEEEvi20rocsparse_direction_NS_24const_host_device_scalarIT2_EEPKiS8_PKS5_SA_S6_PS5_21rocsparse_index_base_b.has_indirect_call, 0
	.section	.AMDGPU.csdata,"",@progbits
; Kernel info:
; codeLenInByte = 3500
; TotalNumSgprs: 18
; NumVgprs: 59
; ScratchSize: 0
; MemoryBound: 0
; FloatMode: 240
; IeeeMode: 1
; LDSByteSize: 0 bytes/workgroup (compile time only)
; SGPRBlocks: 0
; VGPRBlocks: 7
; NumSGPRsForWavesPerEU: 18
; NumVGPRsForWavesPerEU: 59
; Occupancy: 16
; WaveLimiterHint : 1
; COMPUTE_PGM_RSRC2:SCRATCH_EN: 0
; COMPUTE_PGM_RSRC2:USER_SGPR: 6
; COMPUTE_PGM_RSRC2:TRAP_HANDLER: 0
; COMPUTE_PGM_RSRC2:TGID_X_EN: 1
; COMPUTE_PGM_RSRC2:TGID_Y_EN: 0
; COMPUTE_PGM_RSRC2:TGID_Z_EN: 0
; COMPUTE_PGM_RSRC2:TIDIG_COMP_CNT: 0
	.section	.text._ZN9rocsparseL19gebsrmvn_3xn_kernelILj128ELj5ELj16E21rocsparse_complex_numIfEEEvi20rocsparse_direction_NS_24const_host_device_scalarIT2_EEPKiS8_PKS5_SA_S6_PS5_21rocsparse_index_base_b,"axG",@progbits,_ZN9rocsparseL19gebsrmvn_3xn_kernelILj128ELj5ELj16E21rocsparse_complex_numIfEEEvi20rocsparse_direction_NS_24const_host_device_scalarIT2_EEPKiS8_PKS5_SA_S6_PS5_21rocsparse_index_base_b,comdat
	.globl	_ZN9rocsparseL19gebsrmvn_3xn_kernelILj128ELj5ELj16E21rocsparse_complex_numIfEEEvi20rocsparse_direction_NS_24const_host_device_scalarIT2_EEPKiS8_PKS5_SA_S6_PS5_21rocsparse_index_base_b ; -- Begin function _ZN9rocsparseL19gebsrmvn_3xn_kernelILj128ELj5ELj16E21rocsparse_complex_numIfEEEvi20rocsparse_direction_NS_24const_host_device_scalarIT2_EEPKiS8_PKS5_SA_S6_PS5_21rocsparse_index_base_b
	.p2align	8
	.type	_ZN9rocsparseL19gebsrmvn_3xn_kernelILj128ELj5ELj16E21rocsparse_complex_numIfEEEvi20rocsparse_direction_NS_24const_host_device_scalarIT2_EEPKiS8_PKS5_SA_S6_PS5_21rocsparse_index_base_b,@function
_ZN9rocsparseL19gebsrmvn_3xn_kernelILj128ELj5ELj16E21rocsparse_complex_numIfEEEvi20rocsparse_direction_NS_24const_host_device_scalarIT2_EEPKiS8_PKS5_SA_S6_PS5_21rocsparse_index_base_b: ; @_ZN9rocsparseL19gebsrmvn_3xn_kernelILj128ELj5ELj16E21rocsparse_complex_numIfEEEvi20rocsparse_direction_NS_24const_host_device_scalarIT2_EEPKiS8_PKS5_SA_S6_PS5_21rocsparse_index_base_b
; %bb.0:
	s_clause 0x2
	s_load_dwordx2 s[2:3], s[4:5], 0x40
	s_load_dwordx2 s[0:1], s[4:5], 0x8
	;; [unrolled: 1-line block ×3, first 2 shown]
	s_add_u32 s7, s4, 8
	s_addc_u32 s10, s5, 0
	s_add_u32 s11, s4, 48
	s_addc_u32 s12, s5, 0
	s_waitcnt lgkmcnt(0)
	s_bitcmp1_b32 s3, 0
	s_cselect_b32 s0, s7, s0
	s_cselect_b32 s1, s10, s1
	v_mov_b32_e32 v1, s0
	v_mov_b32_e32 v2, s1
	s_cselect_b32 s0, s11, s8
	s_cselect_b32 s1, s12, s9
	v_mov_b32_e32 v3, s0
	v_mov_b32_e32 v4, s1
	flat_load_dwordx2 v[1:2], v[1:2]
	flat_load_dwordx2 v[3:4], v[3:4]
	s_waitcnt vmcnt(1) lgkmcnt(1)
	v_cmp_eq_f32_e32 vcc_lo, 0, v1
	v_cmp_eq_f32_e64 s0, 0, v2
	s_and_b32 s3, vcc_lo, s0
	s_mov_b32 s0, -1
	s_and_saveexec_b32 s1, s3
	s_cbranch_execz .LBB91_2
; %bb.1:
	s_waitcnt vmcnt(0) lgkmcnt(0)
	v_cmp_neq_f32_e32 vcc_lo, 1.0, v3
	v_cmp_neq_f32_e64 s0, 0, v4
	s_or_b32 s0, vcc_lo, s0
	s_orn2_b32 s0, s0, exec_lo
.LBB91_2:
	s_or_b32 exec_lo, exec_lo, s1
	s_and_saveexec_b32 s1, s0
	s_cbranch_execz .LBB91_21
; %bb.3:
	s_load_dwordx2 s[0:1], s[4:5], 0x0
	v_lshrrev_b32_e32 v5, 4, v0
	v_lshl_or_b32 v5, s6, 3, v5
	s_waitcnt lgkmcnt(0)
	v_cmp_gt_i32_e32 vcc_lo, s0, v5
	s_and_b32 exec_lo, exec_lo, vcc_lo
	s_cbranch_execz .LBB91_21
; %bb.4:
	s_load_dwordx8 s[8:15], s[4:5], 0x10
	v_ashrrev_i32_e32 v6, 31, v5
	v_and_b32_e32 v0, 15, v0
	s_cmp_lg_u32 s1, 0
	v_lshlrev_b64 v[6:7], 2, v[5:6]
	s_waitcnt lgkmcnt(0)
	v_add_co_u32 v6, vcc_lo, s8, v6
	v_add_co_ci_u32_e64 v7, null, s9, v7, vcc_lo
	global_load_dwordx2 v[6:7], v[6:7], off
	s_waitcnt vmcnt(0)
	v_subrev_nc_u32_e32 v6, s2, v6
	v_subrev_nc_u32_e32 v16, s2, v7
	v_add_nc_u32_e32 v6, v6, v0
	v_cmp_lt_i32_e64 s0, v6, v16
	s_cbranch_scc0 .LBB91_10
; %bb.5:
	v_mov_b32_e32 v13, 0
	v_mov_b32_e32 v17, 0
	;; [unrolled: 1-line block ×6, first 2 shown]
	s_and_saveexec_b32 s1, s0
	s_cbranch_execz .LBB91_9
; %bb.6:
	v_mad_u64_u32 v[7:8], null, v6, 15, 14
	v_mov_b32_e32 v10, 0
	v_mov_b32_e32 v11, v6
	;; [unrolled: 1-line block ×8, first 2 shown]
	s_mov_b32 s3, 0
.LBB91_7:                               ; =>This Inner Loop Header: Depth=1
	v_ashrrev_i32_e32 v12, 31, v11
	v_mov_b32_e32 v21, v10
	v_lshlrev_b64 v[8:9], 2, v[11:12]
	v_add_nc_u32_e32 v11, 16, v11
	v_add_co_u32 v8, vcc_lo, s10, v8
	v_add_co_ci_u32_e64 v9, null, s11, v9, vcc_lo
	global_load_dword v12, v[8:9], off
	v_add_nc_u32_e32 v9, -14, v7
	v_mov_b32_e32 v8, v10
	v_lshlrev_b64 v[22:23], 3, v[9:10]
	v_add_nc_u32_e32 v9, -13, v7
	v_lshlrev_b64 v[24:25], 3, v[7:8]
	v_lshlrev_b64 v[26:27], 3, v[9:10]
	v_add_nc_u32_e32 v9, -12, v7
	v_add_co_u32 v22, vcc_lo, s12, v22
	v_add_co_ci_u32_e64 v23, null, s13, v23, vcc_lo
	v_lshlrev_b64 v[28:29], 3, v[9:10]
	v_add_nc_u32_e32 v9, -11, v7
	v_add_co_u32 v24, vcc_lo, s12, v24
	v_add_co_ci_u32_e64 v25, null, s13, v25, vcc_lo
	v_lshlrev_b64 v[8:9], 3, v[9:10]
	v_add_co_u32 v26, vcc_lo, s12, v26
	v_add_co_ci_u32_e64 v27, null, s13, v27, vcc_lo
	v_add_co_u32 v28, vcc_lo, s12, v28
	v_add_co_ci_u32_e64 v29, null, s13, v29, vcc_lo
	;; [unrolled: 2-line block ×3, first 2 shown]
	s_clause 0x3
	global_load_dwordx2 v[22:23], v[22:23], off
	global_load_dwordx2 v[26:27], v[26:27], off
	;; [unrolled: 1-line block ×4, first 2 shown]
	s_waitcnt vmcnt(4)
	v_subrev_nc_u32_e32 v8, s2, v12
	v_lshl_add_u32 v20, v8, 2, v8
	v_add_nc_u32_e32 v9, 1, v20
	v_lshlrev_b64 v[32:33], 3, v[20:21]
	v_lshlrev_b64 v[34:35], 3, v[9:10]
	v_add_nc_u32_e32 v9, -10, v7
	v_add_co_u32 v32, vcc_lo, s14, v32
	v_add_co_ci_u32_e64 v33, null, s15, v33, vcc_lo
	v_lshlrev_b64 v[36:37], 3, v[9:10]
	v_add_nc_u32_e32 v9, -9, v7
	v_add_co_u32 v34, vcc_lo, s14, v34
	v_add_co_ci_u32_e64 v35, null, s15, v35, vcc_lo
	v_lshlrev_b64 v[38:39], 3, v[9:10]
	v_add_nc_u32_e32 v9, -8, v7
	v_add_co_u32 v36, vcc_lo, s12, v36
	s_clause 0x1
	global_load_dwordx2 v[32:33], v[32:33], off
	global_load_dwordx2 v[34:35], v[34:35], off
	v_lshlrev_b64 v[40:41], 3, v[9:10]
	v_add_nc_u32_e32 v9, 2, v20
	v_add_co_ci_u32_e64 v37, null, s13, v37, vcc_lo
	v_add_co_u32 v38, vcc_lo, s12, v38
	v_lshlrev_b64 v[42:43], 3, v[9:10]
	v_add_nc_u32_e32 v9, -7, v7
	v_add_co_ci_u32_e64 v39, null, s13, v39, vcc_lo
	v_add_co_u32 v40, vcc_lo, s12, v40
	v_lshlrev_b64 v[44:45], 3, v[9:10]
	v_add_nc_u32_e32 v9, -6, v7
	;; [unrolled: 4-line block ×3, first 2 shown]
	v_add_co_ci_u32_e64 v43, null, s15, v43, vcc_lo
	v_add_co_u32 v44, vcc_lo, s12, v44
	v_lshlrev_b64 v[48:49], 3, v[9:10]
	v_add_nc_u32_e32 v9, 3, v20
	v_add_co_ci_u32_e64 v45, null, s13, v45, vcc_lo
	v_add_co_u32 v46, vcc_lo, s12, v46
	v_lshlrev_b64 v[50:51], 3, v[9:10]
	v_add_nc_u32_e32 v9, -4, v7
	s_clause 0x2
	global_load_dwordx2 v[36:37], v[36:37], off
	global_load_dwordx2 v[38:39], v[38:39], off
	;; [unrolled: 1-line block ×3, first 2 shown]
	v_add_co_ci_u32_e64 v47, null, s13, v47, vcc_lo
	v_lshlrev_b64 v[52:53], 3, v[9:10]
	v_add_nc_u32_e32 v9, -3, v7
	v_add_co_u32 v48, vcc_lo, s12, v48
	v_add_co_ci_u32_e64 v49, null, s13, v49, vcc_lo
	v_add_co_u32 v50, vcc_lo, s14, v50
	v_lshlrev_b64 v[54:55], 3, v[9:10]
	v_add_nc_u32_e32 v9, -2, v7
	v_add_co_ci_u32_e64 v51, null, s15, v51, vcc_lo
	v_add_co_u32 v52, vcc_lo, s12, v52
	v_add_co_ci_u32_e64 v53, null, s13, v53, vcc_lo
	v_lshlrev_b64 v[56:57], 3, v[9:10]
	v_add_nc_u32_e32 v9, 4, v20
	global_load_dwordx2 v[42:43], v[42:43], off
	s_clause 0x3
	global_load_dwordx2 v[44:45], v[44:45], off
	global_load_dwordx2 v[46:47], v[46:47], off
	;; [unrolled: 1-line block ×4, first 2 shown]
	v_add_co_u32 v52, vcc_lo, s12, v54
	v_add_co_ci_u32_e64 v53, null, s13, v55, vcc_lo
	v_lshlrev_b64 v[54:55], 3, v[9:10]
	v_add_nc_u32_e32 v9, -1, v7
	global_load_dwordx2 v[50:51], v[50:51], off
	v_add_co_u32 v56, vcc_lo, s12, v56
	global_load_dwordx2 v[52:53], v[52:53], off
	v_lshlrev_b64 v[8:9], 3, v[9:10]
	v_add_co_ci_u32_e64 v57, null, s13, v57, vcc_lo
	v_add_co_u32 v54, vcc_lo, s14, v54
	v_add_co_ci_u32_e64 v55, null, s15, v55, vcc_lo
	v_add_co_u32 v8, vcc_lo, s12, v8
	v_add_co_ci_u32_e64 v9, null, s13, v9, vcc_lo
	global_load_dwordx2 v[56:57], v[56:57], off
	global_load_dwordx2 v[54:55], v[54:55], off
	s_clause 0x1
	global_load_dwordx2 v[8:9], v[8:9], off
	global_load_dwordx2 v[24:25], v[24:25], off
	v_cmp_ge_i32_e32 vcc_lo, v11, v16
	v_add_nc_u32_e32 v7, 0xf0, v7
	s_or_b32 s3, vcc_lo, s3
	s_waitcnt vmcnt(15)
	v_fmac_f32_e32 v17, v22, v32
	v_fmac_f32_e32 v13, v23, v32
	;; [unrolled: 1-line block ×6, first 2 shown]
	v_fma_f32 v12, -v23, v33, v17
	v_fmac_f32_e32 v13, v22, v33
	v_fma_f32 v17, -v27, v33, v19
	v_fmac_f32_e32 v15, v26, v33
	;; [unrolled: 2-line block ×3, first 2 shown]
	s_waitcnt vmcnt(14)
	v_fmac_f32_e32 v12, v30, v34
	v_fmac_f32_e32 v13, v31, v34
	v_fma_f32 v12, -v31, v35, v12
	v_fmac_f32_e32 v13, v30, v35
	s_waitcnt vmcnt(13)
	v_fmac_f32_e32 v17, v36, v34
	v_fmac_f32_e32 v15, v37, v34
	s_waitcnt vmcnt(12)
	v_fmac_f32_e32 v18, v38, v34
	v_fmac_f32_e32 v14, v39, v34
	v_fma_f32 v17, -v37, v35, v17
	v_fmac_f32_e32 v15, v36, v35
	v_fma_f32 v18, -v39, v35, v18
	v_fmac_f32_e32 v14, v38, v35
	s_waitcnt vmcnt(10)
	v_fmac_f32_e32 v12, v40, v42
	v_fmac_f32_e32 v13, v41, v42
	s_waitcnt vmcnt(9)
	v_fmac_f32_e32 v17, v44, v42
	;; [unrolled: 3-line block ×3, first 2 shown]
	v_fmac_f32_e32 v14, v47, v42
	v_fma_f32 v12, -v41, v43, v12
	v_fmac_f32_e32 v13, v40, v43
	v_fma_f32 v17, -v45, v43, v17
	;; [unrolled: 2-line block ×3, first 2 shown]
	v_fmac_f32_e32 v14, v46, v43
	s_waitcnt vmcnt(5)
	v_fmac_f32_e32 v12, v48, v50
	v_fmac_f32_e32 v13, v49, v50
	;; [unrolled: 1-line block ×4, first 2 shown]
	s_waitcnt vmcnt(4)
	v_fmac_f32_e32 v18, v52, v50
	v_fmac_f32_e32 v14, v53, v50
	v_fma_f32 v12, -v49, v51, v12
	v_fmac_f32_e32 v13, v48, v51
	v_fma_f32 v19, -v21, v51, v17
	;; [unrolled: 2-line block ×3, first 2 shown]
	v_fmac_f32_e32 v14, v52, v51
	s_waitcnt vmcnt(2)
	v_fmac_f32_e32 v12, v56, v54
	v_fmac_f32_e32 v13, v57, v54
	s_waitcnt vmcnt(1)
	v_fmac_f32_e32 v19, v8, v54
	;; [unrolled: 3-line block ×3, first 2 shown]
	v_fmac_f32_e32 v14, v25, v54
	v_fma_f32 v17, -v57, v55, v12
	v_fmac_f32_e32 v13, v56, v55
	v_fma_f32 v19, -v9, v55, v19
	v_fmac_f32_e32 v15, v8, v55
	v_fma_f32 v18, -v25, v55, v18
	v_fmac_f32_e32 v14, v24, v55
	s_andn2_b32 exec_lo, exec_lo, s3
	s_cbranch_execnz .LBB91_7
; %bb.8:
	s_or_b32 exec_lo, exec_lo, s3
.LBB91_9:
	s_or_b32 exec_lo, exec_lo, s1
	s_cbranch_execz .LBB91_11
	s_branch .LBB91_16
.LBB91_10:
                                        ; implicit-def: $vgpr13
                                        ; implicit-def: $vgpr17
                                        ; implicit-def: $vgpr18
                                        ; implicit-def: $vgpr14
                                        ; implicit-def: $vgpr19
                                        ; implicit-def: $vgpr15
.LBB91_11:
	v_mov_b32_e32 v13, 0
	v_mov_b32_e32 v17, 0
	;; [unrolled: 1-line block ×6, first 2 shown]
	s_and_saveexec_b32 s1, s0
	s_cbranch_execz .LBB91_15
; %bb.12:
	v_mad_u64_u32 v[8:9], null, v6, 15, 14
	v_mov_b32_e32 v11, 0
	v_mov_b32_e32 v13, 0
	;; [unrolled: 1-line block ×7, first 2 shown]
	s_mov_b32 s0, 0
.LBB91_13:                              ; =>This Inner Loop Header: Depth=1
	v_ashrrev_i32_e32 v7, 31, v6
	v_add_nc_u32_e32 v20, -9, v8
	v_mov_b32_e32 v21, v11
	v_add_nc_u32_e32 v22, -4, v8
	v_mov_b32_e32 v23, v11
	v_lshlrev_b64 v[9:10], 2, v[6:7]
	v_mov_b32_e32 v24, v11
	v_lshlrev_b64 v[20:21], 3, v[20:21]
	v_add_nc_u32_e32 v6, 16, v6
	v_lshlrev_b64 v[22:23], 3, v[22:23]
	v_add_co_u32 v9, vcc_lo, s10, v9
	v_add_co_ci_u32_e64 v10, null, s11, v10, vcc_lo
	global_load_dword v7, v[9:10], off
	v_add_nc_u32_e32 v10, -14, v8
	v_mov_b32_e32 v9, v11
	v_lshlrev_b64 v[25:26], 3, v[10:11]
	v_add_nc_u32_e32 v10, -13, v8
	v_lshlrev_b64 v[27:28], 3, v[8:9]
	v_lshlrev_b64 v[9:10], 3, v[10:11]
	v_add_co_u32 v25, vcc_lo, s12, v25
	v_add_co_ci_u32_e64 v26, null, s13, v26, vcc_lo
	v_add_co_u32 v20, vcc_lo, s12, v20
	v_add_co_ci_u32_e64 v21, null, s13, v21, vcc_lo
	;; [unrolled: 2-line block ×5, first 2 shown]
	s_clause 0x3
	global_load_dwordx2 v[25:26], v[25:26], off
	global_load_dwordx2 v[20:21], v[20:21], off
	;; [unrolled: 1-line block ×4, first 2 shown]
	s_waitcnt vmcnt(4)
	v_subrev_nc_u32_e32 v7, s2, v7
	v_lshl_add_u32 v23, v7, 2, v7
	v_add_nc_u32_e32 v10, 1, v23
	v_lshlrev_b64 v[33:34], 3, v[23:24]
	v_lshlrev_b64 v[35:36], 3, v[10:11]
	v_add_nc_u32_e32 v10, -8, v8
	v_add_co_u32 v33, vcc_lo, s14, v33
	v_add_co_ci_u32_e64 v34, null, s15, v34, vcc_lo
	v_lshlrev_b64 v[37:38], 3, v[10:11]
	v_add_nc_u32_e32 v10, -3, v8
	v_add_co_u32 v35, vcc_lo, s14, v35
	v_add_co_ci_u32_e64 v36, null, s15, v36, vcc_lo
	v_lshlrev_b64 v[39:40], 3, v[10:11]
	v_add_nc_u32_e32 v10, -12, v8
	v_add_co_u32 v37, vcc_lo, s12, v37
	s_clause 0x1
	global_load_dwordx2 v[33:34], v[33:34], off
	global_load_dwordx2 v[35:36], v[35:36], off
	v_lshlrev_b64 v[41:42], 3, v[10:11]
	v_add_nc_u32_e32 v10, 2, v23
	v_add_co_ci_u32_e64 v38, null, s13, v38, vcc_lo
	v_add_co_u32 v39, vcc_lo, s12, v39
	v_lshlrev_b64 v[43:44], 3, v[10:11]
	v_add_nc_u32_e32 v10, -7, v8
	v_add_co_ci_u32_e64 v40, null, s13, v40, vcc_lo
	v_add_co_u32 v41, vcc_lo, s12, v41
	v_lshlrev_b64 v[45:46], 3, v[10:11]
	v_add_nc_u32_e32 v10, -2, v8
	;; [unrolled: 4-line block ×3, first 2 shown]
	v_add_co_ci_u32_e64 v44, null, s15, v44, vcc_lo
	v_add_co_u32 v45, vcc_lo, s12, v45
	v_lshlrev_b64 v[49:50], 3, v[10:11]
	v_add_nc_u32_e32 v10, 3, v23
	v_add_co_ci_u32_e64 v46, null, s13, v46, vcc_lo
	v_add_co_u32 v47, vcc_lo, s12, v47
	v_lshlrev_b64 v[51:52], 3, v[10:11]
	v_add_nc_u32_e32 v10, -6, v8
	s_clause 0x2
	global_load_dwordx2 v[37:38], v[37:38], off
	global_load_dwordx2 v[39:40], v[39:40], off
	;; [unrolled: 1-line block ×3, first 2 shown]
	v_add_co_ci_u32_e64 v48, null, s13, v48, vcc_lo
	v_lshlrev_b64 v[53:54], 3, v[10:11]
	v_add_nc_u32_e32 v10, -1, v8
	v_add_co_u32 v49, vcc_lo, s12, v49
	v_add_co_ci_u32_e64 v50, null, s13, v50, vcc_lo
	v_add_co_u32 v51, vcc_lo, s14, v51
	v_lshlrev_b64 v[55:56], 3, v[10:11]
	v_add_nc_u32_e32 v10, -10, v8
	v_add_co_ci_u32_e64 v52, null, s15, v52, vcc_lo
	v_add_co_u32 v53, vcc_lo, s12, v53
	v_add_co_ci_u32_e64 v54, null, s13, v54, vcc_lo
	v_lshlrev_b64 v[57:58], 3, v[10:11]
	v_add_nc_u32_e32 v10, 4, v23
	global_load_dwordx2 v[43:44], v[43:44], off
	s_clause 0x3
	global_load_dwordx2 v[45:46], v[45:46], off
	global_load_dwordx2 v[47:48], v[47:48], off
	global_load_dwordx2 v[49:50], v[49:50], off
	global_load_dwordx2 v[22:23], v[53:54], off
	v_add_co_u32 v53, vcc_lo, s12, v55
	v_add_co_ci_u32_e64 v54, null, s13, v56, vcc_lo
	v_lshlrev_b64 v[55:56], 3, v[10:11]
	v_add_nc_u32_e32 v10, -5, v8
	global_load_dwordx2 v[51:52], v[51:52], off
	v_add_co_u32 v57, vcc_lo, s12, v57
	global_load_dwordx2 v[53:54], v[53:54], off
	v_lshlrev_b64 v[9:10], 3, v[10:11]
	v_add_co_ci_u32_e64 v58, null, s13, v58, vcc_lo
	v_add_co_u32 v55, vcc_lo, s14, v55
	v_add_co_ci_u32_e64 v56, null, s15, v56, vcc_lo
	v_add_co_u32 v9, vcc_lo, s12, v9
	v_add_co_ci_u32_e64 v10, null, s13, v10, vcc_lo
	global_load_dwordx2 v[57:58], v[57:58], off
	global_load_dwordx2 v[55:56], v[55:56], off
	s_clause 0x1
	global_load_dwordx2 v[9:10], v[9:10], off
	global_load_dwordx2 v[27:28], v[27:28], off
	v_cmp_ge_i32_e32 vcc_lo, v6, v16
	v_add_nc_u32_e32 v8, 0xf0, v8
	s_or_b32 s0, vcc_lo, s0
	s_waitcnt vmcnt(15)
	v_fmac_f32_e32 v17, v25, v33
	v_fmac_f32_e32 v13, v26, v33
	;; [unrolled: 1-line block ×6, first 2 shown]
	v_fma_f32 v7, -v26, v34, v17
	v_fmac_f32_e32 v13, v25, v34
	v_fma_f32 v12, -v21, v34, v19
	v_fmac_f32_e32 v15, v20, v34
	;; [unrolled: 2-line block ×3, first 2 shown]
	s_waitcnt vmcnt(14)
	v_fmac_f32_e32 v7, v31, v35
	v_fmac_f32_e32 v13, v32, v35
	v_fma_f32 v7, -v32, v36, v7
	v_fmac_f32_e32 v13, v31, v36
	s_waitcnt vmcnt(13)
	v_fmac_f32_e32 v12, v37, v35
	v_fmac_f32_e32 v15, v38, v35
	s_waitcnt vmcnt(12)
	v_fmac_f32_e32 v17, v39, v35
	v_fmac_f32_e32 v14, v40, v35
	v_fma_f32 v12, -v38, v36, v12
	v_fmac_f32_e32 v15, v37, v36
	v_fma_f32 v17, -v40, v36, v17
	v_fmac_f32_e32 v14, v39, v36
	s_waitcnt vmcnt(10)
	v_fmac_f32_e32 v7, v41, v43
	v_fmac_f32_e32 v13, v42, v43
	s_waitcnt vmcnt(9)
	v_fmac_f32_e32 v12, v45, v43
	;; [unrolled: 3-line block ×3, first 2 shown]
	v_fmac_f32_e32 v14, v48, v43
	v_fma_f32 v7, -v42, v44, v7
	v_fmac_f32_e32 v13, v41, v44
	v_fma_f32 v12, -v46, v44, v12
	;; [unrolled: 2-line block ×3, first 2 shown]
	v_fmac_f32_e32 v14, v47, v44
	s_waitcnt vmcnt(5)
	v_fmac_f32_e32 v7, v49, v51
	v_fmac_f32_e32 v13, v50, v51
	;; [unrolled: 1-line block ×4, first 2 shown]
	s_waitcnt vmcnt(4)
	v_fmac_f32_e32 v17, v53, v51
	v_fmac_f32_e32 v14, v54, v51
	v_fma_f32 v7, -v50, v52, v7
	v_fmac_f32_e32 v13, v49, v52
	v_fma_f32 v12, -v23, v52, v12
	v_fmac_f32_e32 v15, v22, v52
	v_fma_f32 v18, -v54, v52, v17
	v_fmac_f32_e32 v14, v53, v52
	s_waitcnt vmcnt(2)
	v_fmac_f32_e32 v7, v57, v55
	v_fmac_f32_e32 v13, v58, v55
	s_waitcnt vmcnt(1)
	v_fmac_f32_e32 v12, v9, v55
	;; [unrolled: 3-line block ×3, first 2 shown]
	v_fmac_f32_e32 v14, v28, v55
	v_fma_f32 v17, -v58, v56, v7
	v_fmac_f32_e32 v13, v57, v56
	v_fma_f32 v19, -v10, v56, v12
	;; [unrolled: 2-line block ×3, first 2 shown]
	v_fmac_f32_e32 v14, v27, v56
	s_andn2_b32 exec_lo, exec_lo, s0
	s_cbranch_execnz .LBB91_13
; %bb.14:
	s_or_b32 exec_lo, exec_lo, s0
.LBB91_15:
	s_or_b32 exec_lo, exec_lo, s1
.LBB91_16:
	v_mbcnt_lo_u32_b32 v6, -1, 0
	v_xor_b32_e32 v7, 8, v6
	v_xor_b32_e32 v16, 4, v6
	v_cmp_gt_i32_e32 vcc_lo, 32, v7
	v_cndmask_b32_e32 v7, v6, v7, vcc_lo
	v_cmp_gt_i32_e32 vcc_lo, 32, v16
	v_lshlrev_b32_e32 v7, 2, v7
	v_cndmask_b32_e32 v16, v6, v16, vcc_lo
	ds_bpermute_b32 v8, v7, v17
	ds_bpermute_b32 v9, v7, v13
	;; [unrolled: 1-line block ×6, first 2 shown]
	v_lshlrev_b32_e32 v16, 2, v16
	s_waitcnt lgkmcnt(5)
	v_add_f32_e32 v8, v17, v8
	s_waitcnt lgkmcnt(4)
	v_add_f32_e32 v9, v13, v9
	s_waitcnt lgkmcnt(3)
	v_add_f32_e32 v10, v19, v10
	s_waitcnt lgkmcnt(2)
	v_add_f32_e32 v11, v15, v11
	s_waitcnt lgkmcnt(1)
	v_add_f32_e32 v12, v18, v12
	s_waitcnt lgkmcnt(0)
	v_add_f32_e32 v7, v14, v7
	ds_bpermute_b32 v13, v16, v8
	ds_bpermute_b32 v14, v16, v9
	;; [unrolled: 1-line block ×6, first 2 shown]
	v_xor_b32_e32 v19, 2, v6
	v_cmp_gt_i32_e32 vcc_lo, 32, v19
	v_cndmask_b32_e32 v19, v6, v19, vcc_lo
	s_waitcnt lgkmcnt(5)
	v_add_f32_e32 v8, v8, v13
	v_lshlrev_b32_e32 v19, 2, v19
	s_waitcnt lgkmcnt(4)
	v_add_f32_e32 v9, v9, v14
	s_waitcnt lgkmcnt(3)
	v_add_f32_e32 v10, v10, v15
	;; [unrolled: 2-line block ×5, first 2 shown]
	ds_bpermute_b32 v7, v19, v8
	ds_bpermute_b32 v11, v19, v9
	;; [unrolled: 1-line block ×6, first 2 shown]
	v_xor_b32_e32 v19, 1, v6
	v_cmp_gt_i32_e32 vcc_lo, 32, v19
	v_cndmask_b32_e32 v6, v6, v19, vcc_lo
	v_cmp_eq_u32_e32 vcc_lo, 15, v0
	v_lshlrev_b32_e32 v19, 2, v6
	s_waitcnt lgkmcnt(5)
	v_add_f32_e32 v6, v8, v7
	s_waitcnt lgkmcnt(4)
	v_add_f32_e32 v9, v9, v11
	;; [unrolled: 2-line block ×6, first 2 shown]
	ds_bpermute_b32 v10, v19, v6
	ds_bpermute_b32 v15, v19, v9
	;; [unrolled: 1-line block ×6, first 2 shown]
	s_and_b32 exec_lo, exec_lo, vcc_lo
	s_cbranch_execz .LBB91_21
; %bb.17:
	s_load_dwordx2 s[2:3], s[4:5], 0x38
	v_cmp_eq_f32_e32 vcc_lo, 0, v3
	v_cmp_eq_f32_e64 s0, 0, v4
	s_waitcnt lgkmcnt(0)
	v_add_f32_e32 v0, v6, v10
	v_add_f32_e32 v10, v9, v15
	;; [unrolled: 1-line block ×6, first 2 shown]
	s_and_b32 s0, vcc_lo, s0
	s_and_saveexec_b32 s1, s0
	s_xor_b32 s0, exec_lo, s1
	s_cbranch_execz .LBB91_19
; %bb.18:
	v_lshl_add_u32 v3, v5, 1, v5
	v_mul_f32_e64 v11, v10, -v2
	v_mul_f32_e32 v12, v1, v10
	v_mul_f32_e64 v13, v9, -v2
	v_mul_f32_e32 v14, v1, v9
	v_ashrrev_i32_e32 v4, 31, v3
	v_mul_f32_e64 v9, v8, -v2
	v_mul_f32_e32 v10, v1, v8
	v_fmac_f32_e32 v11, v1, v0
	v_fmac_f32_e32 v12, v2, v0
	v_lshlrev_b64 v[3:4], 3, v[3:4]
	v_fmac_f32_e32 v13, v1, v6
	v_fmac_f32_e32 v14, v2, v6
	;; [unrolled: 1-line block ×4, first 2 shown]
                                        ; implicit-def: $vgpr5
                                        ; implicit-def: $vgpr0
                                        ; implicit-def: $vgpr6
                                        ; implicit-def: $vgpr7
                                        ; implicit-def: $vgpr8
                                        ; implicit-def: $vgpr1_vgpr2
	v_add_co_u32 v3, vcc_lo, s2, v3
	v_add_co_ci_u32_e64 v4, null, s3, v4, vcc_lo
	global_store_dwordx4 v[3:4], v[11:14], off
	global_store_dwordx2 v[3:4], v[9:10], off offset:16
                                        ; implicit-def: $vgpr10
                                        ; implicit-def: $vgpr9
                                        ; implicit-def: $vgpr3_vgpr4
.LBB91_19:
	s_andn2_saveexec_b32 s0, s0
	s_cbranch_execz .LBB91_21
; %bb.20:
	v_lshl_add_u32 v11, v5, 1, v5
	v_mul_f32_e64 v15, v10, -v2
	v_mul_f32_e32 v16, v1, v10
	v_mul_f32_e64 v10, v9, -v2
	v_mul_f32_e32 v18, v1, v9
	v_ashrrev_i32_e32 v12, 31, v11
	v_mul_f32_e64 v9, v8, -v2
	v_mul_f32_e32 v5, v1, v8
	v_fmac_f32_e32 v15, v1, v0
	v_fmac_f32_e32 v16, v2, v0
	v_lshlrev_b64 v[11:12], 3, v[11:12]
	v_fmac_f32_e32 v10, v1, v6
	v_fmac_f32_e32 v18, v2, v6
	;; [unrolled: 1-line block ×4, first 2 shown]
	v_add_co_u32 v19, vcc_lo, s2, v11
	v_add_co_ci_u32_e64 v20, null, s3, v12, vcc_lo
	s_clause 0x1
	global_load_dwordx4 v[11:14], v[19:20], off
	global_load_dwordx2 v[21:22], v[19:20], off offset:16
	s_waitcnt vmcnt(1)
	v_fmac_f32_e32 v15, v3, v11
	v_fmac_f32_e32 v16, v4, v11
	;; [unrolled: 1-line block ×4, first 2 shown]
	s_waitcnt vmcnt(0)
	v_fmac_f32_e32 v9, v3, v21
	v_fmac_f32_e32 v5, v4, v21
	v_fma_f32 v15, -v4, v12, v15
	v_fmac_f32_e32 v16, v3, v12
	v_fma_f32 v17, -v4, v14, v10
	;; [unrolled: 2-line block ×3, first 2 shown]
	v_fmac_f32_e32 v5, v3, v22
	global_store_dwordx4 v[19:20], v[15:18], off
	global_store_dwordx2 v[19:20], v[4:5], off offset:16
.LBB91_21:
	s_endpgm
	.section	.rodata,"a",@progbits
	.p2align	6, 0x0
	.amdhsa_kernel _ZN9rocsparseL19gebsrmvn_3xn_kernelILj128ELj5ELj16E21rocsparse_complex_numIfEEEvi20rocsparse_direction_NS_24const_host_device_scalarIT2_EEPKiS8_PKS5_SA_S6_PS5_21rocsparse_index_base_b
		.amdhsa_group_segment_fixed_size 0
		.amdhsa_private_segment_fixed_size 0
		.amdhsa_kernarg_size 72
		.amdhsa_user_sgpr_count 6
		.amdhsa_user_sgpr_private_segment_buffer 1
		.amdhsa_user_sgpr_dispatch_ptr 0
		.amdhsa_user_sgpr_queue_ptr 0
		.amdhsa_user_sgpr_kernarg_segment_ptr 1
		.amdhsa_user_sgpr_dispatch_id 0
		.amdhsa_user_sgpr_flat_scratch_init 0
		.amdhsa_user_sgpr_private_segment_size 0
		.amdhsa_wavefront_size32 1
		.amdhsa_uses_dynamic_stack 0
		.amdhsa_system_sgpr_private_segment_wavefront_offset 0
		.amdhsa_system_sgpr_workgroup_id_x 1
		.amdhsa_system_sgpr_workgroup_id_y 0
		.amdhsa_system_sgpr_workgroup_id_z 0
		.amdhsa_system_sgpr_workgroup_info 0
		.amdhsa_system_vgpr_workitem_id 0
		.amdhsa_next_free_vgpr 59
		.amdhsa_next_free_sgpr 16
		.amdhsa_reserve_vcc 1
		.amdhsa_reserve_flat_scratch 0
		.amdhsa_float_round_mode_32 0
		.amdhsa_float_round_mode_16_64 0
		.amdhsa_float_denorm_mode_32 3
		.amdhsa_float_denorm_mode_16_64 3
		.amdhsa_dx10_clamp 1
		.amdhsa_ieee_mode 1
		.amdhsa_fp16_overflow 0
		.amdhsa_workgroup_processor_mode 1
		.amdhsa_memory_ordered 1
		.amdhsa_forward_progress 1
		.amdhsa_shared_vgpr_count 0
		.amdhsa_exception_fp_ieee_invalid_op 0
		.amdhsa_exception_fp_denorm_src 0
		.amdhsa_exception_fp_ieee_div_zero 0
		.amdhsa_exception_fp_ieee_overflow 0
		.amdhsa_exception_fp_ieee_underflow 0
		.amdhsa_exception_fp_ieee_inexact 0
		.amdhsa_exception_int_div_zero 0
	.end_amdhsa_kernel
	.section	.text._ZN9rocsparseL19gebsrmvn_3xn_kernelILj128ELj5ELj16E21rocsparse_complex_numIfEEEvi20rocsparse_direction_NS_24const_host_device_scalarIT2_EEPKiS8_PKS5_SA_S6_PS5_21rocsparse_index_base_b,"axG",@progbits,_ZN9rocsparseL19gebsrmvn_3xn_kernelILj128ELj5ELj16E21rocsparse_complex_numIfEEEvi20rocsparse_direction_NS_24const_host_device_scalarIT2_EEPKiS8_PKS5_SA_S6_PS5_21rocsparse_index_base_b,comdat
.Lfunc_end91:
	.size	_ZN9rocsparseL19gebsrmvn_3xn_kernelILj128ELj5ELj16E21rocsparse_complex_numIfEEEvi20rocsparse_direction_NS_24const_host_device_scalarIT2_EEPKiS8_PKS5_SA_S6_PS5_21rocsparse_index_base_b, .Lfunc_end91-_ZN9rocsparseL19gebsrmvn_3xn_kernelILj128ELj5ELj16E21rocsparse_complex_numIfEEEvi20rocsparse_direction_NS_24const_host_device_scalarIT2_EEPKiS8_PKS5_SA_S6_PS5_21rocsparse_index_base_b
                                        ; -- End function
	.set _ZN9rocsparseL19gebsrmvn_3xn_kernelILj128ELj5ELj16E21rocsparse_complex_numIfEEEvi20rocsparse_direction_NS_24const_host_device_scalarIT2_EEPKiS8_PKS5_SA_S6_PS5_21rocsparse_index_base_b.num_vgpr, 59
	.set _ZN9rocsparseL19gebsrmvn_3xn_kernelILj128ELj5ELj16E21rocsparse_complex_numIfEEEvi20rocsparse_direction_NS_24const_host_device_scalarIT2_EEPKiS8_PKS5_SA_S6_PS5_21rocsparse_index_base_b.num_agpr, 0
	.set _ZN9rocsparseL19gebsrmvn_3xn_kernelILj128ELj5ELj16E21rocsparse_complex_numIfEEEvi20rocsparse_direction_NS_24const_host_device_scalarIT2_EEPKiS8_PKS5_SA_S6_PS5_21rocsparse_index_base_b.numbered_sgpr, 16
	.set _ZN9rocsparseL19gebsrmvn_3xn_kernelILj128ELj5ELj16E21rocsparse_complex_numIfEEEvi20rocsparse_direction_NS_24const_host_device_scalarIT2_EEPKiS8_PKS5_SA_S6_PS5_21rocsparse_index_base_b.num_named_barrier, 0
	.set _ZN9rocsparseL19gebsrmvn_3xn_kernelILj128ELj5ELj16E21rocsparse_complex_numIfEEEvi20rocsparse_direction_NS_24const_host_device_scalarIT2_EEPKiS8_PKS5_SA_S6_PS5_21rocsparse_index_base_b.private_seg_size, 0
	.set _ZN9rocsparseL19gebsrmvn_3xn_kernelILj128ELj5ELj16E21rocsparse_complex_numIfEEEvi20rocsparse_direction_NS_24const_host_device_scalarIT2_EEPKiS8_PKS5_SA_S6_PS5_21rocsparse_index_base_b.uses_vcc, 1
	.set _ZN9rocsparseL19gebsrmvn_3xn_kernelILj128ELj5ELj16E21rocsparse_complex_numIfEEEvi20rocsparse_direction_NS_24const_host_device_scalarIT2_EEPKiS8_PKS5_SA_S6_PS5_21rocsparse_index_base_b.uses_flat_scratch, 0
	.set _ZN9rocsparseL19gebsrmvn_3xn_kernelILj128ELj5ELj16E21rocsparse_complex_numIfEEEvi20rocsparse_direction_NS_24const_host_device_scalarIT2_EEPKiS8_PKS5_SA_S6_PS5_21rocsparse_index_base_b.has_dyn_sized_stack, 0
	.set _ZN9rocsparseL19gebsrmvn_3xn_kernelILj128ELj5ELj16E21rocsparse_complex_numIfEEEvi20rocsparse_direction_NS_24const_host_device_scalarIT2_EEPKiS8_PKS5_SA_S6_PS5_21rocsparse_index_base_b.has_recursion, 0
	.set _ZN9rocsparseL19gebsrmvn_3xn_kernelILj128ELj5ELj16E21rocsparse_complex_numIfEEEvi20rocsparse_direction_NS_24const_host_device_scalarIT2_EEPKiS8_PKS5_SA_S6_PS5_21rocsparse_index_base_b.has_indirect_call, 0
	.section	.AMDGPU.csdata,"",@progbits
; Kernel info:
; codeLenInByte = 3612
; TotalNumSgprs: 18
; NumVgprs: 59
; ScratchSize: 0
; MemoryBound: 0
; FloatMode: 240
; IeeeMode: 1
; LDSByteSize: 0 bytes/workgroup (compile time only)
; SGPRBlocks: 0
; VGPRBlocks: 7
; NumSGPRsForWavesPerEU: 18
; NumVGPRsForWavesPerEU: 59
; Occupancy: 16
; WaveLimiterHint : 1
; COMPUTE_PGM_RSRC2:SCRATCH_EN: 0
; COMPUTE_PGM_RSRC2:USER_SGPR: 6
; COMPUTE_PGM_RSRC2:TRAP_HANDLER: 0
; COMPUTE_PGM_RSRC2:TGID_X_EN: 1
; COMPUTE_PGM_RSRC2:TGID_Y_EN: 0
; COMPUTE_PGM_RSRC2:TGID_Z_EN: 0
; COMPUTE_PGM_RSRC2:TIDIG_COMP_CNT: 0
	.section	.text._ZN9rocsparseL19gebsrmvn_3xn_kernelILj128ELj5ELj32E21rocsparse_complex_numIfEEEvi20rocsparse_direction_NS_24const_host_device_scalarIT2_EEPKiS8_PKS5_SA_S6_PS5_21rocsparse_index_base_b,"axG",@progbits,_ZN9rocsparseL19gebsrmvn_3xn_kernelILj128ELj5ELj32E21rocsparse_complex_numIfEEEvi20rocsparse_direction_NS_24const_host_device_scalarIT2_EEPKiS8_PKS5_SA_S6_PS5_21rocsparse_index_base_b,comdat
	.globl	_ZN9rocsparseL19gebsrmvn_3xn_kernelILj128ELj5ELj32E21rocsparse_complex_numIfEEEvi20rocsparse_direction_NS_24const_host_device_scalarIT2_EEPKiS8_PKS5_SA_S6_PS5_21rocsparse_index_base_b ; -- Begin function _ZN9rocsparseL19gebsrmvn_3xn_kernelILj128ELj5ELj32E21rocsparse_complex_numIfEEEvi20rocsparse_direction_NS_24const_host_device_scalarIT2_EEPKiS8_PKS5_SA_S6_PS5_21rocsparse_index_base_b
	.p2align	8
	.type	_ZN9rocsparseL19gebsrmvn_3xn_kernelILj128ELj5ELj32E21rocsparse_complex_numIfEEEvi20rocsparse_direction_NS_24const_host_device_scalarIT2_EEPKiS8_PKS5_SA_S6_PS5_21rocsparse_index_base_b,@function
_ZN9rocsparseL19gebsrmvn_3xn_kernelILj128ELj5ELj32E21rocsparse_complex_numIfEEEvi20rocsparse_direction_NS_24const_host_device_scalarIT2_EEPKiS8_PKS5_SA_S6_PS5_21rocsparse_index_base_b: ; @_ZN9rocsparseL19gebsrmvn_3xn_kernelILj128ELj5ELj32E21rocsparse_complex_numIfEEEvi20rocsparse_direction_NS_24const_host_device_scalarIT2_EEPKiS8_PKS5_SA_S6_PS5_21rocsparse_index_base_b
; %bb.0:
	s_clause 0x2
	s_load_dwordx2 s[2:3], s[4:5], 0x40
	s_load_dwordx2 s[0:1], s[4:5], 0x8
	;; [unrolled: 1-line block ×3, first 2 shown]
	s_add_u32 s7, s4, 8
	s_addc_u32 s10, s5, 0
	s_add_u32 s11, s4, 48
	s_addc_u32 s12, s5, 0
	s_waitcnt lgkmcnt(0)
	s_bitcmp1_b32 s3, 0
	s_cselect_b32 s0, s7, s0
	s_cselect_b32 s1, s10, s1
	v_mov_b32_e32 v1, s0
	v_mov_b32_e32 v2, s1
	s_cselect_b32 s0, s11, s8
	s_cselect_b32 s1, s12, s9
	v_mov_b32_e32 v3, s0
	v_mov_b32_e32 v4, s1
	flat_load_dwordx2 v[1:2], v[1:2]
	flat_load_dwordx2 v[3:4], v[3:4]
	s_waitcnt vmcnt(1) lgkmcnt(1)
	v_cmp_eq_f32_e32 vcc_lo, 0, v1
	v_cmp_eq_f32_e64 s0, 0, v2
	s_and_b32 s3, vcc_lo, s0
	s_mov_b32 s0, -1
	s_and_saveexec_b32 s1, s3
	s_cbranch_execz .LBB92_2
; %bb.1:
	s_waitcnt vmcnt(0) lgkmcnt(0)
	v_cmp_neq_f32_e32 vcc_lo, 1.0, v3
	v_cmp_neq_f32_e64 s0, 0, v4
	s_or_b32 s0, vcc_lo, s0
	s_orn2_b32 s0, s0, exec_lo
.LBB92_2:
	s_or_b32 exec_lo, exec_lo, s1
	s_and_saveexec_b32 s1, s0
	s_cbranch_execz .LBB92_21
; %bb.3:
	s_load_dwordx2 s[0:1], s[4:5], 0x0
	v_lshrrev_b32_e32 v5, 5, v0
	v_lshl_or_b32 v5, s6, 2, v5
	s_waitcnt lgkmcnt(0)
	v_cmp_gt_i32_e32 vcc_lo, s0, v5
	s_and_b32 exec_lo, exec_lo, vcc_lo
	s_cbranch_execz .LBB92_21
; %bb.4:
	s_load_dwordx8 s[8:15], s[4:5], 0x10
	v_ashrrev_i32_e32 v6, 31, v5
	v_and_b32_e32 v0, 31, v0
	s_cmp_lg_u32 s1, 0
	v_lshlrev_b64 v[6:7], 2, v[5:6]
	s_waitcnt lgkmcnt(0)
	v_add_co_u32 v6, vcc_lo, s8, v6
	v_add_co_ci_u32_e64 v7, null, s9, v7, vcc_lo
	global_load_dwordx2 v[6:7], v[6:7], off
	s_waitcnt vmcnt(0)
	v_subrev_nc_u32_e32 v6, s2, v6
	v_subrev_nc_u32_e32 v16, s2, v7
	v_add_nc_u32_e32 v6, v6, v0
	v_cmp_lt_i32_e64 s0, v6, v16
	s_cbranch_scc0 .LBB92_10
; %bb.5:
	v_mov_b32_e32 v13, 0
	v_mov_b32_e32 v17, 0
	;; [unrolled: 1-line block ×6, first 2 shown]
	s_and_saveexec_b32 s1, s0
	s_cbranch_execz .LBB92_9
; %bb.6:
	v_mad_u64_u32 v[7:8], null, v6, 15, 14
	v_mov_b32_e32 v10, 0
	v_mov_b32_e32 v11, v6
	;; [unrolled: 1-line block ×8, first 2 shown]
	s_mov_b32 s3, 0
.LBB92_7:                               ; =>This Inner Loop Header: Depth=1
	v_ashrrev_i32_e32 v12, 31, v11
	v_mov_b32_e32 v21, v10
	v_lshlrev_b64 v[8:9], 2, v[11:12]
	v_add_nc_u32_e32 v11, 32, v11
	v_add_co_u32 v8, vcc_lo, s10, v8
	v_add_co_ci_u32_e64 v9, null, s11, v9, vcc_lo
	global_load_dword v12, v[8:9], off
	v_add_nc_u32_e32 v9, -14, v7
	v_mov_b32_e32 v8, v10
	v_lshlrev_b64 v[22:23], 3, v[9:10]
	v_add_nc_u32_e32 v9, -13, v7
	v_lshlrev_b64 v[24:25], 3, v[7:8]
	v_lshlrev_b64 v[26:27], 3, v[9:10]
	v_add_nc_u32_e32 v9, -12, v7
	v_add_co_u32 v22, vcc_lo, s12, v22
	v_add_co_ci_u32_e64 v23, null, s13, v23, vcc_lo
	v_lshlrev_b64 v[28:29], 3, v[9:10]
	v_add_nc_u32_e32 v9, -11, v7
	v_add_co_u32 v24, vcc_lo, s12, v24
	v_add_co_ci_u32_e64 v25, null, s13, v25, vcc_lo
	v_lshlrev_b64 v[8:9], 3, v[9:10]
	v_add_co_u32 v26, vcc_lo, s12, v26
	v_add_co_ci_u32_e64 v27, null, s13, v27, vcc_lo
	v_add_co_u32 v28, vcc_lo, s12, v28
	v_add_co_ci_u32_e64 v29, null, s13, v29, vcc_lo
	;; [unrolled: 2-line block ×3, first 2 shown]
	s_clause 0x3
	global_load_dwordx2 v[22:23], v[22:23], off
	global_load_dwordx2 v[26:27], v[26:27], off
	;; [unrolled: 1-line block ×4, first 2 shown]
	s_waitcnt vmcnt(4)
	v_subrev_nc_u32_e32 v8, s2, v12
	v_lshl_add_u32 v20, v8, 2, v8
	v_add_nc_u32_e32 v9, 1, v20
	v_lshlrev_b64 v[32:33], 3, v[20:21]
	v_lshlrev_b64 v[34:35], 3, v[9:10]
	v_add_nc_u32_e32 v9, -10, v7
	v_add_co_u32 v32, vcc_lo, s14, v32
	v_add_co_ci_u32_e64 v33, null, s15, v33, vcc_lo
	v_lshlrev_b64 v[36:37], 3, v[9:10]
	v_add_nc_u32_e32 v9, -9, v7
	v_add_co_u32 v34, vcc_lo, s14, v34
	v_add_co_ci_u32_e64 v35, null, s15, v35, vcc_lo
	v_lshlrev_b64 v[38:39], 3, v[9:10]
	v_add_nc_u32_e32 v9, -8, v7
	v_add_co_u32 v36, vcc_lo, s12, v36
	s_clause 0x1
	global_load_dwordx2 v[32:33], v[32:33], off
	global_load_dwordx2 v[34:35], v[34:35], off
	v_lshlrev_b64 v[40:41], 3, v[9:10]
	v_add_nc_u32_e32 v9, 2, v20
	v_add_co_ci_u32_e64 v37, null, s13, v37, vcc_lo
	v_add_co_u32 v38, vcc_lo, s12, v38
	v_lshlrev_b64 v[42:43], 3, v[9:10]
	v_add_nc_u32_e32 v9, -7, v7
	v_add_co_ci_u32_e64 v39, null, s13, v39, vcc_lo
	v_add_co_u32 v40, vcc_lo, s12, v40
	v_lshlrev_b64 v[44:45], 3, v[9:10]
	v_add_nc_u32_e32 v9, -6, v7
	;; [unrolled: 4-line block ×3, first 2 shown]
	v_add_co_ci_u32_e64 v43, null, s15, v43, vcc_lo
	v_add_co_u32 v44, vcc_lo, s12, v44
	v_lshlrev_b64 v[48:49], 3, v[9:10]
	v_add_nc_u32_e32 v9, 3, v20
	v_add_co_ci_u32_e64 v45, null, s13, v45, vcc_lo
	v_add_co_u32 v46, vcc_lo, s12, v46
	v_lshlrev_b64 v[50:51], 3, v[9:10]
	v_add_nc_u32_e32 v9, -4, v7
	s_clause 0x2
	global_load_dwordx2 v[36:37], v[36:37], off
	global_load_dwordx2 v[38:39], v[38:39], off
	;; [unrolled: 1-line block ×3, first 2 shown]
	v_add_co_ci_u32_e64 v47, null, s13, v47, vcc_lo
	v_lshlrev_b64 v[52:53], 3, v[9:10]
	v_add_nc_u32_e32 v9, -3, v7
	v_add_co_u32 v48, vcc_lo, s12, v48
	v_add_co_ci_u32_e64 v49, null, s13, v49, vcc_lo
	v_add_co_u32 v50, vcc_lo, s14, v50
	v_lshlrev_b64 v[54:55], 3, v[9:10]
	v_add_nc_u32_e32 v9, -2, v7
	v_add_co_ci_u32_e64 v51, null, s15, v51, vcc_lo
	v_add_co_u32 v52, vcc_lo, s12, v52
	v_add_co_ci_u32_e64 v53, null, s13, v53, vcc_lo
	v_lshlrev_b64 v[56:57], 3, v[9:10]
	v_add_nc_u32_e32 v9, 4, v20
	global_load_dwordx2 v[42:43], v[42:43], off
	s_clause 0x3
	global_load_dwordx2 v[44:45], v[44:45], off
	global_load_dwordx2 v[46:47], v[46:47], off
	;; [unrolled: 1-line block ×4, first 2 shown]
	v_add_co_u32 v52, vcc_lo, s12, v54
	v_add_co_ci_u32_e64 v53, null, s13, v55, vcc_lo
	v_lshlrev_b64 v[54:55], 3, v[9:10]
	v_add_nc_u32_e32 v9, -1, v7
	global_load_dwordx2 v[50:51], v[50:51], off
	v_add_co_u32 v56, vcc_lo, s12, v56
	global_load_dwordx2 v[52:53], v[52:53], off
	v_lshlrev_b64 v[8:9], 3, v[9:10]
	v_add_co_ci_u32_e64 v57, null, s13, v57, vcc_lo
	v_add_co_u32 v54, vcc_lo, s14, v54
	v_add_co_ci_u32_e64 v55, null, s15, v55, vcc_lo
	v_add_co_u32 v8, vcc_lo, s12, v8
	v_add_co_ci_u32_e64 v9, null, s13, v9, vcc_lo
	global_load_dwordx2 v[56:57], v[56:57], off
	global_load_dwordx2 v[54:55], v[54:55], off
	s_clause 0x1
	global_load_dwordx2 v[8:9], v[8:9], off
	global_load_dwordx2 v[24:25], v[24:25], off
	v_cmp_ge_i32_e32 vcc_lo, v11, v16
	v_add_nc_u32_e32 v7, 0x1e0, v7
	s_or_b32 s3, vcc_lo, s3
	s_waitcnt vmcnt(15)
	v_fmac_f32_e32 v17, v22, v32
	v_fmac_f32_e32 v13, v23, v32
	;; [unrolled: 1-line block ×6, first 2 shown]
	v_fma_f32 v12, -v23, v33, v17
	v_fmac_f32_e32 v13, v22, v33
	v_fma_f32 v17, -v27, v33, v19
	v_fmac_f32_e32 v15, v26, v33
	;; [unrolled: 2-line block ×3, first 2 shown]
	s_waitcnt vmcnt(14)
	v_fmac_f32_e32 v12, v30, v34
	v_fmac_f32_e32 v13, v31, v34
	v_fma_f32 v12, -v31, v35, v12
	v_fmac_f32_e32 v13, v30, v35
	s_waitcnt vmcnt(13)
	v_fmac_f32_e32 v17, v36, v34
	v_fmac_f32_e32 v15, v37, v34
	s_waitcnt vmcnt(12)
	v_fmac_f32_e32 v18, v38, v34
	v_fmac_f32_e32 v14, v39, v34
	v_fma_f32 v17, -v37, v35, v17
	v_fmac_f32_e32 v15, v36, v35
	v_fma_f32 v18, -v39, v35, v18
	v_fmac_f32_e32 v14, v38, v35
	s_waitcnt vmcnt(10)
	v_fmac_f32_e32 v12, v40, v42
	v_fmac_f32_e32 v13, v41, v42
	s_waitcnt vmcnt(9)
	v_fmac_f32_e32 v17, v44, v42
	;; [unrolled: 3-line block ×3, first 2 shown]
	v_fmac_f32_e32 v14, v47, v42
	v_fma_f32 v12, -v41, v43, v12
	v_fmac_f32_e32 v13, v40, v43
	v_fma_f32 v17, -v45, v43, v17
	v_fmac_f32_e32 v15, v44, v43
	v_fma_f32 v18, -v47, v43, v18
	v_fmac_f32_e32 v14, v46, v43
	s_waitcnt vmcnt(5)
	v_fmac_f32_e32 v12, v48, v50
	v_fmac_f32_e32 v13, v49, v50
	v_fmac_f32_e32 v17, v20, v50
	v_fmac_f32_e32 v15, v21, v50
	s_waitcnt vmcnt(4)
	v_fmac_f32_e32 v18, v52, v50
	v_fmac_f32_e32 v14, v53, v50
	v_fma_f32 v12, -v49, v51, v12
	v_fmac_f32_e32 v13, v48, v51
	v_fma_f32 v19, -v21, v51, v17
	v_fmac_f32_e32 v15, v20, v51
	v_fma_f32 v18, -v53, v51, v18
	v_fmac_f32_e32 v14, v52, v51
	s_waitcnt vmcnt(2)
	v_fmac_f32_e32 v12, v56, v54
	v_fmac_f32_e32 v13, v57, v54
	s_waitcnt vmcnt(1)
	v_fmac_f32_e32 v19, v8, v54
	;; [unrolled: 3-line block ×3, first 2 shown]
	v_fmac_f32_e32 v14, v25, v54
	v_fma_f32 v17, -v57, v55, v12
	v_fmac_f32_e32 v13, v56, v55
	v_fma_f32 v19, -v9, v55, v19
	;; [unrolled: 2-line block ×3, first 2 shown]
	v_fmac_f32_e32 v14, v24, v55
	s_andn2_b32 exec_lo, exec_lo, s3
	s_cbranch_execnz .LBB92_7
; %bb.8:
	s_or_b32 exec_lo, exec_lo, s3
.LBB92_9:
	s_or_b32 exec_lo, exec_lo, s1
	s_cbranch_execz .LBB92_11
	s_branch .LBB92_16
.LBB92_10:
                                        ; implicit-def: $vgpr13
                                        ; implicit-def: $vgpr17
                                        ; implicit-def: $vgpr18
                                        ; implicit-def: $vgpr14
                                        ; implicit-def: $vgpr19
                                        ; implicit-def: $vgpr15
.LBB92_11:
	v_mov_b32_e32 v13, 0
	v_mov_b32_e32 v17, 0
	v_mov_b32_e32 v18, 0
	v_mov_b32_e32 v14, 0
	v_mov_b32_e32 v19, 0
	v_mov_b32_e32 v15, 0
	s_and_saveexec_b32 s1, s0
	s_cbranch_execz .LBB92_15
; %bb.12:
	v_mad_u64_u32 v[8:9], null, v6, 15, 14
	v_mov_b32_e32 v11, 0
	v_mov_b32_e32 v13, 0
	;; [unrolled: 1-line block ×7, first 2 shown]
	s_mov_b32 s0, 0
.LBB92_13:                              ; =>This Inner Loop Header: Depth=1
	v_ashrrev_i32_e32 v7, 31, v6
	v_add_nc_u32_e32 v20, -9, v8
	v_mov_b32_e32 v21, v11
	v_add_nc_u32_e32 v22, -4, v8
	v_mov_b32_e32 v23, v11
	v_lshlrev_b64 v[9:10], 2, v[6:7]
	v_mov_b32_e32 v24, v11
	v_lshlrev_b64 v[20:21], 3, v[20:21]
	v_add_nc_u32_e32 v6, 32, v6
	v_lshlrev_b64 v[22:23], 3, v[22:23]
	v_add_co_u32 v9, vcc_lo, s10, v9
	v_add_co_ci_u32_e64 v10, null, s11, v10, vcc_lo
	global_load_dword v7, v[9:10], off
	v_add_nc_u32_e32 v10, -14, v8
	v_mov_b32_e32 v9, v11
	v_lshlrev_b64 v[25:26], 3, v[10:11]
	v_add_nc_u32_e32 v10, -13, v8
	v_lshlrev_b64 v[27:28], 3, v[8:9]
	v_lshlrev_b64 v[9:10], 3, v[10:11]
	v_add_co_u32 v25, vcc_lo, s12, v25
	v_add_co_ci_u32_e64 v26, null, s13, v26, vcc_lo
	v_add_co_u32 v20, vcc_lo, s12, v20
	v_add_co_ci_u32_e64 v21, null, s13, v21, vcc_lo
	;; [unrolled: 2-line block ×5, first 2 shown]
	s_clause 0x3
	global_load_dwordx2 v[25:26], v[25:26], off
	global_load_dwordx2 v[20:21], v[20:21], off
	;; [unrolled: 1-line block ×4, first 2 shown]
	s_waitcnt vmcnt(4)
	v_subrev_nc_u32_e32 v7, s2, v7
	v_lshl_add_u32 v23, v7, 2, v7
	v_add_nc_u32_e32 v10, 1, v23
	v_lshlrev_b64 v[33:34], 3, v[23:24]
	v_lshlrev_b64 v[35:36], 3, v[10:11]
	v_add_nc_u32_e32 v10, -8, v8
	v_add_co_u32 v33, vcc_lo, s14, v33
	v_add_co_ci_u32_e64 v34, null, s15, v34, vcc_lo
	v_lshlrev_b64 v[37:38], 3, v[10:11]
	v_add_nc_u32_e32 v10, -3, v8
	v_add_co_u32 v35, vcc_lo, s14, v35
	v_add_co_ci_u32_e64 v36, null, s15, v36, vcc_lo
	v_lshlrev_b64 v[39:40], 3, v[10:11]
	v_add_nc_u32_e32 v10, -12, v8
	v_add_co_u32 v37, vcc_lo, s12, v37
	s_clause 0x1
	global_load_dwordx2 v[33:34], v[33:34], off
	global_load_dwordx2 v[35:36], v[35:36], off
	v_lshlrev_b64 v[41:42], 3, v[10:11]
	v_add_nc_u32_e32 v10, 2, v23
	v_add_co_ci_u32_e64 v38, null, s13, v38, vcc_lo
	v_add_co_u32 v39, vcc_lo, s12, v39
	v_lshlrev_b64 v[43:44], 3, v[10:11]
	v_add_nc_u32_e32 v10, -7, v8
	v_add_co_ci_u32_e64 v40, null, s13, v40, vcc_lo
	v_add_co_u32 v41, vcc_lo, s12, v41
	v_lshlrev_b64 v[45:46], 3, v[10:11]
	v_add_nc_u32_e32 v10, -2, v8
	v_add_co_ci_u32_e64 v42, null, s13, v42, vcc_lo
	v_add_co_u32 v43, vcc_lo, s14, v43
	v_lshlrev_b64 v[47:48], 3, v[10:11]
	v_add_nc_u32_e32 v10, -11, v8
	v_add_co_ci_u32_e64 v44, null, s15, v44, vcc_lo
	v_add_co_u32 v45, vcc_lo, s12, v45
	v_lshlrev_b64 v[49:50], 3, v[10:11]
	v_add_nc_u32_e32 v10, 3, v23
	v_add_co_ci_u32_e64 v46, null, s13, v46, vcc_lo
	v_add_co_u32 v47, vcc_lo, s12, v47
	v_lshlrev_b64 v[51:52], 3, v[10:11]
	v_add_nc_u32_e32 v10, -6, v8
	s_clause 0x2
	global_load_dwordx2 v[37:38], v[37:38], off
	global_load_dwordx2 v[39:40], v[39:40], off
	;; [unrolled: 1-line block ×3, first 2 shown]
	v_add_co_ci_u32_e64 v48, null, s13, v48, vcc_lo
	v_lshlrev_b64 v[53:54], 3, v[10:11]
	v_add_nc_u32_e32 v10, -1, v8
	v_add_co_u32 v49, vcc_lo, s12, v49
	v_add_co_ci_u32_e64 v50, null, s13, v50, vcc_lo
	v_add_co_u32 v51, vcc_lo, s14, v51
	v_lshlrev_b64 v[55:56], 3, v[10:11]
	v_add_nc_u32_e32 v10, -10, v8
	v_add_co_ci_u32_e64 v52, null, s15, v52, vcc_lo
	v_add_co_u32 v53, vcc_lo, s12, v53
	v_add_co_ci_u32_e64 v54, null, s13, v54, vcc_lo
	v_lshlrev_b64 v[57:58], 3, v[10:11]
	v_add_nc_u32_e32 v10, 4, v23
	global_load_dwordx2 v[43:44], v[43:44], off
	s_clause 0x3
	global_load_dwordx2 v[45:46], v[45:46], off
	global_load_dwordx2 v[47:48], v[47:48], off
	;; [unrolled: 1-line block ×4, first 2 shown]
	v_add_co_u32 v53, vcc_lo, s12, v55
	v_add_co_ci_u32_e64 v54, null, s13, v56, vcc_lo
	v_lshlrev_b64 v[55:56], 3, v[10:11]
	v_add_nc_u32_e32 v10, -5, v8
	global_load_dwordx2 v[51:52], v[51:52], off
	v_add_co_u32 v57, vcc_lo, s12, v57
	global_load_dwordx2 v[53:54], v[53:54], off
	v_lshlrev_b64 v[9:10], 3, v[10:11]
	v_add_co_ci_u32_e64 v58, null, s13, v58, vcc_lo
	v_add_co_u32 v55, vcc_lo, s14, v55
	v_add_co_ci_u32_e64 v56, null, s15, v56, vcc_lo
	v_add_co_u32 v9, vcc_lo, s12, v9
	v_add_co_ci_u32_e64 v10, null, s13, v10, vcc_lo
	global_load_dwordx2 v[57:58], v[57:58], off
	global_load_dwordx2 v[55:56], v[55:56], off
	s_clause 0x1
	global_load_dwordx2 v[9:10], v[9:10], off
	global_load_dwordx2 v[27:28], v[27:28], off
	v_cmp_ge_i32_e32 vcc_lo, v6, v16
	v_add_nc_u32_e32 v8, 0x1e0, v8
	s_or_b32 s0, vcc_lo, s0
	s_waitcnt vmcnt(15)
	v_fmac_f32_e32 v17, v25, v33
	v_fmac_f32_e32 v13, v26, v33
	v_fmac_f32_e32 v19, v20, v33
	v_fmac_f32_e32 v15, v21, v33
	v_fmac_f32_e32 v18, v29, v33
	v_fmac_f32_e32 v14, v30, v33
	v_fma_f32 v7, -v26, v34, v17
	v_fmac_f32_e32 v13, v25, v34
	v_fma_f32 v12, -v21, v34, v19
	v_fmac_f32_e32 v15, v20, v34
	;; [unrolled: 2-line block ×3, first 2 shown]
	s_waitcnt vmcnt(14)
	v_fmac_f32_e32 v7, v31, v35
	v_fmac_f32_e32 v13, v32, v35
	v_fma_f32 v7, -v32, v36, v7
	v_fmac_f32_e32 v13, v31, v36
	s_waitcnt vmcnt(13)
	v_fmac_f32_e32 v12, v37, v35
	v_fmac_f32_e32 v15, v38, v35
	s_waitcnt vmcnt(12)
	v_fmac_f32_e32 v17, v39, v35
	v_fmac_f32_e32 v14, v40, v35
	v_fma_f32 v12, -v38, v36, v12
	v_fmac_f32_e32 v15, v37, v36
	v_fma_f32 v17, -v40, v36, v17
	v_fmac_f32_e32 v14, v39, v36
	s_waitcnt vmcnt(10)
	v_fmac_f32_e32 v7, v41, v43
	v_fmac_f32_e32 v13, v42, v43
	s_waitcnt vmcnt(9)
	v_fmac_f32_e32 v12, v45, v43
	v_fmac_f32_e32 v15, v46, v43
	s_waitcnt vmcnt(8)
	v_fmac_f32_e32 v17, v47, v43
	v_fmac_f32_e32 v14, v48, v43
	v_fma_f32 v7, -v42, v44, v7
	v_fmac_f32_e32 v13, v41, v44
	v_fma_f32 v12, -v46, v44, v12
	;; [unrolled: 2-line block ×3, first 2 shown]
	v_fmac_f32_e32 v14, v47, v44
	s_waitcnt vmcnt(5)
	v_fmac_f32_e32 v7, v49, v51
	v_fmac_f32_e32 v13, v50, v51
	v_fmac_f32_e32 v12, v22, v51
	v_fmac_f32_e32 v15, v23, v51
	s_waitcnt vmcnt(4)
	v_fmac_f32_e32 v17, v53, v51
	v_fmac_f32_e32 v14, v54, v51
	v_fma_f32 v7, -v50, v52, v7
	v_fmac_f32_e32 v13, v49, v52
	v_fma_f32 v12, -v23, v52, v12
	;; [unrolled: 2-line block ×3, first 2 shown]
	v_fmac_f32_e32 v14, v53, v52
	s_waitcnt vmcnt(2)
	v_fmac_f32_e32 v7, v57, v55
	v_fmac_f32_e32 v13, v58, v55
	s_waitcnt vmcnt(1)
	v_fmac_f32_e32 v12, v9, v55
	;; [unrolled: 3-line block ×3, first 2 shown]
	v_fmac_f32_e32 v14, v28, v55
	v_fma_f32 v17, -v58, v56, v7
	v_fmac_f32_e32 v13, v57, v56
	v_fma_f32 v19, -v10, v56, v12
	;; [unrolled: 2-line block ×3, first 2 shown]
	v_fmac_f32_e32 v14, v27, v56
	s_andn2_b32 exec_lo, exec_lo, s0
	s_cbranch_execnz .LBB92_13
; %bb.14:
	s_or_b32 exec_lo, exec_lo, s0
.LBB92_15:
	s_or_b32 exec_lo, exec_lo, s1
.LBB92_16:
	v_mbcnt_lo_u32_b32 v6, -1, 0
	v_xor_b32_e32 v7, 16, v6
	v_xor_b32_e32 v16, 8, v6
	v_cmp_gt_i32_e32 vcc_lo, 32, v7
	v_cndmask_b32_e32 v7, v6, v7, vcc_lo
	v_cmp_gt_i32_e32 vcc_lo, 32, v16
	v_lshlrev_b32_e32 v7, 2, v7
	v_cndmask_b32_e32 v16, v6, v16, vcc_lo
	ds_bpermute_b32 v8, v7, v17
	ds_bpermute_b32 v9, v7, v13
	;; [unrolled: 1-line block ×6, first 2 shown]
	v_lshlrev_b32_e32 v16, 2, v16
	s_waitcnt lgkmcnt(5)
	v_add_f32_e32 v8, v17, v8
	s_waitcnt lgkmcnt(4)
	v_add_f32_e32 v9, v13, v9
	;; [unrolled: 2-line block ×6, first 2 shown]
	ds_bpermute_b32 v13, v16, v8
	ds_bpermute_b32 v14, v16, v9
	;; [unrolled: 1-line block ×6, first 2 shown]
	v_xor_b32_e32 v19, 4, v6
	v_cmp_gt_i32_e32 vcc_lo, 32, v19
	v_cndmask_b32_e32 v19, v6, v19, vcc_lo
	s_waitcnt lgkmcnt(5)
	v_add_f32_e32 v8, v8, v13
	v_lshlrev_b32_e32 v19, 2, v19
	s_waitcnt lgkmcnt(4)
	v_add_f32_e32 v9, v9, v14
	s_waitcnt lgkmcnt(3)
	v_add_f32_e32 v10, v10, v15
	s_waitcnt lgkmcnt(2)
	v_add_f32_e32 v11, v11, v17
	s_waitcnt lgkmcnt(1)
	v_add_f32_e32 v12, v12, v18
	s_waitcnt lgkmcnt(0)
	v_add_f32_e32 v7, v7, v16
	ds_bpermute_b32 v13, v19, v8
	ds_bpermute_b32 v14, v19, v9
	;; [unrolled: 1-line block ×6, first 2 shown]
	v_xor_b32_e32 v19, 2, v6
	v_cmp_gt_i32_e32 vcc_lo, 32, v19
	v_cndmask_b32_e32 v19, v6, v19, vcc_lo
	s_waitcnt lgkmcnt(5)
	v_add_f32_e32 v8, v8, v13
	v_lshlrev_b32_e32 v19, 2, v19
	s_waitcnt lgkmcnt(4)
	v_add_f32_e32 v9, v9, v14
	s_waitcnt lgkmcnt(3)
	v_add_f32_e32 v10, v10, v15
	;; [unrolled: 2-line block ×5, first 2 shown]
	ds_bpermute_b32 v7, v19, v8
	ds_bpermute_b32 v11, v19, v9
	;; [unrolled: 1-line block ×6, first 2 shown]
	v_xor_b32_e32 v19, 1, v6
	v_cmp_gt_i32_e32 vcc_lo, 32, v19
	v_cndmask_b32_e32 v6, v6, v19, vcc_lo
	v_cmp_eq_u32_e32 vcc_lo, 31, v0
	v_lshlrev_b32_e32 v19, 2, v6
	s_waitcnt lgkmcnt(5)
	v_add_f32_e32 v6, v8, v7
	s_waitcnt lgkmcnt(4)
	v_add_f32_e32 v9, v9, v11
	;; [unrolled: 2-line block ×6, first 2 shown]
	ds_bpermute_b32 v10, v19, v6
	ds_bpermute_b32 v15, v19, v9
	;; [unrolled: 1-line block ×6, first 2 shown]
	s_and_b32 exec_lo, exec_lo, vcc_lo
	s_cbranch_execz .LBB92_21
; %bb.17:
	s_load_dwordx2 s[2:3], s[4:5], 0x38
	v_cmp_eq_f32_e32 vcc_lo, 0, v3
	v_cmp_eq_f32_e64 s0, 0, v4
	s_waitcnt lgkmcnt(0)
	v_add_f32_e32 v0, v6, v10
	v_add_f32_e32 v10, v9, v15
	;; [unrolled: 1-line block ×6, first 2 shown]
	s_and_b32 s0, vcc_lo, s0
	s_and_saveexec_b32 s1, s0
	s_xor_b32 s0, exec_lo, s1
	s_cbranch_execz .LBB92_19
; %bb.18:
	v_lshl_add_u32 v3, v5, 1, v5
	v_mul_f32_e64 v11, v10, -v2
	v_mul_f32_e32 v12, v1, v10
	v_mul_f32_e64 v13, v9, -v2
	v_mul_f32_e32 v14, v1, v9
	v_ashrrev_i32_e32 v4, 31, v3
	v_mul_f32_e64 v9, v8, -v2
	v_mul_f32_e32 v10, v1, v8
	v_fmac_f32_e32 v11, v1, v0
	v_fmac_f32_e32 v12, v2, v0
	v_lshlrev_b64 v[3:4], 3, v[3:4]
	v_fmac_f32_e32 v13, v1, v6
	v_fmac_f32_e32 v14, v2, v6
	v_fmac_f32_e32 v9, v1, v7
	v_fmac_f32_e32 v10, v2, v7
                                        ; implicit-def: $vgpr5
                                        ; implicit-def: $vgpr0
                                        ; implicit-def: $vgpr6
                                        ; implicit-def: $vgpr7
                                        ; implicit-def: $vgpr8
                                        ; implicit-def: $vgpr1_vgpr2
	v_add_co_u32 v3, vcc_lo, s2, v3
	v_add_co_ci_u32_e64 v4, null, s3, v4, vcc_lo
	global_store_dwordx4 v[3:4], v[11:14], off
	global_store_dwordx2 v[3:4], v[9:10], off offset:16
                                        ; implicit-def: $vgpr10
                                        ; implicit-def: $vgpr9
                                        ; implicit-def: $vgpr3_vgpr4
.LBB92_19:
	s_andn2_saveexec_b32 s0, s0
	s_cbranch_execz .LBB92_21
; %bb.20:
	v_lshl_add_u32 v11, v5, 1, v5
	v_mul_f32_e64 v15, v10, -v2
	v_mul_f32_e32 v16, v1, v10
	v_mul_f32_e64 v10, v9, -v2
	v_mul_f32_e32 v18, v1, v9
	v_ashrrev_i32_e32 v12, 31, v11
	v_mul_f32_e64 v9, v8, -v2
	v_mul_f32_e32 v5, v1, v8
	v_fmac_f32_e32 v15, v1, v0
	v_fmac_f32_e32 v16, v2, v0
	v_lshlrev_b64 v[11:12], 3, v[11:12]
	v_fmac_f32_e32 v10, v1, v6
	v_fmac_f32_e32 v18, v2, v6
	;; [unrolled: 1-line block ×4, first 2 shown]
	v_add_co_u32 v19, vcc_lo, s2, v11
	v_add_co_ci_u32_e64 v20, null, s3, v12, vcc_lo
	s_clause 0x1
	global_load_dwordx4 v[11:14], v[19:20], off
	global_load_dwordx2 v[21:22], v[19:20], off offset:16
	s_waitcnt vmcnt(1)
	v_fmac_f32_e32 v15, v3, v11
	v_fmac_f32_e32 v16, v4, v11
	;; [unrolled: 1-line block ×4, first 2 shown]
	s_waitcnt vmcnt(0)
	v_fmac_f32_e32 v9, v3, v21
	v_fmac_f32_e32 v5, v4, v21
	v_fma_f32 v15, -v4, v12, v15
	v_fmac_f32_e32 v16, v3, v12
	v_fma_f32 v17, -v4, v14, v10
	;; [unrolled: 2-line block ×3, first 2 shown]
	v_fmac_f32_e32 v5, v3, v22
	global_store_dwordx4 v[19:20], v[15:18], off
	global_store_dwordx2 v[19:20], v[4:5], off offset:16
.LBB92_21:
	s_endpgm
	.section	.rodata,"a",@progbits
	.p2align	6, 0x0
	.amdhsa_kernel _ZN9rocsparseL19gebsrmvn_3xn_kernelILj128ELj5ELj32E21rocsparse_complex_numIfEEEvi20rocsparse_direction_NS_24const_host_device_scalarIT2_EEPKiS8_PKS5_SA_S6_PS5_21rocsparse_index_base_b
		.amdhsa_group_segment_fixed_size 0
		.amdhsa_private_segment_fixed_size 0
		.amdhsa_kernarg_size 72
		.amdhsa_user_sgpr_count 6
		.amdhsa_user_sgpr_private_segment_buffer 1
		.amdhsa_user_sgpr_dispatch_ptr 0
		.amdhsa_user_sgpr_queue_ptr 0
		.amdhsa_user_sgpr_kernarg_segment_ptr 1
		.amdhsa_user_sgpr_dispatch_id 0
		.amdhsa_user_sgpr_flat_scratch_init 0
		.amdhsa_user_sgpr_private_segment_size 0
		.amdhsa_wavefront_size32 1
		.amdhsa_uses_dynamic_stack 0
		.amdhsa_system_sgpr_private_segment_wavefront_offset 0
		.amdhsa_system_sgpr_workgroup_id_x 1
		.amdhsa_system_sgpr_workgroup_id_y 0
		.amdhsa_system_sgpr_workgroup_id_z 0
		.amdhsa_system_sgpr_workgroup_info 0
		.amdhsa_system_vgpr_workitem_id 0
		.amdhsa_next_free_vgpr 59
		.amdhsa_next_free_sgpr 16
		.amdhsa_reserve_vcc 1
		.amdhsa_reserve_flat_scratch 0
		.amdhsa_float_round_mode_32 0
		.amdhsa_float_round_mode_16_64 0
		.amdhsa_float_denorm_mode_32 3
		.amdhsa_float_denorm_mode_16_64 3
		.amdhsa_dx10_clamp 1
		.amdhsa_ieee_mode 1
		.amdhsa_fp16_overflow 0
		.amdhsa_workgroup_processor_mode 1
		.amdhsa_memory_ordered 1
		.amdhsa_forward_progress 1
		.amdhsa_shared_vgpr_count 0
		.amdhsa_exception_fp_ieee_invalid_op 0
		.amdhsa_exception_fp_denorm_src 0
		.amdhsa_exception_fp_ieee_div_zero 0
		.amdhsa_exception_fp_ieee_overflow 0
		.amdhsa_exception_fp_ieee_underflow 0
		.amdhsa_exception_fp_ieee_inexact 0
		.amdhsa_exception_int_div_zero 0
	.end_amdhsa_kernel
	.section	.text._ZN9rocsparseL19gebsrmvn_3xn_kernelILj128ELj5ELj32E21rocsparse_complex_numIfEEEvi20rocsparse_direction_NS_24const_host_device_scalarIT2_EEPKiS8_PKS5_SA_S6_PS5_21rocsparse_index_base_b,"axG",@progbits,_ZN9rocsparseL19gebsrmvn_3xn_kernelILj128ELj5ELj32E21rocsparse_complex_numIfEEEvi20rocsparse_direction_NS_24const_host_device_scalarIT2_EEPKiS8_PKS5_SA_S6_PS5_21rocsparse_index_base_b,comdat
.Lfunc_end92:
	.size	_ZN9rocsparseL19gebsrmvn_3xn_kernelILj128ELj5ELj32E21rocsparse_complex_numIfEEEvi20rocsparse_direction_NS_24const_host_device_scalarIT2_EEPKiS8_PKS5_SA_S6_PS5_21rocsparse_index_base_b, .Lfunc_end92-_ZN9rocsparseL19gebsrmvn_3xn_kernelILj128ELj5ELj32E21rocsparse_complex_numIfEEEvi20rocsparse_direction_NS_24const_host_device_scalarIT2_EEPKiS8_PKS5_SA_S6_PS5_21rocsparse_index_base_b
                                        ; -- End function
	.set _ZN9rocsparseL19gebsrmvn_3xn_kernelILj128ELj5ELj32E21rocsparse_complex_numIfEEEvi20rocsparse_direction_NS_24const_host_device_scalarIT2_EEPKiS8_PKS5_SA_S6_PS5_21rocsparse_index_base_b.num_vgpr, 59
	.set _ZN9rocsparseL19gebsrmvn_3xn_kernelILj128ELj5ELj32E21rocsparse_complex_numIfEEEvi20rocsparse_direction_NS_24const_host_device_scalarIT2_EEPKiS8_PKS5_SA_S6_PS5_21rocsparse_index_base_b.num_agpr, 0
	.set _ZN9rocsparseL19gebsrmvn_3xn_kernelILj128ELj5ELj32E21rocsparse_complex_numIfEEEvi20rocsparse_direction_NS_24const_host_device_scalarIT2_EEPKiS8_PKS5_SA_S6_PS5_21rocsparse_index_base_b.numbered_sgpr, 16
	.set _ZN9rocsparseL19gebsrmvn_3xn_kernelILj128ELj5ELj32E21rocsparse_complex_numIfEEEvi20rocsparse_direction_NS_24const_host_device_scalarIT2_EEPKiS8_PKS5_SA_S6_PS5_21rocsparse_index_base_b.num_named_barrier, 0
	.set _ZN9rocsparseL19gebsrmvn_3xn_kernelILj128ELj5ELj32E21rocsparse_complex_numIfEEEvi20rocsparse_direction_NS_24const_host_device_scalarIT2_EEPKiS8_PKS5_SA_S6_PS5_21rocsparse_index_base_b.private_seg_size, 0
	.set _ZN9rocsparseL19gebsrmvn_3xn_kernelILj128ELj5ELj32E21rocsparse_complex_numIfEEEvi20rocsparse_direction_NS_24const_host_device_scalarIT2_EEPKiS8_PKS5_SA_S6_PS5_21rocsparse_index_base_b.uses_vcc, 1
	.set _ZN9rocsparseL19gebsrmvn_3xn_kernelILj128ELj5ELj32E21rocsparse_complex_numIfEEEvi20rocsparse_direction_NS_24const_host_device_scalarIT2_EEPKiS8_PKS5_SA_S6_PS5_21rocsparse_index_base_b.uses_flat_scratch, 0
	.set _ZN9rocsparseL19gebsrmvn_3xn_kernelILj128ELj5ELj32E21rocsparse_complex_numIfEEEvi20rocsparse_direction_NS_24const_host_device_scalarIT2_EEPKiS8_PKS5_SA_S6_PS5_21rocsparse_index_base_b.has_dyn_sized_stack, 0
	.set _ZN9rocsparseL19gebsrmvn_3xn_kernelILj128ELj5ELj32E21rocsparse_complex_numIfEEEvi20rocsparse_direction_NS_24const_host_device_scalarIT2_EEPKiS8_PKS5_SA_S6_PS5_21rocsparse_index_base_b.has_recursion, 0
	.set _ZN9rocsparseL19gebsrmvn_3xn_kernelILj128ELj5ELj32E21rocsparse_complex_numIfEEEvi20rocsparse_direction_NS_24const_host_device_scalarIT2_EEPKiS8_PKS5_SA_S6_PS5_21rocsparse_index_base_b.has_indirect_call, 0
	.section	.AMDGPU.csdata,"",@progbits
; Kernel info:
; codeLenInByte = 3724
; TotalNumSgprs: 18
; NumVgprs: 59
; ScratchSize: 0
; MemoryBound: 0
; FloatMode: 240
; IeeeMode: 1
; LDSByteSize: 0 bytes/workgroup (compile time only)
; SGPRBlocks: 0
; VGPRBlocks: 7
; NumSGPRsForWavesPerEU: 18
; NumVGPRsForWavesPerEU: 59
; Occupancy: 16
; WaveLimiterHint : 1
; COMPUTE_PGM_RSRC2:SCRATCH_EN: 0
; COMPUTE_PGM_RSRC2:USER_SGPR: 6
; COMPUTE_PGM_RSRC2:TRAP_HANDLER: 0
; COMPUTE_PGM_RSRC2:TGID_X_EN: 1
; COMPUTE_PGM_RSRC2:TGID_Y_EN: 0
; COMPUTE_PGM_RSRC2:TGID_Z_EN: 0
; COMPUTE_PGM_RSRC2:TIDIG_COMP_CNT: 0
	.section	.text._ZN9rocsparseL19gebsrmvn_3xn_kernelILj128ELj5ELj64E21rocsparse_complex_numIfEEEvi20rocsparse_direction_NS_24const_host_device_scalarIT2_EEPKiS8_PKS5_SA_S6_PS5_21rocsparse_index_base_b,"axG",@progbits,_ZN9rocsparseL19gebsrmvn_3xn_kernelILj128ELj5ELj64E21rocsparse_complex_numIfEEEvi20rocsparse_direction_NS_24const_host_device_scalarIT2_EEPKiS8_PKS5_SA_S6_PS5_21rocsparse_index_base_b,comdat
	.globl	_ZN9rocsparseL19gebsrmvn_3xn_kernelILj128ELj5ELj64E21rocsparse_complex_numIfEEEvi20rocsparse_direction_NS_24const_host_device_scalarIT2_EEPKiS8_PKS5_SA_S6_PS5_21rocsparse_index_base_b ; -- Begin function _ZN9rocsparseL19gebsrmvn_3xn_kernelILj128ELj5ELj64E21rocsparse_complex_numIfEEEvi20rocsparse_direction_NS_24const_host_device_scalarIT2_EEPKiS8_PKS5_SA_S6_PS5_21rocsparse_index_base_b
	.p2align	8
	.type	_ZN9rocsparseL19gebsrmvn_3xn_kernelILj128ELj5ELj64E21rocsparse_complex_numIfEEEvi20rocsparse_direction_NS_24const_host_device_scalarIT2_EEPKiS8_PKS5_SA_S6_PS5_21rocsparse_index_base_b,@function
_ZN9rocsparseL19gebsrmvn_3xn_kernelILj128ELj5ELj64E21rocsparse_complex_numIfEEEvi20rocsparse_direction_NS_24const_host_device_scalarIT2_EEPKiS8_PKS5_SA_S6_PS5_21rocsparse_index_base_b: ; @_ZN9rocsparseL19gebsrmvn_3xn_kernelILj128ELj5ELj64E21rocsparse_complex_numIfEEEvi20rocsparse_direction_NS_24const_host_device_scalarIT2_EEPKiS8_PKS5_SA_S6_PS5_21rocsparse_index_base_b
; %bb.0:
	s_clause 0x2
	s_load_dwordx2 s[2:3], s[4:5], 0x40
	s_load_dwordx2 s[0:1], s[4:5], 0x8
	;; [unrolled: 1-line block ×3, first 2 shown]
	s_add_u32 s7, s4, 8
	s_addc_u32 s10, s5, 0
	s_add_u32 s11, s4, 48
	s_addc_u32 s12, s5, 0
	s_waitcnt lgkmcnt(0)
	s_bitcmp1_b32 s3, 0
	s_cselect_b32 s0, s7, s0
	s_cselect_b32 s1, s10, s1
	v_mov_b32_e32 v1, s0
	v_mov_b32_e32 v2, s1
	s_cselect_b32 s0, s11, s8
	s_cselect_b32 s1, s12, s9
	v_mov_b32_e32 v3, s0
	v_mov_b32_e32 v4, s1
	flat_load_dwordx2 v[1:2], v[1:2]
	flat_load_dwordx2 v[3:4], v[3:4]
	s_waitcnt vmcnt(1) lgkmcnt(1)
	v_cmp_eq_f32_e32 vcc_lo, 0, v1
	v_cmp_eq_f32_e64 s0, 0, v2
	s_and_b32 s3, vcc_lo, s0
	s_mov_b32 s0, -1
	s_and_saveexec_b32 s1, s3
	s_cbranch_execz .LBB93_2
; %bb.1:
	s_waitcnt vmcnt(0) lgkmcnt(0)
	v_cmp_neq_f32_e32 vcc_lo, 1.0, v3
	v_cmp_neq_f32_e64 s0, 0, v4
	s_or_b32 s0, vcc_lo, s0
	s_orn2_b32 s0, s0, exec_lo
.LBB93_2:
	s_or_b32 exec_lo, exec_lo, s1
	s_and_saveexec_b32 s1, s0
	s_cbranch_execz .LBB93_21
; %bb.3:
	s_load_dwordx2 s[0:1], s[4:5], 0x0
	v_lshrrev_b32_e32 v5, 6, v0
	v_lshl_or_b32 v5, s6, 1, v5
	s_waitcnt lgkmcnt(0)
	v_cmp_gt_i32_e32 vcc_lo, s0, v5
	s_and_b32 exec_lo, exec_lo, vcc_lo
	s_cbranch_execz .LBB93_21
; %bb.4:
	s_load_dwordx8 s[8:15], s[4:5], 0x10
	v_ashrrev_i32_e32 v6, 31, v5
	v_and_b32_e32 v0, 63, v0
	s_cmp_lg_u32 s1, 0
	v_lshlrev_b64 v[6:7], 2, v[5:6]
	s_waitcnt lgkmcnt(0)
	v_add_co_u32 v6, vcc_lo, s8, v6
	v_add_co_ci_u32_e64 v7, null, s9, v7, vcc_lo
	global_load_dwordx2 v[6:7], v[6:7], off
	s_waitcnt vmcnt(0)
	v_subrev_nc_u32_e32 v6, s2, v6
	v_subrev_nc_u32_e32 v16, s2, v7
	v_add_nc_u32_e32 v6, v6, v0
	v_cmp_lt_i32_e64 s0, v6, v16
	s_cbranch_scc0 .LBB93_10
; %bb.5:
	v_mov_b32_e32 v13, 0
	v_mov_b32_e32 v17, 0
	;; [unrolled: 1-line block ×6, first 2 shown]
	s_and_saveexec_b32 s1, s0
	s_cbranch_execz .LBB93_9
; %bb.6:
	v_mad_u64_u32 v[7:8], null, v6, 15, 14
	v_mov_b32_e32 v10, 0
	v_mov_b32_e32 v11, v6
	;; [unrolled: 1-line block ×8, first 2 shown]
	s_mov_b32 s3, 0
.LBB93_7:                               ; =>This Inner Loop Header: Depth=1
	v_ashrrev_i32_e32 v12, 31, v11
	v_mov_b32_e32 v21, v10
	v_lshlrev_b64 v[8:9], 2, v[11:12]
	v_add_nc_u32_e32 v11, 64, v11
	v_add_co_u32 v8, vcc_lo, s10, v8
	v_add_co_ci_u32_e64 v9, null, s11, v9, vcc_lo
	global_load_dword v12, v[8:9], off
	v_add_nc_u32_e32 v9, -14, v7
	v_mov_b32_e32 v8, v10
	v_lshlrev_b64 v[22:23], 3, v[9:10]
	v_add_nc_u32_e32 v9, -13, v7
	v_lshlrev_b64 v[24:25], 3, v[7:8]
	v_lshlrev_b64 v[26:27], 3, v[9:10]
	v_add_nc_u32_e32 v9, -12, v7
	v_add_co_u32 v22, vcc_lo, s12, v22
	v_add_co_ci_u32_e64 v23, null, s13, v23, vcc_lo
	v_lshlrev_b64 v[28:29], 3, v[9:10]
	v_add_nc_u32_e32 v9, -11, v7
	v_add_co_u32 v24, vcc_lo, s12, v24
	v_add_co_ci_u32_e64 v25, null, s13, v25, vcc_lo
	v_lshlrev_b64 v[8:9], 3, v[9:10]
	v_add_co_u32 v26, vcc_lo, s12, v26
	v_add_co_ci_u32_e64 v27, null, s13, v27, vcc_lo
	v_add_co_u32 v28, vcc_lo, s12, v28
	v_add_co_ci_u32_e64 v29, null, s13, v29, vcc_lo
	;; [unrolled: 2-line block ×3, first 2 shown]
	s_clause 0x3
	global_load_dwordx2 v[22:23], v[22:23], off
	global_load_dwordx2 v[26:27], v[26:27], off
	;; [unrolled: 1-line block ×4, first 2 shown]
	s_waitcnt vmcnt(4)
	v_subrev_nc_u32_e32 v8, s2, v12
	v_lshl_add_u32 v20, v8, 2, v8
	v_add_nc_u32_e32 v9, 1, v20
	v_lshlrev_b64 v[32:33], 3, v[20:21]
	v_lshlrev_b64 v[34:35], 3, v[9:10]
	v_add_nc_u32_e32 v9, -10, v7
	v_add_co_u32 v32, vcc_lo, s14, v32
	v_add_co_ci_u32_e64 v33, null, s15, v33, vcc_lo
	v_lshlrev_b64 v[36:37], 3, v[9:10]
	v_add_nc_u32_e32 v9, -9, v7
	v_add_co_u32 v34, vcc_lo, s14, v34
	v_add_co_ci_u32_e64 v35, null, s15, v35, vcc_lo
	v_lshlrev_b64 v[38:39], 3, v[9:10]
	v_add_nc_u32_e32 v9, -8, v7
	v_add_co_u32 v36, vcc_lo, s12, v36
	s_clause 0x1
	global_load_dwordx2 v[32:33], v[32:33], off
	global_load_dwordx2 v[34:35], v[34:35], off
	v_lshlrev_b64 v[40:41], 3, v[9:10]
	v_add_nc_u32_e32 v9, 2, v20
	v_add_co_ci_u32_e64 v37, null, s13, v37, vcc_lo
	v_add_co_u32 v38, vcc_lo, s12, v38
	v_lshlrev_b64 v[42:43], 3, v[9:10]
	v_add_nc_u32_e32 v9, -7, v7
	v_add_co_ci_u32_e64 v39, null, s13, v39, vcc_lo
	v_add_co_u32 v40, vcc_lo, s12, v40
	v_lshlrev_b64 v[44:45], 3, v[9:10]
	v_add_nc_u32_e32 v9, -6, v7
	;; [unrolled: 4-line block ×3, first 2 shown]
	v_add_co_ci_u32_e64 v43, null, s15, v43, vcc_lo
	v_add_co_u32 v44, vcc_lo, s12, v44
	v_lshlrev_b64 v[48:49], 3, v[9:10]
	v_add_nc_u32_e32 v9, 3, v20
	v_add_co_ci_u32_e64 v45, null, s13, v45, vcc_lo
	v_add_co_u32 v46, vcc_lo, s12, v46
	v_lshlrev_b64 v[50:51], 3, v[9:10]
	v_add_nc_u32_e32 v9, -4, v7
	s_clause 0x2
	global_load_dwordx2 v[36:37], v[36:37], off
	global_load_dwordx2 v[38:39], v[38:39], off
	;; [unrolled: 1-line block ×3, first 2 shown]
	v_add_co_ci_u32_e64 v47, null, s13, v47, vcc_lo
	v_lshlrev_b64 v[52:53], 3, v[9:10]
	v_add_nc_u32_e32 v9, -3, v7
	v_add_co_u32 v48, vcc_lo, s12, v48
	v_add_co_ci_u32_e64 v49, null, s13, v49, vcc_lo
	v_add_co_u32 v50, vcc_lo, s14, v50
	v_lshlrev_b64 v[54:55], 3, v[9:10]
	v_add_nc_u32_e32 v9, -2, v7
	v_add_co_ci_u32_e64 v51, null, s15, v51, vcc_lo
	v_add_co_u32 v52, vcc_lo, s12, v52
	v_add_co_ci_u32_e64 v53, null, s13, v53, vcc_lo
	v_lshlrev_b64 v[56:57], 3, v[9:10]
	v_add_nc_u32_e32 v9, 4, v20
	global_load_dwordx2 v[42:43], v[42:43], off
	s_clause 0x3
	global_load_dwordx2 v[44:45], v[44:45], off
	global_load_dwordx2 v[46:47], v[46:47], off
	global_load_dwordx2 v[48:49], v[48:49], off
	global_load_dwordx2 v[20:21], v[52:53], off
	v_add_co_u32 v52, vcc_lo, s12, v54
	v_add_co_ci_u32_e64 v53, null, s13, v55, vcc_lo
	v_lshlrev_b64 v[54:55], 3, v[9:10]
	v_add_nc_u32_e32 v9, -1, v7
	global_load_dwordx2 v[50:51], v[50:51], off
	v_add_co_u32 v56, vcc_lo, s12, v56
	global_load_dwordx2 v[52:53], v[52:53], off
	v_lshlrev_b64 v[8:9], 3, v[9:10]
	v_add_co_ci_u32_e64 v57, null, s13, v57, vcc_lo
	v_add_co_u32 v54, vcc_lo, s14, v54
	v_add_co_ci_u32_e64 v55, null, s15, v55, vcc_lo
	v_add_co_u32 v8, vcc_lo, s12, v8
	v_add_co_ci_u32_e64 v9, null, s13, v9, vcc_lo
	global_load_dwordx2 v[56:57], v[56:57], off
	global_load_dwordx2 v[54:55], v[54:55], off
	s_clause 0x1
	global_load_dwordx2 v[8:9], v[8:9], off
	global_load_dwordx2 v[24:25], v[24:25], off
	v_cmp_ge_i32_e32 vcc_lo, v11, v16
	v_add_nc_u32_e32 v7, 0x3c0, v7
	s_or_b32 s3, vcc_lo, s3
	s_waitcnt vmcnt(15)
	v_fmac_f32_e32 v17, v22, v32
	v_fmac_f32_e32 v13, v23, v32
	v_fmac_f32_e32 v19, v26, v32
	v_fmac_f32_e32 v15, v27, v32
	v_fmac_f32_e32 v18, v28, v32
	v_fmac_f32_e32 v14, v29, v32
	v_fma_f32 v12, -v23, v33, v17
	v_fmac_f32_e32 v13, v22, v33
	v_fma_f32 v17, -v27, v33, v19
	v_fmac_f32_e32 v15, v26, v33
	;; [unrolled: 2-line block ×3, first 2 shown]
	s_waitcnt vmcnt(14)
	v_fmac_f32_e32 v12, v30, v34
	v_fmac_f32_e32 v13, v31, v34
	v_fma_f32 v12, -v31, v35, v12
	v_fmac_f32_e32 v13, v30, v35
	s_waitcnt vmcnt(13)
	v_fmac_f32_e32 v17, v36, v34
	v_fmac_f32_e32 v15, v37, v34
	s_waitcnt vmcnt(12)
	v_fmac_f32_e32 v18, v38, v34
	v_fmac_f32_e32 v14, v39, v34
	v_fma_f32 v17, -v37, v35, v17
	v_fmac_f32_e32 v15, v36, v35
	v_fma_f32 v18, -v39, v35, v18
	v_fmac_f32_e32 v14, v38, v35
	s_waitcnt vmcnt(10)
	v_fmac_f32_e32 v12, v40, v42
	v_fmac_f32_e32 v13, v41, v42
	s_waitcnt vmcnt(9)
	v_fmac_f32_e32 v17, v44, v42
	;; [unrolled: 3-line block ×3, first 2 shown]
	v_fmac_f32_e32 v14, v47, v42
	v_fma_f32 v12, -v41, v43, v12
	v_fmac_f32_e32 v13, v40, v43
	v_fma_f32 v17, -v45, v43, v17
	;; [unrolled: 2-line block ×3, first 2 shown]
	v_fmac_f32_e32 v14, v46, v43
	s_waitcnt vmcnt(5)
	v_fmac_f32_e32 v12, v48, v50
	v_fmac_f32_e32 v13, v49, v50
	;; [unrolled: 1-line block ×4, first 2 shown]
	s_waitcnt vmcnt(4)
	v_fmac_f32_e32 v18, v52, v50
	v_fmac_f32_e32 v14, v53, v50
	v_fma_f32 v12, -v49, v51, v12
	v_fmac_f32_e32 v13, v48, v51
	v_fma_f32 v19, -v21, v51, v17
	;; [unrolled: 2-line block ×3, first 2 shown]
	v_fmac_f32_e32 v14, v52, v51
	s_waitcnt vmcnt(2)
	v_fmac_f32_e32 v12, v56, v54
	v_fmac_f32_e32 v13, v57, v54
	s_waitcnt vmcnt(1)
	v_fmac_f32_e32 v19, v8, v54
	;; [unrolled: 3-line block ×3, first 2 shown]
	v_fmac_f32_e32 v14, v25, v54
	v_fma_f32 v17, -v57, v55, v12
	v_fmac_f32_e32 v13, v56, v55
	v_fma_f32 v19, -v9, v55, v19
	;; [unrolled: 2-line block ×3, first 2 shown]
	v_fmac_f32_e32 v14, v24, v55
	s_andn2_b32 exec_lo, exec_lo, s3
	s_cbranch_execnz .LBB93_7
; %bb.8:
	s_or_b32 exec_lo, exec_lo, s3
.LBB93_9:
	s_or_b32 exec_lo, exec_lo, s1
	s_cbranch_execz .LBB93_11
	s_branch .LBB93_16
.LBB93_10:
                                        ; implicit-def: $vgpr13
                                        ; implicit-def: $vgpr17
                                        ; implicit-def: $vgpr18
                                        ; implicit-def: $vgpr14
                                        ; implicit-def: $vgpr19
                                        ; implicit-def: $vgpr15
.LBB93_11:
	v_mov_b32_e32 v13, 0
	v_mov_b32_e32 v17, 0
	;; [unrolled: 1-line block ×6, first 2 shown]
	s_and_saveexec_b32 s1, s0
	s_cbranch_execz .LBB93_15
; %bb.12:
	v_mad_u64_u32 v[8:9], null, v6, 15, 14
	v_mov_b32_e32 v11, 0
	v_mov_b32_e32 v13, 0
	;; [unrolled: 1-line block ×7, first 2 shown]
	s_mov_b32 s0, 0
.LBB93_13:                              ; =>This Inner Loop Header: Depth=1
	v_ashrrev_i32_e32 v7, 31, v6
	v_add_nc_u32_e32 v20, -9, v8
	v_mov_b32_e32 v21, v11
	v_add_nc_u32_e32 v22, -4, v8
	v_mov_b32_e32 v23, v11
	v_lshlrev_b64 v[9:10], 2, v[6:7]
	v_mov_b32_e32 v24, v11
	v_lshlrev_b64 v[20:21], 3, v[20:21]
	v_add_nc_u32_e32 v6, 64, v6
	v_lshlrev_b64 v[22:23], 3, v[22:23]
	v_add_co_u32 v9, vcc_lo, s10, v9
	v_add_co_ci_u32_e64 v10, null, s11, v10, vcc_lo
	global_load_dword v7, v[9:10], off
	v_add_nc_u32_e32 v10, -14, v8
	v_mov_b32_e32 v9, v11
	v_lshlrev_b64 v[25:26], 3, v[10:11]
	v_add_nc_u32_e32 v10, -13, v8
	v_lshlrev_b64 v[27:28], 3, v[8:9]
	v_lshlrev_b64 v[9:10], 3, v[10:11]
	v_add_co_u32 v25, vcc_lo, s12, v25
	v_add_co_ci_u32_e64 v26, null, s13, v26, vcc_lo
	v_add_co_u32 v20, vcc_lo, s12, v20
	v_add_co_ci_u32_e64 v21, null, s13, v21, vcc_lo
	;; [unrolled: 2-line block ×5, first 2 shown]
	s_clause 0x3
	global_load_dwordx2 v[25:26], v[25:26], off
	global_load_dwordx2 v[20:21], v[20:21], off
	;; [unrolled: 1-line block ×4, first 2 shown]
	s_waitcnt vmcnt(4)
	v_subrev_nc_u32_e32 v7, s2, v7
	v_lshl_add_u32 v23, v7, 2, v7
	v_add_nc_u32_e32 v10, 1, v23
	v_lshlrev_b64 v[33:34], 3, v[23:24]
	v_lshlrev_b64 v[35:36], 3, v[10:11]
	v_add_nc_u32_e32 v10, -8, v8
	v_add_co_u32 v33, vcc_lo, s14, v33
	v_add_co_ci_u32_e64 v34, null, s15, v34, vcc_lo
	v_lshlrev_b64 v[37:38], 3, v[10:11]
	v_add_nc_u32_e32 v10, -3, v8
	v_add_co_u32 v35, vcc_lo, s14, v35
	v_add_co_ci_u32_e64 v36, null, s15, v36, vcc_lo
	v_lshlrev_b64 v[39:40], 3, v[10:11]
	v_add_nc_u32_e32 v10, -12, v8
	v_add_co_u32 v37, vcc_lo, s12, v37
	s_clause 0x1
	global_load_dwordx2 v[33:34], v[33:34], off
	global_load_dwordx2 v[35:36], v[35:36], off
	v_lshlrev_b64 v[41:42], 3, v[10:11]
	v_add_nc_u32_e32 v10, 2, v23
	v_add_co_ci_u32_e64 v38, null, s13, v38, vcc_lo
	v_add_co_u32 v39, vcc_lo, s12, v39
	v_lshlrev_b64 v[43:44], 3, v[10:11]
	v_add_nc_u32_e32 v10, -7, v8
	v_add_co_ci_u32_e64 v40, null, s13, v40, vcc_lo
	v_add_co_u32 v41, vcc_lo, s12, v41
	v_lshlrev_b64 v[45:46], 3, v[10:11]
	v_add_nc_u32_e32 v10, -2, v8
	;; [unrolled: 4-line block ×3, first 2 shown]
	v_add_co_ci_u32_e64 v44, null, s15, v44, vcc_lo
	v_add_co_u32 v45, vcc_lo, s12, v45
	v_lshlrev_b64 v[49:50], 3, v[10:11]
	v_add_nc_u32_e32 v10, 3, v23
	v_add_co_ci_u32_e64 v46, null, s13, v46, vcc_lo
	v_add_co_u32 v47, vcc_lo, s12, v47
	v_lshlrev_b64 v[51:52], 3, v[10:11]
	v_add_nc_u32_e32 v10, -6, v8
	s_clause 0x2
	global_load_dwordx2 v[37:38], v[37:38], off
	global_load_dwordx2 v[39:40], v[39:40], off
	;; [unrolled: 1-line block ×3, first 2 shown]
	v_add_co_ci_u32_e64 v48, null, s13, v48, vcc_lo
	v_lshlrev_b64 v[53:54], 3, v[10:11]
	v_add_nc_u32_e32 v10, -1, v8
	v_add_co_u32 v49, vcc_lo, s12, v49
	v_add_co_ci_u32_e64 v50, null, s13, v50, vcc_lo
	v_add_co_u32 v51, vcc_lo, s14, v51
	v_lshlrev_b64 v[55:56], 3, v[10:11]
	v_add_nc_u32_e32 v10, -10, v8
	v_add_co_ci_u32_e64 v52, null, s15, v52, vcc_lo
	v_add_co_u32 v53, vcc_lo, s12, v53
	v_add_co_ci_u32_e64 v54, null, s13, v54, vcc_lo
	v_lshlrev_b64 v[57:58], 3, v[10:11]
	v_add_nc_u32_e32 v10, 4, v23
	global_load_dwordx2 v[43:44], v[43:44], off
	s_clause 0x3
	global_load_dwordx2 v[45:46], v[45:46], off
	global_load_dwordx2 v[47:48], v[47:48], off
	global_load_dwordx2 v[49:50], v[49:50], off
	global_load_dwordx2 v[22:23], v[53:54], off
	v_add_co_u32 v53, vcc_lo, s12, v55
	v_add_co_ci_u32_e64 v54, null, s13, v56, vcc_lo
	v_lshlrev_b64 v[55:56], 3, v[10:11]
	v_add_nc_u32_e32 v10, -5, v8
	global_load_dwordx2 v[51:52], v[51:52], off
	v_add_co_u32 v57, vcc_lo, s12, v57
	global_load_dwordx2 v[53:54], v[53:54], off
	v_lshlrev_b64 v[9:10], 3, v[10:11]
	v_add_co_ci_u32_e64 v58, null, s13, v58, vcc_lo
	v_add_co_u32 v55, vcc_lo, s14, v55
	v_add_co_ci_u32_e64 v56, null, s15, v56, vcc_lo
	v_add_co_u32 v9, vcc_lo, s12, v9
	v_add_co_ci_u32_e64 v10, null, s13, v10, vcc_lo
	global_load_dwordx2 v[57:58], v[57:58], off
	global_load_dwordx2 v[55:56], v[55:56], off
	s_clause 0x1
	global_load_dwordx2 v[9:10], v[9:10], off
	global_load_dwordx2 v[27:28], v[27:28], off
	v_cmp_ge_i32_e32 vcc_lo, v6, v16
	v_add_nc_u32_e32 v8, 0x3c0, v8
	s_or_b32 s0, vcc_lo, s0
	s_waitcnt vmcnt(15)
	v_fmac_f32_e32 v17, v25, v33
	v_fmac_f32_e32 v13, v26, v33
	;; [unrolled: 1-line block ×6, first 2 shown]
	v_fma_f32 v7, -v26, v34, v17
	v_fmac_f32_e32 v13, v25, v34
	v_fma_f32 v12, -v21, v34, v19
	v_fmac_f32_e32 v15, v20, v34
	;; [unrolled: 2-line block ×3, first 2 shown]
	s_waitcnt vmcnt(14)
	v_fmac_f32_e32 v7, v31, v35
	v_fmac_f32_e32 v13, v32, v35
	v_fma_f32 v7, -v32, v36, v7
	v_fmac_f32_e32 v13, v31, v36
	s_waitcnt vmcnt(13)
	v_fmac_f32_e32 v12, v37, v35
	v_fmac_f32_e32 v15, v38, v35
	s_waitcnt vmcnt(12)
	v_fmac_f32_e32 v17, v39, v35
	v_fmac_f32_e32 v14, v40, v35
	v_fma_f32 v12, -v38, v36, v12
	v_fmac_f32_e32 v15, v37, v36
	v_fma_f32 v17, -v40, v36, v17
	v_fmac_f32_e32 v14, v39, v36
	s_waitcnt vmcnt(10)
	v_fmac_f32_e32 v7, v41, v43
	v_fmac_f32_e32 v13, v42, v43
	s_waitcnt vmcnt(9)
	v_fmac_f32_e32 v12, v45, v43
	;; [unrolled: 3-line block ×3, first 2 shown]
	v_fmac_f32_e32 v14, v48, v43
	v_fma_f32 v7, -v42, v44, v7
	v_fmac_f32_e32 v13, v41, v44
	v_fma_f32 v12, -v46, v44, v12
	;; [unrolled: 2-line block ×3, first 2 shown]
	v_fmac_f32_e32 v14, v47, v44
	s_waitcnt vmcnt(5)
	v_fmac_f32_e32 v7, v49, v51
	v_fmac_f32_e32 v13, v50, v51
	v_fmac_f32_e32 v12, v22, v51
	v_fmac_f32_e32 v15, v23, v51
	s_waitcnt vmcnt(4)
	v_fmac_f32_e32 v17, v53, v51
	v_fmac_f32_e32 v14, v54, v51
	v_fma_f32 v7, -v50, v52, v7
	v_fmac_f32_e32 v13, v49, v52
	v_fma_f32 v12, -v23, v52, v12
	v_fmac_f32_e32 v15, v22, v52
	v_fma_f32 v18, -v54, v52, v17
	v_fmac_f32_e32 v14, v53, v52
	s_waitcnt vmcnt(2)
	v_fmac_f32_e32 v7, v57, v55
	v_fmac_f32_e32 v13, v58, v55
	s_waitcnt vmcnt(1)
	v_fmac_f32_e32 v12, v9, v55
	;; [unrolled: 3-line block ×3, first 2 shown]
	v_fmac_f32_e32 v14, v28, v55
	v_fma_f32 v17, -v58, v56, v7
	v_fmac_f32_e32 v13, v57, v56
	v_fma_f32 v19, -v10, v56, v12
	;; [unrolled: 2-line block ×3, first 2 shown]
	v_fmac_f32_e32 v14, v27, v56
	s_andn2_b32 exec_lo, exec_lo, s0
	s_cbranch_execnz .LBB93_13
; %bb.14:
	s_or_b32 exec_lo, exec_lo, s0
.LBB93_15:
	s_or_b32 exec_lo, exec_lo, s1
.LBB93_16:
	v_mbcnt_lo_u32_b32 v6, -1, 0
	v_or_b32_e32 v7, 32, v6
	v_xor_b32_e32 v16, 16, v6
	v_cmp_gt_i32_e32 vcc_lo, 32, v7
	v_cndmask_b32_e32 v7, v6, v7, vcc_lo
	v_cmp_gt_i32_e32 vcc_lo, 32, v16
	v_lshlrev_b32_e32 v7, 2, v7
	v_cndmask_b32_e32 v16, v6, v16, vcc_lo
	ds_bpermute_b32 v8, v7, v17
	ds_bpermute_b32 v9, v7, v13
	;; [unrolled: 1-line block ×6, first 2 shown]
	v_lshlrev_b32_e32 v16, 2, v16
	s_waitcnt lgkmcnt(5)
	v_add_f32_e32 v8, v17, v8
	s_waitcnt lgkmcnt(4)
	v_add_f32_e32 v9, v13, v9
	;; [unrolled: 2-line block ×6, first 2 shown]
	ds_bpermute_b32 v13, v16, v8
	ds_bpermute_b32 v14, v16, v9
	ds_bpermute_b32 v15, v16, v10
	ds_bpermute_b32 v17, v16, v11
	ds_bpermute_b32 v18, v16, v12
	ds_bpermute_b32 v16, v16, v7
	v_xor_b32_e32 v19, 8, v6
	v_cmp_gt_i32_e32 vcc_lo, 32, v19
	v_cndmask_b32_e32 v19, v6, v19, vcc_lo
	s_waitcnt lgkmcnt(5)
	v_add_f32_e32 v8, v8, v13
	v_lshlrev_b32_e32 v19, 2, v19
	s_waitcnt lgkmcnt(4)
	v_add_f32_e32 v9, v9, v14
	s_waitcnt lgkmcnt(3)
	v_add_f32_e32 v10, v10, v15
	s_waitcnt lgkmcnt(2)
	v_add_f32_e32 v11, v11, v17
	s_waitcnt lgkmcnt(1)
	v_add_f32_e32 v12, v12, v18
	s_waitcnt lgkmcnt(0)
	v_add_f32_e32 v7, v7, v16
	ds_bpermute_b32 v13, v19, v8
	ds_bpermute_b32 v14, v19, v9
	ds_bpermute_b32 v15, v19, v10
	ds_bpermute_b32 v16, v19, v11
	ds_bpermute_b32 v17, v19, v12
	ds_bpermute_b32 v18, v19, v7
	v_xor_b32_e32 v19, 4, v6
	v_cmp_gt_i32_e32 vcc_lo, 32, v19
	v_cndmask_b32_e32 v19, v6, v19, vcc_lo
	s_waitcnt lgkmcnt(5)
	v_add_f32_e32 v8, v8, v13
	v_lshlrev_b32_e32 v19, 2, v19
	s_waitcnt lgkmcnt(4)
	v_add_f32_e32 v9, v9, v14
	s_waitcnt lgkmcnt(3)
	v_add_f32_e32 v10, v10, v15
	s_waitcnt lgkmcnt(2)
	v_add_f32_e32 v11, v11, v16
	s_waitcnt lgkmcnt(1)
	v_add_f32_e32 v12, v12, v17
	s_waitcnt lgkmcnt(0)
	v_add_f32_e32 v7, v7, v18
	;; [unrolled: 22-line block ×3, first 2 shown]
	ds_bpermute_b32 v7, v19, v8
	ds_bpermute_b32 v11, v19, v9
	;; [unrolled: 1-line block ×6, first 2 shown]
	v_xor_b32_e32 v19, 1, v6
	v_cmp_gt_i32_e32 vcc_lo, 32, v19
	v_cndmask_b32_e32 v6, v6, v19, vcc_lo
	v_cmp_eq_u32_e32 vcc_lo, 63, v0
	v_lshlrev_b32_e32 v19, 2, v6
	s_waitcnt lgkmcnt(5)
	v_add_f32_e32 v6, v8, v7
	s_waitcnt lgkmcnt(4)
	v_add_f32_e32 v9, v9, v11
	;; [unrolled: 2-line block ×6, first 2 shown]
	ds_bpermute_b32 v10, v19, v6
	ds_bpermute_b32 v15, v19, v9
	;; [unrolled: 1-line block ×6, first 2 shown]
	s_and_b32 exec_lo, exec_lo, vcc_lo
	s_cbranch_execz .LBB93_21
; %bb.17:
	s_load_dwordx2 s[2:3], s[4:5], 0x38
	v_cmp_eq_f32_e32 vcc_lo, 0, v3
	v_cmp_eq_f32_e64 s0, 0, v4
	s_waitcnt lgkmcnt(0)
	v_add_f32_e32 v0, v6, v10
	v_add_f32_e32 v10, v9, v15
	;; [unrolled: 1-line block ×6, first 2 shown]
	s_and_b32 s0, vcc_lo, s0
	s_and_saveexec_b32 s1, s0
	s_xor_b32 s0, exec_lo, s1
	s_cbranch_execz .LBB93_19
; %bb.18:
	v_lshl_add_u32 v3, v5, 1, v5
	v_mul_f32_e64 v11, v10, -v2
	v_mul_f32_e32 v12, v1, v10
	v_mul_f32_e64 v13, v9, -v2
	v_mul_f32_e32 v14, v1, v9
	v_ashrrev_i32_e32 v4, 31, v3
	v_mul_f32_e64 v9, v8, -v2
	v_mul_f32_e32 v10, v1, v8
	v_fmac_f32_e32 v11, v1, v0
	v_fmac_f32_e32 v12, v2, v0
	v_lshlrev_b64 v[3:4], 3, v[3:4]
	v_fmac_f32_e32 v13, v1, v6
	v_fmac_f32_e32 v14, v2, v6
	;; [unrolled: 1-line block ×4, first 2 shown]
                                        ; implicit-def: $vgpr5
                                        ; implicit-def: $vgpr0
                                        ; implicit-def: $vgpr6
                                        ; implicit-def: $vgpr7
                                        ; implicit-def: $vgpr8
                                        ; implicit-def: $vgpr1_vgpr2
	v_add_co_u32 v3, vcc_lo, s2, v3
	v_add_co_ci_u32_e64 v4, null, s3, v4, vcc_lo
	global_store_dwordx4 v[3:4], v[11:14], off
	global_store_dwordx2 v[3:4], v[9:10], off offset:16
                                        ; implicit-def: $vgpr10
                                        ; implicit-def: $vgpr9
                                        ; implicit-def: $vgpr3_vgpr4
.LBB93_19:
	s_andn2_saveexec_b32 s0, s0
	s_cbranch_execz .LBB93_21
; %bb.20:
	v_lshl_add_u32 v11, v5, 1, v5
	v_mul_f32_e64 v15, v10, -v2
	v_mul_f32_e32 v16, v1, v10
	v_mul_f32_e64 v10, v9, -v2
	v_mul_f32_e32 v18, v1, v9
	v_ashrrev_i32_e32 v12, 31, v11
	v_mul_f32_e64 v9, v8, -v2
	v_mul_f32_e32 v5, v1, v8
	v_fmac_f32_e32 v15, v1, v0
	v_fmac_f32_e32 v16, v2, v0
	v_lshlrev_b64 v[11:12], 3, v[11:12]
	v_fmac_f32_e32 v10, v1, v6
	v_fmac_f32_e32 v18, v2, v6
	v_fmac_f32_e32 v9, v1, v7
	v_fmac_f32_e32 v5, v2, v7
	v_add_co_u32 v19, vcc_lo, s2, v11
	v_add_co_ci_u32_e64 v20, null, s3, v12, vcc_lo
	s_clause 0x1
	global_load_dwordx4 v[11:14], v[19:20], off
	global_load_dwordx2 v[21:22], v[19:20], off offset:16
	s_waitcnt vmcnt(1)
	v_fmac_f32_e32 v15, v3, v11
	v_fmac_f32_e32 v16, v4, v11
	;; [unrolled: 1-line block ×4, first 2 shown]
	s_waitcnt vmcnt(0)
	v_fmac_f32_e32 v9, v3, v21
	v_fmac_f32_e32 v5, v4, v21
	v_fma_f32 v15, -v4, v12, v15
	v_fmac_f32_e32 v16, v3, v12
	v_fma_f32 v17, -v4, v14, v10
	;; [unrolled: 2-line block ×3, first 2 shown]
	v_fmac_f32_e32 v5, v3, v22
	global_store_dwordx4 v[19:20], v[15:18], off
	global_store_dwordx2 v[19:20], v[4:5], off offset:16
.LBB93_21:
	s_endpgm
	.section	.rodata,"a",@progbits
	.p2align	6, 0x0
	.amdhsa_kernel _ZN9rocsparseL19gebsrmvn_3xn_kernelILj128ELj5ELj64E21rocsparse_complex_numIfEEEvi20rocsparse_direction_NS_24const_host_device_scalarIT2_EEPKiS8_PKS5_SA_S6_PS5_21rocsparse_index_base_b
		.amdhsa_group_segment_fixed_size 0
		.amdhsa_private_segment_fixed_size 0
		.amdhsa_kernarg_size 72
		.amdhsa_user_sgpr_count 6
		.amdhsa_user_sgpr_private_segment_buffer 1
		.amdhsa_user_sgpr_dispatch_ptr 0
		.amdhsa_user_sgpr_queue_ptr 0
		.amdhsa_user_sgpr_kernarg_segment_ptr 1
		.amdhsa_user_sgpr_dispatch_id 0
		.amdhsa_user_sgpr_flat_scratch_init 0
		.amdhsa_user_sgpr_private_segment_size 0
		.amdhsa_wavefront_size32 1
		.amdhsa_uses_dynamic_stack 0
		.amdhsa_system_sgpr_private_segment_wavefront_offset 0
		.amdhsa_system_sgpr_workgroup_id_x 1
		.amdhsa_system_sgpr_workgroup_id_y 0
		.amdhsa_system_sgpr_workgroup_id_z 0
		.amdhsa_system_sgpr_workgroup_info 0
		.amdhsa_system_vgpr_workitem_id 0
		.amdhsa_next_free_vgpr 59
		.amdhsa_next_free_sgpr 16
		.amdhsa_reserve_vcc 1
		.amdhsa_reserve_flat_scratch 0
		.amdhsa_float_round_mode_32 0
		.amdhsa_float_round_mode_16_64 0
		.amdhsa_float_denorm_mode_32 3
		.amdhsa_float_denorm_mode_16_64 3
		.amdhsa_dx10_clamp 1
		.amdhsa_ieee_mode 1
		.amdhsa_fp16_overflow 0
		.amdhsa_workgroup_processor_mode 1
		.amdhsa_memory_ordered 1
		.amdhsa_forward_progress 1
		.amdhsa_shared_vgpr_count 0
		.amdhsa_exception_fp_ieee_invalid_op 0
		.amdhsa_exception_fp_denorm_src 0
		.amdhsa_exception_fp_ieee_div_zero 0
		.amdhsa_exception_fp_ieee_overflow 0
		.amdhsa_exception_fp_ieee_underflow 0
		.amdhsa_exception_fp_ieee_inexact 0
		.amdhsa_exception_int_div_zero 0
	.end_amdhsa_kernel
	.section	.text._ZN9rocsparseL19gebsrmvn_3xn_kernelILj128ELj5ELj64E21rocsparse_complex_numIfEEEvi20rocsparse_direction_NS_24const_host_device_scalarIT2_EEPKiS8_PKS5_SA_S6_PS5_21rocsparse_index_base_b,"axG",@progbits,_ZN9rocsparseL19gebsrmvn_3xn_kernelILj128ELj5ELj64E21rocsparse_complex_numIfEEEvi20rocsparse_direction_NS_24const_host_device_scalarIT2_EEPKiS8_PKS5_SA_S6_PS5_21rocsparse_index_base_b,comdat
.Lfunc_end93:
	.size	_ZN9rocsparseL19gebsrmvn_3xn_kernelILj128ELj5ELj64E21rocsparse_complex_numIfEEEvi20rocsparse_direction_NS_24const_host_device_scalarIT2_EEPKiS8_PKS5_SA_S6_PS5_21rocsparse_index_base_b, .Lfunc_end93-_ZN9rocsparseL19gebsrmvn_3xn_kernelILj128ELj5ELj64E21rocsparse_complex_numIfEEEvi20rocsparse_direction_NS_24const_host_device_scalarIT2_EEPKiS8_PKS5_SA_S6_PS5_21rocsparse_index_base_b
                                        ; -- End function
	.set _ZN9rocsparseL19gebsrmvn_3xn_kernelILj128ELj5ELj64E21rocsparse_complex_numIfEEEvi20rocsparse_direction_NS_24const_host_device_scalarIT2_EEPKiS8_PKS5_SA_S6_PS5_21rocsparse_index_base_b.num_vgpr, 59
	.set _ZN9rocsparseL19gebsrmvn_3xn_kernelILj128ELj5ELj64E21rocsparse_complex_numIfEEEvi20rocsparse_direction_NS_24const_host_device_scalarIT2_EEPKiS8_PKS5_SA_S6_PS5_21rocsparse_index_base_b.num_agpr, 0
	.set _ZN9rocsparseL19gebsrmvn_3xn_kernelILj128ELj5ELj64E21rocsparse_complex_numIfEEEvi20rocsparse_direction_NS_24const_host_device_scalarIT2_EEPKiS8_PKS5_SA_S6_PS5_21rocsparse_index_base_b.numbered_sgpr, 16
	.set _ZN9rocsparseL19gebsrmvn_3xn_kernelILj128ELj5ELj64E21rocsparse_complex_numIfEEEvi20rocsparse_direction_NS_24const_host_device_scalarIT2_EEPKiS8_PKS5_SA_S6_PS5_21rocsparse_index_base_b.num_named_barrier, 0
	.set _ZN9rocsparseL19gebsrmvn_3xn_kernelILj128ELj5ELj64E21rocsparse_complex_numIfEEEvi20rocsparse_direction_NS_24const_host_device_scalarIT2_EEPKiS8_PKS5_SA_S6_PS5_21rocsparse_index_base_b.private_seg_size, 0
	.set _ZN9rocsparseL19gebsrmvn_3xn_kernelILj128ELj5ELj64E21rocsparse_complex_numIfEEEvi20rocsparse_direction_NS_24const_host_device_scalarIT2_EEPKiS8_PKS5_SA_S6_PS5_21rocsparse_index_base_b.uses_vcc, 1
	.set _ZN9rocsparseL19gebsrmvn_3xn_kernelILj128ELj5ELj64E21rocsparse_complex_numIfEEEvi20rocsparse_direction_NS_24const_host_device_scalarIT2_EEPKiS8_PKS5_SA_S6_PS5_21rocsparse_index_base_b.uses_flat_scratch, 0
	.set _ZN9rocsparseL19gebsrmvn_3xn_kernelILj128ELj5ELj64E21rocsparse_complex_numIfEEEvi20rocsparse_direction_NS_24const_host_device_scalarIT2_EEPKiS8_PKS5_SA_S6_PS5_21rocsparse_index_base_b.has_dyn_sized_stack, 0
	.set _ZN9rocsparseL19gebsrmvn_3xn_kernelILj128ELj5ELj64E21rocsparse_complex_numIfEEEvi20rocsparse_direction_NS_24const_host_device_scalarIT2_EEPKiS8_PKS5_SA_S6_PS5_21rocsparse_index_base_b.has_recursion, 0
	.set _ZN9rocsparseL19gebsrmvn_3xn_kernelILj128ELj5ELj64E21rocsparse_complex_numIfEEEvi20rocsparse_direction_NS_24const_host_device_scalarIT2_EEPKiS8_PKS5_SA_S6_PS5_21rocsparse_index_base_b.has_indirect_call, 0
	.section	.AMDGPU.csdata,"",@progbits
; Kernel info:
; codeLenInByte = 3836
; TotalNumSgprs: 18
; NumVgprs: 59
; ScratchSize: 0
; MemoryBound: 0
; FloatMode: 240
; IeeeMode: 1
; LDSByteSize: 0 bytes/workgroup (compile time only)
; SGPRBlocks: 0
; VGPRBlocks: 7
; NumSGPRsForWavesPerEU: 18
; NumVGPRsForWavesPerEU: 59
; Occupancy: 16
; WaveLimiterHint : 1
; COMPUTE_PGM_RSRC2:SCRATCH_EN: 0
; COMPUTE_PGM_RSRC2:USER_SGPR: 6
; COMPUTE_PGM_RSRC2:TRAP_HANDLER: 0
; COMPUTE_PGM_RSRC2:TGID_X_EN: 1
; COMPUTE_PGM_RSRC2:TGID_Y_EN: 0
; COMPUTE_PGM_RSRC2:TGID_Z_EN: 0
; COMPUTE_PGM_RSRC2:TIDIG_COMP_CNT: 0
	.section	.text._ZN9rocsparseL19gebsrmvn_3xn_kernelILj128ELj6ELj4E21rocsparse_complex_numIfEEEvi20rocsparse_direction_NS_24const_host_device_scalarIT2_EEPKiS8_PKS5_SA_S6_PS5_21rocsparse_index_base_b,"axG",@progbits,_ZN9rocsparseL19gebsrmvn_3xn_kernelILj128ELj6ELj4E21rocsparse_complex_numIfEEEvi20rocsparse_direction_NS_24const_host_device_scalarIT2_EEPKiS8_PKS5_SA_S6_PS5_21rocsparse_index_base_b,comdat
	.globl	_ZN9rocsparseL19gebsrmvn_3xn_kernelILj128ELj6ELj4E21rocsparse_complex_numIfEEEvi20rocsparse_direction_NS_24const_host_device_scalarIT2_EEPKiS8_PKS5_SA_S6_PS5_21rocsparse_index_base_b ; -- Begin function _ZN9rocsparseL19gebsrmvn_3xn_kernelILj128ELj6ELj4E21rocsparse_complex_numIfEEEvi20rocsparse_direction_NS_24const_host_device_scalarIT2_EEPKiS8_PKS5_SA_S6_PS5_21rocsparse_index_base_b
	.p2align	8
	.type	_ZN9rocsparseL19gebsrmvn_3xn_kernelILj128ELj6ELj4E21rocsparse_complex_numIfEEEvi20rocsparse_direction_NS_24const_host_device_scalarIT2_EEPKiS8_PKS5_SA_S6_PS5_21rocsparse_index_base_b,@function
_ZN9rocsparseL19gebsrmvn_3xn_kernelILj128ELj6ELj4E21rocsparse_complex_numIfEEEvi20rocsparse_direction_NS_24const_host_device_scalarIT2_EEPKiS8_PKS5_SA_S6_PS5_21rocsparse_index_base_b: ; @_ZN9rocsparseL19gebsrmvn_3xn_kernelILj128ELj6ELj4E21rocsparse_complex_numIfEEEvi20rocsparse_direction_NS_24const_host_device_scalarIT2_EEPKiS8_PKS5_SA_S6_PS5_21rocsparse_index_base_b
; %bb.0:
	s_clause 0x2
	s_load_dwordx2 s[2:3], s[4:5], 0x40
	s_load_dwordx2 s[0:1], s[4:5], 0x8
	;; [unrolled: 1-line block ×3, first 2 shown]
	s_add_u32 s7, s4, 8
	s_addc_u32 s10, s5, 0
	s_add_u32 s11, s4, 48
	s_addc_u32 s12, s5, 0
	s_waitcnt lgkmcnt(0)
	s_bitcmp1_b32 s3, 0
	s_cselect_b32 s0, s7, s0
	s_cselect_b32 s1, s10, s1
	v_mov_b32_e32 v1, s0
	v_mov_b32_e32 v2, s1
	s_cselect_b32 s0, s11, s8
	s_cselect_b32 s1, s12, s9
	v_mov_b32_e32 v3, s0
	v_mov_b32_e32 v4, s1
	flat_load_dwordx2 v[1:2], v[1:2]
	flat_load_dwordx2 v[3:4], v[3:4]
	s_waitcnt vmcnt(1) lgkmcnt(1)
	v_cmp_eq_f32_e32 vcc_lo, 0, v1
	v_cmp_eq_f32_e64 s0, 0, v2
	s_and_b32 s3, vcc_lo, s0
	s_mov_b32 s0, -1
	s_and_saveexec_b32 s1, s3
	s_cbranch_execz .LBB94_2
; %bb.1:
	s_waitcnt vmcnt(0) lgkmcnt(0)
	v_cmp_neq_f32_e32 vcc_lo, 1.0, v3
	v_cmp_neq_f32_e64 s0, 0, v4
	s_or_b32 s0, vcc_lo, s0
	s_orn2_b32 s0, s0, exec_lo
.LBB94_2:
	s_or_b32 exec_lo, exec_lo, s1
	s_and_saveexec_b32 s1, s0
	s_cbranch_execz .LBB94_21
; %bb.3:
	s_load_dwordx2 s[0:1], s[4:5], 0x0
	v_lshrrev_b32_e32 v5, 2, v0
	v_lshl_or_b32 v5, s6, 5, v5
	s_waitcnt lgkmcnt(0)
	v_cmp_gt_i32_e32 vcc_lo, s0, v5
	s_and_b32 exec_lo, exec_lo, vcc_lo
	s_cbranch_execz .LBB94_21
; %bb.4:
	s_load_dwordx8 s[8:15], s[4:5], 0x10
	v_ashrrev_i32_e32 v6, 31, v5
	v_and_b32_e32 v0, 3, v0
	s_cmp_lg_u32 s1, 0
	v_lshlrev_b64 v[6:7], 2, v[5:6]
	s_waitcnt lgkmcnt(0)
	v_add_co_u32 v6, vcc_lo, s8, v6
	v_add_co_ci_u32_e64 v7, null, s9, v7, vcc_lo
	global_load_dwordx2 v[6:7], v[6:7], off
	s_waitcnt vmcnt(0)
	v_subrev_nc_u32_e32 v6, s2, v6
	v_subrev_nc_u32_e32 v16, s2, v7
	v_add_nc_u32_e32 v6, v6, v0
	v_cmp_lt_i32_e64 s0, v6, v16
	s_cbranch_scc0 .LBB94_10
; %bb.5:
	v_mov_b32_e32 v13, 0
	v_mov_b32_e32 v18, 0
	;; [unrolled: 1-line block ×6, first 2 shown]
	s_and_saveexec_b32 s1, s0
	s_cbranch_execz .LBB94_9
; %bb.6:
	v_mad_u64_u32 v[7:8], null, v6, 18, 17
	v_mov_b32_e32 v10, 0
	v_mov_b32_e32 v11, v6
	;; [unrolled: 1-line block ×8, first 2 shown]
	s_mov_b32 s3, 0
.LBB94_7:                               ; =>This Inner Loop Header: Depth=1
	v_ashrrev_i32_e32 v12, 31, v11
	v_subrev_nc_u32_e32 v9, 17, v7
	v_mov_b32_e32 v8, v10
	v_mov_b32_e32 v33, v10
	v_lshlrev_b64 v[22:23], 2, v[11:12]
	v_lshlrev_b64 v[20:21], 3, v[9:10]
	v_add_nc_u32_e32 v9, -15, v7
	v_lshlrev_b64 v[24:25], 3, v[7:8]
	v_add_nc_u32_e32 v11, 4, v11
	v_add_co_u32 v22, vcc_lo, s10, v22
	v_add_co_ci_u32_e64 v23, null, s11, v23, vcc_lo
	v_lshlrev_b64 v[26:27], 3, v[9:10]
	v_add_nc_u32_e32 v9, -14, v7
	v_add_co_u32 v20, vcc_lo, s12, v20
	global_load_dword v12, v[22:23], off
	v_add_co_ci_u32_e64 v21, null, s13, v21, vcc_lo
	v_add_co_u32 v24, vcc_lo, s12, v24
	v_lshlrev_b64 v[28:29], 3, v[9:10]
	v_add_nc_u32_e32 v9, -13, v7
	v_add_co_ci_u32_e64 v25, null, s13, v25, vcc_lo
	s_clause 0x1
	global_load_dwordx4 v[20:23], v[20:21], off
	global_load_dwordx2 v[36:37], v[24:25], off
	v_lshlrev_b64 v[24:25], 3, v[9:10]
	v_add_co_u32 v26, vcc_lo, s12, v26
	v_add_co_ci_u32_e64 v27, null, s13, v27, vcc_lo
	v_add_co_u32 v28, vcc_lo, s12, v28
	v_add_co_ci_u32_e64 v29, null, s13, v29, vcc_lo
	v_add_co_u32 v24, vcc_lo, s12, v24
	v_add_nc_u32_e32 v9, -12, v7
	v_add_co_ci_u32_e64 v25, null, s13, v25, vcc_lo
	s_clause 0x2
	global_load_dwordx2 v[38:39], v[26:27], off
	global_load_dwordx2 v[40:41], v[28:29], off
	;; [unrolled: 1-line block ×3, first 2 shown]
	v_lshlrev_b64 v[26:27], 3, v[9:10]
	v_add_nc_u32_e32 v9, -11, v7
	v_lshlrev_b64 v[8:9], 3, v[9:10]
	v_add_co_u32 v26, vcc_lo, s12, v26
	v_add_co_ci_u32_e64 v27, null, s13, v27, vcc_lo
	v_add_co_u32 v8, vcc_lo, s12, v8
	v_add_co_ci_u32_e64 v9, null, s13, v9, vcc_lo
	s_clause 0x1
	global_load_dwordx2 v[44:45], v[26:27], off
	global_load_dwordx2 v[46:47], v[8:9], off
	s_waitcnt vmcnt(7)
	v_subrev_nc_u32_e32 v8, s2, v12
	v_mul_lo_u32 v32, v8, 6
	v_lshlrev_b64 v[24:25], 3, v[32:33]
	v_add_nc_u32_e32 v9, 2, v32
	v_lshlrev_b64 v[28:29], 3, v[9:10]
	v_add_co_u32 v24, vcc_lo, s14, v24
	v_add_co_ci_u32_e64 v25, null, s15, v25, vcc_lo
	v_add_nc_u32_e32 v9, -10, v7
	v_add_co_u32 v28, vcc_lo, s14, v28
	global_load_dwordx4 v[24:27], v[24:25], off
	v_add_co_ci_u32_e64 v29, null, s15, v29, vcc_lo
	v_lshlrev_b64 v[30:31], 3, v[9:10]
	v_add_nc_u32_e32 v9, -9, v7
	v_lshlrev_b64 v[33:34], 3, v[9:10]
	v_add_nc_u32_e32 v9, -8, v7
	v_add_co_u32 v48, vcc_lo, s12, v30
	v_add_co_ci_u32_e64 v49, null, s13, v31, vcc_lo
	v_lshlrev_b64 v[50:51], 3, v[9:10]
	v_add_nc_u32_e32 v9, -7, v7
	v_add_co_u32 v33, vcc_lo, s12, v33
	v_add_co_ci_u32_e64 v34, null, s13, v34, vcc_lo
	v_add_co_u32 v50, vcc_lo, s12, v50
	v_lshlrev_b64 v[52:53], 3, v[9:10]
	v_add_nc_u32_e32 v9, -6, v7
	v_add_co_ci_u32_e64 v51, null, s13, v51, vcc_lo
	global_load_dwordx2 v[54:55], v[33:34], off
	global_load_dwordx4 v[28:31], v[28:29], off
	v_add_co_u32 v52, vcc_lo, s12, v52
	global_load_dwordx2 v[50:51], v[50:51], off
	v_lshlrev_b64 v[33:34], 3, v[9:10]
	v_add_nc_u32_e32 v9, -5, v7
	v_add_co_ci_u32_e64 v53, null, s13, v53, vcc_lo
	global_load_dwordx2 v[48:49], v[48:49], off
	v_lshlrev_b64 v[56:57], 3, v[9:10]
	v_add_nc_u32_e32 v9, 4, v32
	v_add_co_u32 v32, vcc_lo, s12, v33
	v_add_co_ci_u32_e64 v33, null, s13, v34, vcc_lo
	v_add_co_u32 v56, vcc_lo, s12, v56
	v_lshlrev_b64 v[34:35], 3, v[9:10]
	v_add_nc_u32_e32 v9, -4, v7
	v_add_co_ci_u32_e64 v57, null, s13, v57, vcc_lo
	global_load_dwordx2 v[52:53], v[52:53], off
	v_add_co_u32 v34, vcc_lo, s14, v34
	s_clause 0x1
	global_load_dwordx2 v[56:57], v[56:57], off
	global_load_dwordx2 v[58:59], v[32:33], off
	v_lshlrev_b64 v[32:33], 3, v[9:10]
	v_add_nc_u32_e32 v9, -3, v7
	v_add_co_ci_u32_e64 v35, null, s15, v35, vcc_lo
	v_lshlrev_b64 v[60:61], 3, v[9:10]
	v_add_nc_u32_e32 v9, -2, v7
	v_add_co_u32 v62, vcc_lo, s12, v32
	v_add_co_ci_u32_e64 v63, null, s13, v33, vcc_lo
	v_add_co_u32 v60, vcc_lo, s12, v60
	v_lshlrev_b64 v[64:65], 3, v[9:10]
	v_add_nc_u32_e32 v9, -1, v7
	v_add_co_ci_u32_e64 v61, null, s13, v61, vcc_lo
	global_load_dwordx4 v[32:35], v[34:35], off
	global_load_dwordx2 v[62:63], v[62:63], off
	v_lshlrev_b64 v[8:9], 3, v[9:10]
	v_add_nc_u32_e32 v7, 0x48, v7
	s_waitcnt vmcnt(9)
	v_fmac_f32_e32 v18, v20, v24
	v_fmac_f32_e32 v13, v21, v24
	;; [unrolled: 1-line block ×5, first 2 shown]
	v_fma_f32 v12, -v21, v25, v18
	v_fmac_f32_e32 v13, v20, v25
	global_load_dwordx2 v[20:21], v[60:61], off
	v_add_co_u32 v18, vcc_lo, s12, v64
	v_fma_f32 v66, -v23, v25, v19
	v_add_co_ci_u32_e64 v19, null, s13, v65, vcc_lo
	v_add_co_u32 v8, vcc_lo, s12, v8
	v_add_co_ci_u32_e64 v9, null, s13, v9, vcc_lo
	v_fmac_f32_e32 v15, v22, v25
	s_clause 0x1
	global_load_dwordx2 v[22:23], v[18:19], off
	global_load_dwordx2 v[8:9], v[8:9], off
	v_fmac_f32_e32 v14, v39, v24
	v_fma_f32 v17, -v39, v25, v17
	v_fmac_f32_e32 v12, v40, v26
	v_fmac_f32_e32 v13, v41, v26
	;; [unrolled: 1-line block ×6, first 2 shown]
	v_fma_f32 v12, -v41, v27, v12
	v_fmac_f32_e32 v13, v40, v27
	v_fmac_f32_e32 v14, v45, v26
	v_fma_f32 v18, -v43, v27, v66
	v_fmac_f32_e32 v15, v42, v27
	v_fma_f32 v17, -v45, v27, v17
	s_waitcnt vmcnt(10)
	v_fmac_f32_e32 v12, v46, v28
	v_fmac_f32_e32 v14, v44, v27
	;; [unrolled: 1-line block ×3, first 2 shown]
	s_waitcnt vmcnt(8)
	v_fmac_f32_e32 v18, v48, v28
	v_fmac_f32_e32 v15, v49, v28
	;; [unrolled: 1-line block ×4, first 2 shown]
	v_fma_f32 v12, -v47, v29, v12
	v_fmac_f32_e32 v13, v46, v29
	v_fma_f32 v18, -v49, v29, v18
	v_fmac_f32_e32 v15, v48, v29
	;; [unrolled: 2-line block ×3, first 2 shown]
	v_fmac_f32_e32 v12, v50, v30
	v_fmac_f32_e32 v13, v51, v30
	v_cmp_ge_i32_e32 vcc_lo, v11, v16
	s_waitcnt vmcnt(7)
	v_fmac_f32_e32 v18, v52, v30
	v_fmac_f32_e32 v15, v53, v30
	v_fma_f32 v12, -v51, v31, v12
	v_fmac_f32_e32 v13, v50, v31
	s_or_b32 s3, vcc_lo, s3
	s_waitcnt vmcnt(5)
	v_fmac_f32_e32 v17, v58, v30
	v_fmac_f32_e32 v14, v59, v30
	v_fma_f32 v18, -v53, v31, v18
	v_fmac_f32_e32 v15, v52, v31
	v_fma_f32 v17, -v59, v31, v17
	v_fmac_f32_e32 v14, v58, v31
	s_waitcnt vmcnt(4)
	v_fmac_f32_e32 v12, v56, v32
	v_fmac_f32_e32 v13, v57, v32
	s_waitcnt vmcnt(3)
	v_fmac_f32_e32 v18, v62, v32
	v_fmac_f32_e32 v15, v63, v32
	v_fma_f32 v12, -v57, v33, v12
	v_fmac_f32_e32 v13, v56, v33
	v_fma_f32 v19, -v63, v33, v18
	v_fmac_f32_e32 v15, v62, v33
	s_waitcnt vmcnt(2)
	v_fmac_f32_e32 v17, v20, v32
	v_fmac_f32_e32 v14, v21, v32
	v_fma_f32 v17, -v21, v33, v17
	v_fmac_f32_e32 v14, v20, v33
	v_fmac_f32_e32 v17, v36, v34
	s_waitcnt vmcnt(1)
	v_fmac_f32_e32 v12, v22, v34
	v_fmac_f32_e32 v13, v23, v34
	s_waitcnt vmcnt(0)
	v_fmac_f32_e32 v19, v8, v34
	v_fmac_f32_e32 v15, v9, v34
	;; [unrolled: 1-line block ×3, first 2 shown]
	v_fma_f32 v18, -v23, v35, v12
	v_fmac_f32_e32 v13, v22, v35
	v_fma_f32 v19, -v9, v35, v19
	v_fmac_f32_e32 v15, v8, v35
	v_fma_f32 v17, -v37, v35, v17
	v_fmac_f32_e32 v14, v36, v35
	s_andn2_b32 exec_lo, exec_lo, s3
	s_cbranch_execnz .LBB94_7
; %bb.8:
	s_or_b32 exec_lo, exec_lo, s3
.LBB94_9:
	s_or_b32 exec_lo, exec_lo, s1
	s_cbranch_execz .LBB94_11
	s_branch .LBB94_16
.LBB94_10:
                                        ; implicit-def: $vgpr13
                                        ; implicit-def: $vgpr18
                                        ; implicit-def: $vgpr17
                                        ; implicit-def: $vgpr14
                                        ; implicit-def: $vgpr19
                                        ; implicit-def: $vgpr15
.LBB94_11:
	v_mov_b32_e32 v13, 0
	v_mov_b32_e32 v18, 0
	;; [unrolled: 1-line block ×6, first 2 shown]
	s_and_saveexec_b32 s1, s0
	s_cbranch_execz .LBB94_15
; %bb.12:
	v_mad_u64_u32 v[8:9], null, v6, 18, 17
	v_mov_b32_e32 v11, 0
	v_mov_b32_e32 v13, 0
	;; [unrolled: 1-line block ×7, first 2 shown]
	s_mov_b32 s0, 0
.LBB94_13:                              ; =>This Inner Loop Header: Depth=1
	v_ashrrev_i32_e32 v7, 31, v6
	v_subrev_nc_u32_e32 v10, 17, v8
	v_add_nc_u32_e32 v20, -11, v8
	v_mov_b32_e32 v21, v11
	v_add_nc_u32_e32 v22, -5, v8
	v_lshlrev_b64 v[26:27], 2, v[6:7]
	v_mov_b32_e32 v23, v11
	v_lshlrev_b64 v[24:25], 3, v[10:11]
	v_mov_b32_e32 v9, v11
	v_add_nc_u32_e32 v10, -10, v8
	v_lshlrev_b64 v[20:21], 3, v[20:21]
	v_add_co_u32 v26, vcc_lo, s10, v26
	v_add_co_ci_u32_e64 v27, null, s11, v27, vcc_lo
	v_lshlrev_b64 v[22:23], 3, v[22:23]
	v_lshlrev_b64 v[30:31], 3, v[8:9]
	v_add_co_u32 v24, vcc_lo, s12, v24
	global_load_dword v7, v[26:27], off
	v_lshlrev_b64 v[32:33], 3, v[10:11]
	v_add_nc_u32_e32 v10, -4, v8
	v_add_co_ci_u32_e64 v25, null, s13, v25, vcc_lo
	v_add_co_u32 v34, vcc_lo, s12, v20
	v_add_co_ci_u32_e64 v35, null, s13, v21, vcc_lo
	v_add_co_u32 v36, vcc_lo, s12, v22
	;; [unrolled: 2-line block ×3, first 2 shown]
	v_lshlrev_b64 v[26:27], 3, v[10:11]
	v_add_nc_u32_e32 v10, -15, v8
	v_add_co_ci_u32_e64 v31, null, s13, v31, vcc_lo
	global_load_dwordx4 v[20:23], v[24:25], off
	v_add_co_u32 v24, vcc_lo, s12, v32
	v_add_co_ci_u32_e64 v25, null, s13, v33, vcc_lo
	v_lshlrev_b64 v[9:10], 3, v[10:11]
	s_clause 0x2
	global_load_dwordx2 v[32:33], v[34:35], off
	global_load_dwordx2 v[36:37], v[36:37], off
	;; [unrolled: 1-line block ×3, first 2 shown]
	v_mov_b32_e32 v29, v11
	global_load_dwordx2 v[40:41], v[24:25], off
	v_add_co_u32 v24, vcc_lo, s12, v26
	v_add_co_ci_u32_e64 v25, null, s13, v27, vcc_lo
	v_add_co_u32 v9, vcc_lo, s12, v9
	v_add_co_ci_u32_e64 v10, null, s13, v10, vcc_lo
	s_clause 0x1
	global_load_dwordx2 v[42:43], v[24:25], off
	global_load_dwordx2 v[44:45], v[9:10], off
	v_add_nc_u32_e32 v6, 4, v6
	s_waitcnt vmcnt(7)
	v_subrev_nc_u32_e32 v7, s2, v7
	v_mul_lo_u32 v28, v7, 6
	v_lshlrev_b64 v[24:25], 3, v[28:29]
	v_add_nc_u32_e32 v10, 2, v28
	v_lshlrev_b64 v[29:30], 3, v[10:11]
	v_add_co_u32 v24, vcc_lo, s14, v24
	v_add_co_ci_u32_e64 v25, null, s15, v25, vcc_lo
	v_add_nc_u32_e32 v10, -9, v8
	v_add_co_u32 v29, vcc_lo, s14, v29
	global_load_dwordx4 v[24:27], v[24:25], off
	v_add_co_ci_u32_e64 v30, null, s15, v30, vcc_lo
	v_lshlrev_b64 v[34:35], 3, v[10:11]
	v_add_nc_u32_e32 v10, -3, v8
	v_lshlrev_b64 v[46:47], 3, v[10:11]
	v_add_nc_u32_e32 v10, -14, v8
	v_add_co_u32 v34, vcc_lo, s12, v34
	v_add_co_ci_u32_e64 v35, null, s13, v35, vcc_lo
	v_lshlrev_b64 v[48:49], 3, v[10:11]
	v_add_nc_u32_e32 v10, -8, v8
	v_add_co_u32 v46, vcc_lo, s12, v46
	v_add_co_ci_u32_e64 v47, null, s13, v47, vcc_lo
	;; [unrolled: 4-line block ×4, first 2 shown]
	v_lshlrev_b64 v[54:55], 3, v[10:11]
	v_add_nc_u32_e32 v10, 4, v28
	v_add_co_u32 v52, vcc_lo, s12, v52
	v_add_co_ci_u32_e64 v53, null, s13, v53, vcc_lo
	v_lshlrev_b64 v[56:57], 3, v[10:11]
	v_add_nc_u32_e32 v10, -7, v8
	v_add_co_u32 v54, vcc_lo, s12, v54
	v_add_co_ci_u32_e64 v55, null, s13, v55, vcc_lo
	v_lshlrev_b64 v[58:59], 3, v[10:11]
	v_add_nc_u32_e32 v10, -1, v8
	global_load_dwordx4 v[28:31], v[29:30], off
	s_clause 0x5
	global_load_dwordx2 v[64:65], v[34:35], off
	global_load_dwordx2 v[46:47], v[46:47], off
	;; [unrolled: 1-line block ×6, first 2 shown]
	v_add_co_u32 v56, vcc_lo, s14, v56
	v_add_co_ci_u32_e64 v57, null, s15, v57, vcc_lo
	v_lshlrev_b64 v[60:61], 3, v[10:11]
	v_add_nc_u32_e32 v10, -12, v8
	v_add_co_u32 v58, vcc_lo, s12, v58
	v_add_co_ci_u32_e64 v59, null, s13, v59, vcc_lo
	v_lshlrev_b64 v[62:63], 3, v[10:11]
	v_add_nc_u32_e32 v10, -6, v8
	v_add_co_u32 v60, vcc_lo, s12, v60
	v_add_co_ci_u32_e64 v61, null, s13, v61, vcc_lo
	v_lshlrev_b64 v[9:10], 3, v[10:11]
	v_add_co_u32 v62, vcc_lo, s12, v62
	v_add_co_ci_u32_e64 v63, null, s13, v63, vcc_lo
	v_add_nc_u32_e32 v8, 0x48, v8
	v_add_co_u32 v9, vcc_lo, s12, v9
	v_add_co_ci_u32_e64 v10, null, s13, v10, vcc_lo
	v_cmp_ge_i32_e32 vcc_lo, v6, v16
	s_or_b32 s0, vcc_lo, s0
	s_waitcnt vmcnt(7)
	v_fmac_f32_e32 v19, v32, v24
	v_fmac_f32_e32 v15, v33, v24
	;; [unrolled: 1-line block ×5, first 2 shown]
	v_fma_f32 v7, -v33, v25, v19
	v_fmac_f32_e32 v15, v32, v25
	global_load_dwordx4 v[32:35], v[56:57], off
	s_clause 0x3
	global_load_dwordx2 v[56:57], v[58:59], off
	global_load_dwordx2 v[58:59], v[60:61], off
	;; [unrolled: 1-line block ×4, first 2 shown]
	v_fmac_f32_e32 v14, v37, v24
	v_fma_f32 v12, -v21, v25, v18
	v_fmac_f32_e32 v13, v20, v25
	v_fma_f32 v17, -v37, v25, v17
	v_fmac_f32_e32 v7, v40, v26
	v_fmac_f32_e32 v14, v36, v25
	;; [unrolled: 1-line block ×7, first 2 shown]
	v_fma_f32 v12, -v23, v27, v12
	v_fmac_f32_e32 v13, v22, v27
	v_fma_f32 v7, -v41, v27, v7
	v_fmac_f32_e32 v15, v40, v27
	v_fma_f32 v17, -v43, v27, v17
	v_fmac_f32_e32 v14, v42, v27
	s_waitcnt vmcnt(11)
	v_fmac_f32_e32 v12, v44, v28
	v_fmac_f32_e32 v13, v45, v28
	s_waitcnt vmcnt(10)
	v_fmac_f32_e32 v7, v64, v28
	v_fmac_f32_e32 v15, v65, v28
	s_waitcnt vmcnt(9)
	v_fmac_f32_e32 v17, v46, v28
	v_fmac_f32_e32 v14, v47, v28
	v_fma_f32 v12, -v45, v29, v12
	v_fmac_f32_e32 v13, v44, v29
	v_fma_f32 v7, -v65, v29, v7
	v_fmac_f32_e32 v15, v64, v29
	v_fma_f32 v17, -v47, v29, v17
	v_fmac_f32_e32 v14, v46, v29
	s_waitcnt vmcnt(8)
	v_fmac_f32_e32 v12, v48, v30
	v_fmac_f32_e32 v13, v49, v30
	s_waitcnt vmcnt(7)
	v_fmac_f32_e32 v7, v50, v30
	v_fmac_f32_e32 v15, v51, v30
	s_waitcnt vmcnt(6)
	v_fmac_f32_e32 v17, v52, v30
	v_fmac_f32_e32 v14, v53, v30
	;; [unrolled: 15-line block ×3, first 2 shown]
	v_fma_f32 v12, -v55, v33, v12
	v_fmac_f32_e32 v13, v54, v33
	v_fma_f32 v7, -v57, v33, v7
	v_fmac_f32_e32 v15, v56, v33
	;; [unrolled: 2-line block ×3, first 2 shown]
	s_waitcnt vmcnt(1)
	v_fmac_f32_e32 v12, v60, v34
	v_fmac_f32_e32 v13, v61, v34
	s_waitcnt vmcnt(0)
	v_fmac_f32_e32 v7, v9, v34
	v_fmac_f32_e32 v15, v10, v34
	;; [unrolled: 1-line block ×4, first 2 shown]
	v_fma_f32 v18, -v61, v35, v12
	v_fmac_f32_e32 v13, v60, v35
	v_fma_f32 v19, -v10, v35, v7
	v_fmac_f32_e32 v15, v9, v35
	;; [unrolled: 2-line block ×3, first 2 shown]
	s_andn2_b32 exec_lo, exec_lo, s0
	s_cbranch_execnz .LBB94_13
; %bb.14:
	s_or_b32 exec_lo, exec_lo, s0
.LBB94_15:
	s_or_b32 exec_lo, exec_lo, s1
.LBB94_16:
	v_mbcnt_lo_u32_b32 v6, -1, 0
	v_xor_b32_e32 v7, 2, v6
	v_cmp_gt_i32_e32 vcc_lo, 32, v7
	v_cndmask_b32_e32 v7, v6, v7, vcc_lo
	v_lshlrev_b32_e32 v7, 2, v7
	ds_bpermute_b32 v8, v7, v18
	ds_bpermute_b32 v9, v7, v13
	;; [unrolled: 1-line block ×6, first 2 shown]
	v_xor_b32_e32 v7, 1, v6
	v_cmp_gt_i32_e32 vcc_lo, 32, v7
	v_cndmask_b32_e32 v6, v6, v7, vcc_lo
	v_cmp_eq_u32_e32 vcc_lo, 3, v0
	v_lshlrev_b32_e32 v21, 2, v6
	s_waitcnt lgkmcnt(5)
	v_add_f32_e32 v6, v18, v8
	s_waitcnt lgkmcnt(4)
	v_add_f32_e32 v9, v13, v9
	s_waitcnt lgkmcnt(3)
	v_add_f32_e32 v11, v19, v10
	s_waitcnt lgkmcnt(2)
	v_add_f32_e32 v12, v15, v12
	s_waitcnt lgkmcnt(1)
	v_add_f32_e32 v7, v17, v16
	s_waitcnt lgkmcnt(0)
	v_add_f32_e32 v8, v14, v20
	ds_bpermute_b32 v10, v21, v6
	ds_bpermute_b32 v15, v21, v9
	ds_bpermute_b32 v16, v21, v11
	ds_bpermute_b32 v17, v21, v12
	ds_bpermute_b32 v13, v21, v7
	ds_bpermute_b32 v14, v21, v8
	s_and_b32 exec_lo, exec_lo, vcc_lo
	s_cbranch_execz .LBB94_21
; %bb.17:
	s_load_dwordx2 s[2:3], s[4:5], 0x38
	v_cmp_eq_f32_e32 vcc_lo, 0, v3
	v_cmp_eq_f32_e64 s0, 0, v4
	s_waitcnt lgkmcnt(0)
	v_add_f32_e32 v0, v6, v10
	v_add_f32_e32 v10, v9, v15
	;; [unrolled: 1-line block ×6, first 2 shown]
	s_and_b32 s0, vcc_lo, s0
	s_and_saveexec_b32 s1, s0
	s_xor_b32 s0, exec_lo, s1
	s_cbranch_execz .LBB94_19
; %bb.18:
	v_lshl_add_u32 v3, v5, 1, v5
	v_mul_f32_e64 v11, v10, -v2
	v_mul_f32_e32 v12, v1, v10
	v_mul_f32_e64 v13, v9, -v2
	v_mul_f32_e32 v14, v1, v9
	v_ashrrev_i32_e32 v4, 31, v3
	v_mul_f32_e64 v9, v8, -v2
	v_mul_f32_e32 v10, v1, v8
	v_fmac_f32_e32 v11, v1, v0
	v_fmac_f32_e32 v12, v2, v0
	v_lshlrev_b64 v[3:4], 3, v[3:4]
	v_fmac_f32_e32 v13, v1, v6
	v_fmac_f32_e32 v14, v2, v6
	;; [unrolled: 1-line block ×4, first 2 shown]
                                        ; implicit-def: $vgpr5
                                        ; implicit-def: $vgpr0
                                        ; implicit-def: $vgpr6
                                        ; implicit-def: $vgpr7
                                        ; implicit-def: $vgpr8
                                        ; implicit-def: $vgpr1_vgpr2
	v_add_co_u32 v3, vcc_lo, s2, v3
	v_add_co_ci_u32_e64 v4, null, s3, v4, vcc_lo
	global_store_dwordx4 v[3:4], v[11:14], off
	global_store_dwordx2 v[3:4], v[9:10], off offset:16
                                        ; implicit-def: $vgpr10
                                        ; implicit-def: $vgpr9
                                        ; implicit-def: $vgpr3_vgpr4
.LBB94_19:
	s_andn2_saveexec_b32 s0, s0
	s_cbranch_execz .LBB94_21
; %bb.20:
	v_lshl_add_u32 v11, v5, 1, v5
	v_mul_f32_e64 v15, v10, -v2
	v_mul_f32_e32 v16, v1, v10
	v_mul_f32_e64 v10, v9, -v2
	v_mul_f32_e32 v18, v1, v9
	v_ashrrev_i32_e32 v12, 31, v11
	v_mul_f32_e64 v9, v8, -v2
	v_mul_f32_e32 v5, v1, v8
	v_fmac_f32_e32 v15, v1, v0
	v_fmac_f32_e32 v16, v2, v0
	v_lshlrev_b64 v[11:12], 3, v[11:12]
	v_fmac_f32_e32 v10, v1, v6
	v_fmac_f32_e32 v18, v2, v6
	;; [unrolled: 1-line block ×4, first 2 shown]
	v_add_co_u32 v19, vcc_lo, s2, v11
	v_add_co_ci_u32_e64 v20, null, s3, v12, vcc_lo
	s_clause 0x1
	global_load_dwordx4 v[11:14], v[19:20], off
	global_load_dwordx2 v[21:22], v[19:20], off offset:16
	s_waitcnt vmcnt(1)
	v_fmac_f32_e32 v15, v3, v11
	v_fmac_f32_e32 v16, v4, v11
	;; [unrolled: 1-line block ×4, first 2 shown]
	s_waitcnt vmcnt(0)
	v_fmac_f32_e32 v9, v3, v21
	v_fmac_f32_e32 v5, v4, v21
	v_fma_f32 v15, -v4, v12, v15
	v_fmac_f32_e32 v16, v3, v12
	v_fma_f32 v17, -v4, v14, v10
	;; [unrolled: 2-line block ×3, first 2 shown]
	v_fmac_f32_e32 v5, v3, v22
	global_store_dwordx4 v[19:20], v[15:18], off
	global_store_dwordx2 v[19:20], v[4:5], off offset:16
.LBB94_21:
	s_endpgm
	.section	.rodata,"a",@progbits
	.p2align	6, 0x0
	.amdhsa_kernel _ZN9rocsparseL19gebsrmvn_3xn_kernelILj128ELj6ELj4E21rocsparse_complex_numIfEEEvi20rocsparse_direction_NS_24const_host_device_scalarIT2_EEPKiS8_PKS5_SA_S6_PS5_21rocsparse_index_base_b
		.amdhsa_group_segment_fixed_size 0
		.amdhsa_private_segment_fixed_size 0
		.amdhsa_kernarg_size 72
		.amdhsa_user_sgpr_count 6
		.amdhsa_user_sgpr_private_segment_buffer 1
		.amdhsa_user_sgpr_dispatch_ptr 0
		.amdhsa_user_sgpr_queue_ptr 0
		.amdhsa_user_sgpr_kernarg_segment_ptr 1
		.amdhsa_user_sgpr_dispatch_id 0
		.amdhsa_user_sgpr_flat_scratch_init 0
		.amdhsa_user_sgpr_private_segment_size 0
		.amdhsa_wavefront_size32 1
		.amdhsa_uses_dynamic_stack 0
		.amdhsa_system_sgpr_private_segment_wavefront_offset 0
		.amdhsa_system_sgpr_workgroup_id_x 1
		.amdhsa_system_sgpr_workgroup_id_y 0
		.amdhsa_system_sgpr_workgroup_id_z 0
		.amdhsa_system_sgpr_workgroup_info 0
		.amdhsa_system_vgpr_workitem_id 0
		.amdhsa_next_free_vgpr 67
		.amdhsa_next_free_sgpr 16
		.amdhsa_reserve_vcc 1
		.amdhsa_reserve_flat_scratch 0
		.amdhsa_float_round_mode_32 0
		.amdhsa_float_round_mode_16_64 0
		.amdhsa_float_denorm_mode_32 3
		.amdhsa_float_denorm_mode_16_64 3
		.amdhsa_dx10_clamp 1
		.amdhsa_ieee_mode 1
		.amdhsa_fp16_overflow 0
		.amdhsa_workgroup_processor_mode 1
		.amdhsa_memory_ordered 1
		.amdhsa_forward_progress 1
		.amdhsa_shared_vgpr_count 0
		.amdhsa_exception_fp_ieee_invalid_op 0
		.amdhsa_exception_fp_denorm_src 0
		.amdhsa_exception_fp_ieee_div_zero 0
		.amdhsa_exception_fp_ieee_overflow 0
		.amdhsa_exception_fp_ieee_underflow 0
		.amdhsa_exception_fp_ieee_inexact 0
		.amdhsa_exception_int_div_zero 0
	.end_amdhsa_kernel
	.section	.text._ZN9rocsparseL19gebsrmvn_3xn_kernelILj128ELj6ELj4E21rocsparse_complex_numIfEEEvi20rocsparse_direction_NS_24const_host_device_scalarIT2_EEPKiS8_PKS5_SA_S6_PS5_21rocsparse_index_base_b,"axG",@progbits,_ZN9rocsparseL19gebsrmvn_3xn_kernelILj128ELj6ELj4E21rocsparse_complex_numIfEEEvi20rocsparse_direction_NS_24const_host_device_scalarIT2_EEPKiS8_PKS5_SA_S6_PS5_21rocsparse_index_base_b,comdat
.Lfunc_end94:
	.size	_ZN9rocsparseL19gebsrmvn_3xn_kernelILj128ELj6ELj4E21rocsparse_complex_numIfEEEvi20rocsparse_direction_NS_24const_host_device_scalarIT2_EEPKiS8_PKS5_SA_S6_PS5_21rocsparse_index_base_b, .Lfunc_end94-_ZN9rocsparseL19gebsrmvn_3xn_kernelILj128ELj6ELj4E21rocsparse_complex_numIfEEEvi20rocsparse_direction_NS_24const_host_device_scalarIT2_EEPKiS8_PKS5_SA_S6_PS5_21rocsparse_index_base_b
                                        ; -- End function
	.set _ZN9rocsparseL19gebsrmvn_3xn_kernelILj128ELj6ELj4E21rocsparse_complex_numIfEEEvi20rocsparse_direction_NS_24const_host_device_scalarIT2_EEPKiS8_PKS5_SA_S6_PS5_21rocsparse_index_base_b.num_vgpr, 67
	.set _ZN9rocsparseL19gebsrmvn_3xn_kernelILj128ELj6ELj4E21rocsparse_complex_numIfEEEvi20rocsparse_direction_NS_24const_host_device_scalarIT2_EEPKiS8_PKS5_SA_S6_PS5_21rocsparse_index_base_b.num_agpr, 0
	.set _ZN9rocsparseL19gebsrmvn_3xn_kernelILj128ELj6ELj4E21rocsparse_complex_numIfEEEvi20rocsparse_direction_NS_24const_host_device_scalarIT2_EEPKiS8_PKS5_SA_S6_PS5_21rocsparse_index_base_b.numbered_sgpr, 16
	.set _ZN9rocsparseL19gebsrmvn_3xn_kernelILj128ELj6ELj4E21rocsparse_complex_numIfEEEvi20rocsparse_direction_NS_24const_host_device_scalarIT2_EEPKiS8_PKS5_SA_S6_PS5_21rocsparse_index_base_b.num_named_barrier, 0
	.set _ZN9rocsparseL19gebsrmvn_3xn_kernelILj128ELj6ELj4E21rocsparse_complex_numIfEEEvi20rocsparse_direction_NS_24const_host_device_scalarIT2_EEPKiS8_PKS5_SA_S6_PS5_21rocsparse_index_base_b.private_seg_size, 0
	.set _ZN9rocsparseL19gebsrmvn_3xn_kernelILj128ELj6ELj4E21rocsparse_complex_numIfEEEvi20rocsparse_direction_NS_24const_host_device_scalarIT2_EEPKiS8_PKS5_SA_S6_PS5_21rocsparse_index_base_b.uses_vcc, 1
	.set _ZN9rocsparseL19gebsrmvn_3xn_kernelILj128ELj6ELj4E21rocsparse_complex_numIfEEEvi20rocsparse_direction_NS_24const_host_device_scalarIT2_EEPKiS8_PKS5_SA_S6_PS5_21rocsparse_index_base_b.uses_flat_scratch, 0
	.set _ZN9rocsparseL19gebsrmvn_3xn_kernelILj128ELj6ELj4E21rocsparse_complex_numIfEEEvi20rocsparse_direction_NS_24const_host_device_scalarIT2_EEPKiS8_PKS5_SA_S6_PS5_21rocsparse_index_base_b.has_dyn_sized_stack, 0
	.set _ZN9rocsparseL19gebsrmvn_3xn_kernelILj128ELj6ELj4E21rocsparse_complex_numIfEEEvi20rocsparse_direction_NS_24const_host_device_scalarIT2_EEPKiS8_PKS5_SA_S6_PS5_21rocsparse_index_base_b.has_recursion, 0
	.set _ZN9rocsparseL19gebsrmvn_3xn_kernelILj128ELj6ELj4E21rocsparse_complex_numIfEEEvi20rocsparse_direction_NS_24const_host_device_scalarIT2_EEPKiS8_PKS5_SA_S6_PS5_21rocsparse_index_base_b.has_indirect_call, 0
	.section	.AMDGPU.csdata,"",@progbits
; Kernel info:
; codeLenInByte = 3496
; TotalNumSgprs: 18
; NumVgprs: 67
; ScratchSize: 0
; MemoryBound: 0
; FloatMode: 240
; IeeeMode: 1
; LDSByteSize: 0 bytes/workgroup (compile time only)
; SGPRBlocks: 0
; VGPRBlocks: 8
; NumSGPRsForWavesPerEU: 18
; NumVGPRsForWavesPerEU: 67
; Occupancy: 12
; WaveLimiterHint : 1
; COMPUTE_PGM_RSRC2:SCRATCH_EN: 0
; COMPUTE_PGM_RSRC2:USER_SGPR: 6
; COMPUTE_PGM_RSRC2:TRAP_HANDLER: 0
; COMPUTE_PGM_RSRC2:TGID_X_EN: 1
; COMPUTE_PGM_RSRC2:TGID_Y_EN: 0
; COMPUTE_PGM_RSRC2:TGID_Z_EN: 0
; COMPUTE_PGM_RSRC2:TIDIG_COMP_CNT: 0
	.section	.text._ZN9rocsparseL19gebsrmvn_3xn_kernelILj128ELj6ELj8E21rocsparse_complex_numIfEEEvi20rocsparse_direction_NS_24const_host_device_scalarIT2_EEPKiS8_PKS5_SA_S6_PS5_21rocsparse_index_base_b,"axG",@progbits,_ZN9rocsparseL19gebsrmvn_3xn_kernelILj128ELj6ELj8E21rocsparse_complex_numIfEEEvi20rocsparse_direction_NS_24const_host_device_scalarIT2_EEPKiS8_PKS5_SA_S6_PS5_21rocsparse_index_base_b,comdat
	.globl	_ZN9rocsparseL19gebsrmvn_3xn_kernelILj128ELj6ELj8E21rocsparse_complex_numIfEEEvi20rocsparse_direction_NS_24const_host_device_scalarIT2_EEPKiS8_PKS5_SA_S6_PS5_21rocsparse_index_base_b ; -- Begin function _ZN9rocsparseL19gebsrmvn_3xn_kernelILj128ELj6ELj8E21rocsparse_complex_numIfEEEvi20rocsparse_direction_NS_24const_host_device_scalarIT2_EEPKiS8_PKS5_SA_S6_PS5_21rocsparse_index_base_b
	.p2align	8
	.type	_ZN9rocsparseL19gebsrmvn_3xn_kernelILj128ELj6ELj8E21rocsparse_complex_numIfEEEvi20rocsparse_direction_NS_24const_host_device_scalarIT2_EEPKiS8_PKS5_SA_S6_PS5_21rocsparse_index_base_b,@function
_ZN9rocsparseL19gebsrmvn_3xn_kernelILj128ELj6ELj8E21rocsparse_complex_numIfEEEvi20rocsparse_direction_NS_24const_host_device_scalarIT2_EEPKiS8_PKS5_SA_S6_PS5_21rocsparse_index_base_b: ; @_ZN9rocsparseL19gebsrmvn_3xn_kernelILj128ELj6ELj8E21rocsparse_complex_numIfEEEvi20rocsparse_direction_NS_24const_host_device_scalarIT2_EEPKiS8_PKS5_SA_S6_PS5_21rocsparse_index_base_b
; %bb.0:
	s_clause 0x2
	s_load_dwordx2 s[2:3], s[4:5], 0x40
	s_load_dwordx2 s[0:1], s[4:5], 0x8
	;; [unrolled: 1-line block ×3, first 2 shown]
	s_add_u32 s7, s4, 8
	s_addc_u32 s10, s5, 0
	s_add_u32 s11, s4, 48
	s_addc_u32 s12, s5, 0
	s_waitcnt lgkmcnt(0)
	s_bitcmp1_b32 s3, 0
	s_cselect_b32 s0, s7, s0
	s_cselect_b32 s1, s10, s1
	v_mov_b32_e32 v1, s0
	v_mov_b32_e32 v2, s1
	s_cselect_b32 s0, s11, s8
	s_cselect_b32 s1, s12, s9
	v_mov_b32_e32 v3, s0
	v_mov_b32_e32 v4, s1
	flat_load_dwordx2 v[1:2], v[1:2]
	flat_load_dwordx2 v[3:4], v[3:4]
	s_waitcnt vmcnt(1) lgkmcnt(1)
	v_cmp_eq_f32_e32 vcc_lo, 0, v1
	v_cmp_eq_f32_e64 s0, 0, v2
	s_and_b32 s3, vcc_lo, s0
	s_mov_b32 s0, -1
	s_and_saveexec_b32 s1, s3
	s_cbranch_execz .LBB95_2
; %bb.1:
	s_waitcnt vmcnt(0) lgkmcnt(0)
	v_cmp_neq_f32_e32 vcc_lo, 1.0, v3
	v_cmp_neq_f32_e64 s0, 0, v4
	s_or_b32 s0, vcc_lo, s0
	s_orn2_b32 s0, s0, exec_lo
.LBB95_2:
	s_or_b32 exec_lo, exec_lo, s1
	s_and_saveexec_b32 s1, s0
	s_cbranch_execz .LBB95_21
; %bb.3:
	s_load_dwordx2 s[0:1], s[4:5], 0x0
	v_lshrrev_b32_e32 v5, 3, v0
	v_lshl_or_b32 v5, s6, 4, v5
	s_waitcnt lgkmcnt(0)
	v_cmp_gt_i32_e32 vcc_lo, s0, v5
	s_and_b32 exec_lo, exec_lo, vcc_lo
	s_cbranch_execz .LBB95_21
; %bb.4:
	s_load_dwordx8 s[8:15], s[4:5], 0x10
	v_ashrrev_i32_e32 v6, 31, v5
	v_and_b32_e32 v0, 7, v0
	s_cmp_lg_u32 s1, 0
	v_lshlrev_b64 v[6:7], 2, v[5:6]
	s_waitcnt lgkmcnt(0)
	v_add_co_u32 v6, vcc_lo, s8, v6
	v_add_co_ci_u32_e64 v7, null, s9, v7, vcc_lo
	global_load_dwordx2 v[6:7], v[6:7], off
	s_waitcnt vmcnt(0)
	v_subrev_nc_u32_e32 v6, s2, v6
	v_subrev_nc_u32_e32 v16, s2, v7
	v_add_nc_u32_e32 v6, v6, v0
	v_cmp_lt_i32_e64 s0, v6, v16
	s_cbranch_scc0 .LBB95_10
; %bb.5:
	v_mov_b32_e32 v13, 0
	v_mov_b32_e32 v18, 0
	;; [unrolled: 1-line block ×6, first 2 shown]
	s_and_saveexec_b32 s1, s0
	s_cbranch_execz .LBB95_9
; %bb.6:
	v_mad_u64_u32 v[7:8], null, v6, 18, 17
	v_mov_b32_e32 v10, 0
	v_mov_b32_e32 v11, v6
	;; [unrolled: 1-line block ×8, first 2 shown]
	s_mov_b32 s3, 0
.LBB95_7:                               ; =>This Inner Loop Header: Depth=1
	v_ashrrev_i32_e32 v12, 31, v11
	v_subrev_nc_u32_e32 v9, 17, v7
	v_mov_b32_e32 v8, v10
	v_mov_b32_e32 v33, v10
	v_lshlrev_b64 v[22:23], 2, v[11:12]
	v_lshlrev_b64 v[20:21], 3, v[9:10]
	v_add_nc_u32_e32 v9, -15, v7
	v_lshlrev_b64 v[24:25], 3, v[7:8]
	v_add_nc_u32_e32 v11, 8, v11
	v_add_co_u32 v22, vcc_lo, s10, v22
	v_add_co_ci_u32_e64 v23, null, s11, v23, vcc_lo
	v_lshlrev_b64 v[26:27], 3, v[9:10]
	v_add_nc_u32_e32 v9, -14, v7
	v_add_co_u32 v20, vcc_lo, s12, v20
	global_load_dword v12, v[22:23], off
	v_add_co_ci_u32_e64 v21, null, s13, v21, vcc_lo
	v_add_co_u32 v24, vcc_lo, s12, v24
	v_lshlrev_b64 v[28:29], 3, v[9:10]
	v_add_nc_u32_e32 v9, -13, v7
	v_add_co_ci_u32_e64 v25, null, s13, v25, vcc_lo
	s_clause 0x1
	global_load_dwordx4 v[20:23], v[20:21], off
	global_load_dwordx2 v[36:37], v[24:25], off
	v_lshlrev_b64 v[24:25], 3, v[9:10]
	v_add_co_u32 v26, vcc_lo, s12, v26
	v_add_co_ci_u32_e64 v27, null, s13, v27, vcc_lo
	v_add_co_u32 v28, vcc_lo, s12, v28
	v_add_co_ci_u32_e64 v29, null, s13, v29, vcc_lo
	v_add_co_u32 v24, vcc_lo, s12, v24
	v_add_nc_u32_e32 v9, -12, v7
	v_add_co_ci_u32_e64 v25, null, s13, v25, vcc_lo
	s_clause 0x2
	global_load_dwordx2 v[38:39], v[26:27], off
	global_load_dwordx2 v[40:41], v[28:29], off
	;; [unrolled: 1-line block ×3, first 2 shown]
	v_lshlrev_b64 v[26:27], 3, v[9:10]
	v_add_nc_u32_e32 v9, -11, v7
	v_lshlrev_b64 v[8:9], 3, v[9:10]
	v_add_co_u32 v26, vcc_lo, s12, v26
	v_add_co_ci_u32_e64 v27, null, s13, v27, vcc_lo
	v_add_co_u32 v8, vcc_lo, s12, v8
	v_add_co_ci_u32_e64 v9, null, s13, v9, vcc_lo
	s_clause 0x1
	global_load_dwordx2 v[44:45], v[26:27], off
	global_load_dwordx2 v[46:47], v[8:9], off
	s_waitcnt vmcnt(7)
	v_subrev_nc_u32_e32 v8, s2, v12
	v_mul_lo_u32 v32, v8, 6
	v_lshlrev_b64 v[24:25], 3, v[32:33]
	v_add_nc_u32_e32 v9, 2, v32
	v_lshlrev_b64 v[28:29], 3, v[9:10]
	v_add_co_u32 v24, vcc_lo, s14, v24
	v_add_co_ci_u32_e64 v25, null, s15, v25, vcc_lo
	v_add_nc_u32_e32 v9, -10, v7
	v_add_co_u32 v28, vcc_lo, s14, v28
	global_load_dwordx4 v[24:27], v[24:25], off
	v_add_co_ci_u32_e64 v29, null, s15, v29, vcc_lo
	v_lshlrev_b64 v[30:31], 3, v[9:10]
	v_add_nc_u32_e32 v9, -9, v7
	v_lshlrev_b64 v[33:34], 3, v[9:10]
	v_add_nc_u32_e32 v9, -8, v7
	v_add_co_u32 v48, vcc_lo, s12, v30
	v_add_co_ci_u32_e64 v49, null, s13, v31, vcc_lo
	v_lshlrev_b64 v[50:51], 3, v[9:10]
	v_add_nc_u32_e32 v9, -7, v7
	v_add_co_u32 v33, vcc_lo, s12, v33
	v_add_co_ci_u32_e64 v34, null, s13, v34, vcc_lo
	v_add_co_u32 v50, vcc_lo, s12, v50
	v_lshlrev_b64 v[52:53], 3, v[9:10]
	v_add_nc_u32_e32 v9, -6, v7
	v_add_co_ci_u32_e64 v51, null, s13, v51, vcc_lo
	global_load_dwordx2 v[54:55], v[33:34], off
	global_load_dwordx4 v[28:31], v[28:29], off
	v_add_co_u32 v52, vcc_lo, s12, v52
	global_load_dwordx2 v[50:51], v[50:51], off
	v_lshlrev_b64 v[33:34], 3, v[9:10]
	v_add_nc_u32_e32 v9, -5, v7
	v_add_co_ci_u32_e64 v53, null, s13, v53, vcc_lo
	global_load_dwordx2 v[48:49], v[48:49], off
	v_lshlrev_b64 v[56:57], 3, v[9:10]
	v_add_nc_u32_e32 v9, 4, v32
	v_add_co_u32 v32, vcc_lo, s12, v33
	v_add_co_ci_u32_e64 v33, null, s13, v34, vcc_lo
	v_add_co_u32 v56, vcc_lo, s12, v56
	v_lshlrev_b64 v[34:35], 3, v[9:10]
	v_add_nc_u32_e32 v9, -4, v7
	v_add_co_ci_u32_e64 v57, null, s13, v57, vcc_lo
	global_load_dwordx2 v[52:53], v[52:53], off
	v_add_co_u32 v34, vcc_lo, s14, v34
	s_clause 0x1
	global_load_dwordx2 v[56:57], v[56:57], off
	global_load_dwordx2 v[58:59], v[32:33], off
	v_lshlrev_b64 v[32:33], 3, v[9:10]
	v_add_nc_u32_e32 v9, -3, v7
	v_add_co_ci_u32_e64 v35, null, s15, v35, vcc_lo
	v_lshlrev_b64 v[60:61], 3, v[9:10]
	v_add_nc_u32_e32 v9, -2, v7
	v_add_co_u32 v62, vcc_lo, s12, v32
	v_add_co_ci_u32_e64 v63, null, s13, v33, vcc_lo
	v_add_co_u32 v60, vcc_lo, s12, v60
	v_lshlrev_b64 v[64:65], 3, v[9:10]
	v_add_nc_u32_e32 v9, -1, v7
	v_add_co_ci_u32_e64 v61, null, s13, v61, vcc_lo
	global_load_dwordx4 v[32:35], v[34:35], off
	global_load_dwordx2 v[62:63], v[62:63], off
	v_lshlrev_b64 v[8:9], 3, v[9:10]
	v_add_nc_u32_e32 v7, 0x90, v7
	s_waitcnt vmcnt(9)
	v_fmac_f32_e32 v18, v20, v24
	v_fmac_f32_e32 v13, v21, v24
	;; [unrolled: 1-line block ×5, first 2 shown]
	v_fma_f32 v12, -v21, v25, v18
	v_fmac_f32_e32 v13, v20, v25
	global_load_dwordx2 v[20:21], v[60:61], off
	v_add_co_u32 v18, vcc_lo, s12, v64
	v_fma_f32 v66, -v23, v25, v19
	v_add_co_ci_u32_e64 v19, null, s13, v65, vcc_lo
	v_add_co_u32 v8, vcc_lo, s12, v8
	v_add_co_ci_u32_e64 v9, null, s13, v9, vcc_lo
	v_fmac_f32_e32 v15, v22, v25
	s_clause 0x1
	global_load_dwordx2 v[22:23], v[18:19], off
	global_load_dwordx2 v[8:9], v[8:9], off
	v_fmac_f32_e32 v14, v39, v24
	v_fma_f32 v17, -v39, v25, v17
	v_fmac_f32_e32 v12, v40, v26
	v_fmac_f32_e32 v13, v41, v26
	;; [unrolled: 1-line block ×6, first 2 shown]
	v_fma_f32 v12, -v41, v27, v12
	v_fmac_f32_e32 v13, v40, v27
	v_fmac_f32_e32 v14, v45, v26
	v_fma_f32 v18, -v43, v27, v66
	v_fmac_f32_e32 v15, v42, v27
	v_fma_f32 v17, -v45, v27, v17
	s_waitcnt vmcnt(10)
	v_fmac_f32_e32 v12, v46, v28
	v_fmac_f32_e32 v14, v44, v27
	;; [unrolled: 1-line block ×3, first 2 shown]
	s_waitcnt vmcnt(8)
	v_fmac_f32_e32 v18, v48, v28
	v_fmac_f32_e32 v15, v49, v28
	;; [unrolled: 1-line block ×4, first 2 shown]
	v_fma_f32 v12, -v47, v29, v12
	v_fmac_f32_e32 v13, v46, v29
	v_fma_f32 v18, -v49, v29, v18
	v_fmac_f32_e32 v15, v48, v29
	;; [unrolled: 2-line block ×3, first 2 shown]
	v_fmac_f32_e32 v12, v50, v30
	v_fmac_f32_e32 v13, v51, v30
	v_cmp_ge_i32_e32 vcc_lo, v11, v16
	s_waitcnt vmcnt(7)
	v_fmac_f32_e32 v18, v52, v30
	v_fmac_f32_e32 v15, v53, v30
	v_fma_f32 v12, -v51, v31, v12
	v_fmac_f32_e32 v13, v50, v31
	s_or_b32 s3, vcc_lo, s3
	s_waitcnt vmcnt(5)
	v_fmac_f32_e32 v17, v58, v30
	v_fmac_f32_e32 v14, v59, v30
	v_fma_f32 v18, -v53, v31, v18
	v_fmac_f32_e32 v15, v52, v31
	v_fma_f32 v17, -v59, v31, v17
	v_fmac_f32_e32 v14, v58, v31
	s_waitcnt vmcnt(4)
	v_fmac_f32_e32 v12, v56, v32
	v_fmac_f32_e32 v13, v57, v32
	s_waitcnt vmcnt(3)
	v_fmac_f32_e32 v18, v62, v32
	v_fmac_f32_e32 v15, v63, v32
	v_fma_f32 v12, -v57, v33, v12
	v_fmac_f32_e32 v13, v56, v33
	v_fma_f32 v19, -v63, v33, v18
	v_fmac_f32_e32 v15, v62, v33
	s_waitcnt vmcnt(2)
	v_fmac_f32_e32 v17, v20, v32
	v_fmac_f32_e32 v14, v21, v32
	v_fma_f32 v17, -v21, v33, v17
	v_fmac_f32_e32 v14, v20, v33
	v_fmac_f32_e32 v17, v36, v34
	s_waitcnt vmcnt(1)
	v_fmac_f32_e32 v12, v22, v34
	v_fmac_f32_e32 v13, v23, v34
	s_waitcnt vmcnt(0)
	v_fmac_f32_e32 v19, v8, v34
	v_fmac_f32_e32 v15, v9, v34
	;; [unrolled: 1-line block ×3, first 2 shown]
	v_fma_f32 v18, -v23, v35, v12
	v_fmac_f32_e32 v13, v22, v35
	v_fma_f32 v19, -v9, v35, v19
	v_fmac_f32_e32 v15, v8, v35
	;; [unrolled: 2-line block ×3, first 2 shown]
	s_andn2_b32 exec_lo, exec_lo, s3
	s_cbranch_execnz .LBB95_7
; %bb.8:
	s_or_b32 exec_lo, exec_lo, s3
.LBB95_9:
	s_or_b32 exec_lo, exec_lo, s1
	s_cbranch_execz .LBB95_11
	s_branch .LBB95_16
.LBB95_10:
                                        ; implicit-def: $vgpr13
                                        ; implicit-def: $vgpr18
                                        ; implicit-def: $vgpr17
                                        ; implicit-def: $vgpr14
                                        ; implicit-def: $vgpr19
                                        ; implicit-def: $vgpr15
.LBB95_11:
	v_mov_b32_e32 v13, 0
	v_mov_b32_e32 v18, 0
	;; [unrolled: 1-line block ×6, first 2 shown]
	s_and_saveexec_b32 s1, s0
	s_cbranch_execz .LBB95_15
; %bb.12:
	v_mad_u64_u32 v[8:9], null, v6, 18, 17
	v_mov_b32_e32 v11, 0
	v_mov_b32_e32 v13, 0
	;; [unrolled: 1-line block ×7, first 2 shown]
	s_mov_b32 s0, 0
.LBB95_13:                              ; =>This Inner Loop Header: Depth=1
	v_ashrrev_i32_e32 v7, 31, v6
	v_subrev_nc_u32_e32 v10, 17, v8
	v_add_nc_u32_e32 v20, -11, v8
	v_mov_b32_e32 v21, v11
	v_add_nc_u32_e32 v22, -5, v8
	v_lshlrev_b64 v[26:27], 2, v[6:7]
	v_mov_b32_e32 v23, v11
	v_lshlrev_b64 v[24:25], 3, v[10:11]
	v_mov_b32_e32 v9, v11
	v_add_nc_u32_e32 v10, -10, v8
	v_lshlrev_b64 v[20:21], 3, v[20:21]
	v_add_co_u32 v26, vcc_lo, s10, v26
	v_add_co_ci_u32_e64 v27, null, s11, v27, vcc_lo
	v_lshlrev_b64 v[22:23], 3, v[22:23]
	v_lshlrev_b64 v[30:31], 3, v[8:9]
	v_add_co_u32 v24, vcc_lo, s12, v24
	global_load_dword v7, v[26:27], off
	v_lshlrev_b64 v[32:33], 3, v[10:11]
	v_add_nc_u32_e32 v10, -4, v8
	v_add_co_ci_u32_e64 v25, null, s13, v25, vcc_lo
	v_add_co_u32 v34, vcc_lo, s12, v20
	v_add_co_ci_u32_e64 v35, null, s13, v21, vcc_lo
	v_add_co_u32 v36, vcc_lo, s12, v22
	;; [unrolled: 2-line block ×3, first 2 shown]
	v_lshlrev_b64 v[26:27], 3, v[10:11]
	v_add_nc_u32_e32 v10, -15, v8
	v_add_co_ci_u32_e64 v31, null, s13, v31, vcc_lo
	global_load_dwordx4 v[20:23], v[24:25], off
	v_add_co_u32 v24, vcc_lo, s12, v32
	v_add_co_ci_u32_e64 v25, null, s13, v33, vcc_lo
	v_lshlrev_b64 v[9:10], 3, v[10:11]
	s_clause 0x2
	global_load_dwordx2 v[32:33], v[34:35], off
	global_load_dwordx2 v[36:37], v[36:37], off
	global_load_dwordx2 v[38:39], v[30:31], off
	v_mov_b32_e32 v29, v11
	global_load_dwordx2 v[40:41], v[24:25], off
	v_add_co_u32 v24, vcc_lo, s12, v26
	v_add_co_ci_u32_e64 v25, null, s13, v27, vcc_lo
	v_add_co_u32 v9, vcc_lo, s12, v9
	v_add_co_ci_u32_e64 v10, null, s13, v10, vcc_lo
	s_clause 0x1
	global_load_dwordx2 v[42:43], v[24:25], off
	global_load_dwordx2 v[44:45], v[9:10], off
	v_add_nc_u32_e32 v6, 8, v6
	s_waitcnt vmcnt(7)
	v_subrev_nc_u32_e32 v7, s2, v7
	v_mul_lo_u32 v28, v7, 6
	v_lshlrev_b64 v[24:25], 3, v[28:29]
	v_add_nc_u32_e32 v10, 2, v28
	v_lshlrev_b64 v[29:30], 3, v[10:11]
	v_add_co_u32 v24, vcc_lo, s14, v24
	v_add_co_ci_u32_e64 v25, null, s15, v25, vcc_lo
	v_add_nc_u32_e32 v10, -9, v8
	v_add_co_u32 v29, vcc_lo, s14, v29
	global_load_dwordx4 v[24:27], v[24:25], off
	v_add_co_ci_u32_e64 v30, null, s15, v30, vcc_lo
	v_lshlrev_b64 v[34:35], 3, v[10:11]
	v_add_nc_u32_e32 v10, -3, v8
	v_lshlrev_b64 v[46:47], 3, v[10:11]
	v_add_nc_u32_e32 v10, -14, v8
	v_add_co_u32 v34, vcc_lo, s12, v34
	v_add_co_ci_u32_e64 v35, null, s13, v35, vcc_lo
	v_lshlrev_b64 v[48:49], 3, v[10:11]
	v_add_nc_u32_e32 v10, -8, v8
	v_add_co_u32 v46, vcc_lo, s12, v46
	v_add_co_ci_u32_e64 v47, null, s13, v47, vcc_lo
	v_lshlrev_b64 v[50:51], 3, v[10:11]
	v_add_nc_u32_e32 v10, -2, v8
	v_add_co_u32 v48, vcc_lo, s12, v48
	v_add_co_ci_u32_e64 v49, null, s13, v49, vcc_lo
	v_lshlrev_b64 v[52:53], 3, v[10:11]
	v_add_nc_u32_e32 v10, -13, v8
	v_add_co_u32 v50, vcc_lo, s12, v50
	v_add_co_ci_u32_e64 v51, null, s13, v51, vcc_lo
	v_lshlrev_b64 v[54:55], 3, v[10:11]
	v_add_nc_u32_e32 v10, 4, v28
	v_add_co_u32 v52, vcc_lo, s12, v52
	v_add_co_ci_u32_e64 v53, null, s13, v53, vcc_lo
	v_lshlrev_b64 v[56:57], 3, v[10:11]
	v_add_nc_u32_e32 v10, -7, v8
	v_add_co_u32 v54, vcc_lo, s12, v54
	v_add_co_ci_u32_e64 v55, null, s13, v55, vcc_lo
	v_lshlrev_b64 v[58:59], 3, v[10:11]
	v_add_nc_u32_e32 v10, -1, v8
	global_load_dwordx4 v[28:31], v[29:30], off
	s_clause 0x5
	global_load_dwordx2 v[64:65], v[34:35], off
	global_load_dwordx2 v[46:47], v[46:47], off
	;; [unrolled: 1-line block ×6, first 2 shown]
	v_add_co_u32 v56, vcc_lo, s14, v56
	v_add_co_ci_u32_e64 v57, null, s15, v57, vcc_lo
	v_lshlrev_b64 v[60:61], 3, v[10:11]
	v_add_nc_u32_e32 v10, -12, v8
	v_add_co_u32 v58, vcc_lo, s12, v58
	v_add_co_ci_u32_e64 v59, null, s13, v59, vcc_lo
	v_lshlrev_b64 v[62:63], 3, v[10:11]
	v_add_nc_u32_e32 v10, -6, v8
	v_add_co_u32 v60, vcc_lo, s12, v60
	v_add_co_ci_u32_e64 v61, null, s13, v61, vcc_lo
	v_lshlrev_b64 v[9:10], 3, v[10:11]
	v_add_co_u32 v62, vcc_lo, s12, v62
	v_add_co_ci_u32_e64 v63, null, s13, v63, vcc_lo
	v_add_nc_u32_e32 v8, 0x90, v8
	v_add_co_u32 v9, vcc_lo, s12, v9
	v_add_co_ci_u32_e64 v10, null, s13, v10, vcc_lo
	v_cmp_ge_i32_e32 vcc_lo, v6, v16
	s_or_b32 s0, vcc_lo, s0
	s_waitcnt vmcnt(7)
	v_fmac_f32_e32 v19, v32, v24
	v_fmac_f32_e32 v15, v33, v24
	;; [unrolled: 1-line block ×5, first 2 shown]
	v_fma_f32 v7, -v33, v25, v19
	v_fmac_f32_e32 v15, v32, v25
	global_load_dwordx4 v[32:35], v[56:57], off
	s_clause 0x3
	global_load_dwordx2 v[56:57], v[58:59], off
	global_load_dwordx2 v[58:59], v[60:61], off
	;; [unrolled: 1-line block ×4, first 2 shown]
	v_fmac_f32_e32 v14, v37, v24
	v_fma_f32 v12, -v21, v25, v18
	v_fmac_f32_e32 v13, v20, v25
	v_fma_f32 v17, -v37, v25, v17
	v_fmac_f32_e32 v7, v40, v26
	v_fmac_f32_e32 v14, v36, v25
	;; [unrolled: 1-line block ×7, first 2 shown]
	v_fma_f32 v12, -v23, v27, v12
	v_fmac_f32_e32 v13, v22, v27
	v_fma_f32 v7, -v41, v27, v7
	v_fmac_f32_e32 v15, v40, v27
	v_fma_f32 v17, -v43, v27, v17
	v_fmac_f32_e32 v14, v42, v27
	s_waitcnt vmcnt(11)
	v_fmac_f32_e32 v12, v44, v28
	v_fmac_f32_e32 v13, v45, v28
	s_waitcnt vmcnt(10)
	v_fmac_f32_e32 v7, v64, v28
	v_fmac_f32_e32 v15, v65, v28
	s_waitcnt vmcnt(9)
	v_fmac_f32_e32 v17, v46, v28
	v_fmac_f32_e32 v14, v47, v28
	v_fma_f32 v12, -v45, v29, v12
	v_fmac_f32_e32 v13, v44, v29
	v_fma_f32 v7, -v65, v29, v7
	v_fmac_f32_e32 v15, v64, v29
	v_fma_f32 v17, -v47, v29, v17
	v_fmac_f32_e32 v14, v46, v29
	s_waitcnt vmcnt(8)
	v_fmac_f32_e32 v12, v48, v30
	v_fmac_f32_e32 v13, v49, v30
	s_waitcnt vmcnt(7)
	v_fmac_f32_e32 v7, v50, v30
	v_fmac_f32_e32 v15, v51, v30
	s_waitcnt vmcnt(6)
	v_fmac_f32_e32 v17, v52, v30
	v_fmac_f32_e32 v14, v53, v30
	;; [unrolled: 15-line block ×3, first 2 shown]
	v_fma_f32 v12, -v55, v33, v12
	v_fmac_f32_e32 v13, v54, v33
	v_fma_f32 v7, -v57, v33, v7
	v_fmac_f32_e32 v15, v56, v33
	;; [unrolled: 2-line block ×3, first 2 shown]
	s_waitcnt vmcnt(1)
	v_fmac_f32_e32 v12, v60, v34
	v_fmac_f32_e32 v13, v61, v34
	s_waitcnt vmcnt(0)
	v_fmac_f32_e32 v7, v9, v34
	v_fmac_f32_e32 v15, v10, v34
	;; [unrolled: 1-line block ×4, first 2 shown]
	v_fma_f32 v18, -v61, v35, v12
	v_fmac_f32_e32 v13, v60, v35
	v_fma_f32 v19, -v10, v35, v7
	v_fmac_f32_e32 v15, v9, v35
	;; [unrolled: 2-line block ×3, first 2 shown]
	s_andn2_b32 exec_lo, exec_lo, s0
	s_cbranch_execnz .LBB95_13
; %bb.14:
	s_or_b32 exec_lo, exec_lo, s0
.LBB95_15:
	s_or_b32 exec_lo, exec_lo, s1
.LBB95_16:
	v_mbcnt_lo_u32_b32 v6, -1, 0
	v_xor_b32_e32 v7, 4, v6
	v_xor_b32_e32 v16, 2, v6
	v_cmp_gt_i32_e32 vcc_lo, 32, v7
	v_cndmask_b32_e32 v7, v6, v7, vcc_lo
	v_cmp_gt_i32_e32 vcc_lo, 32, v16
	v_lshlrev_b32_e32 v7, 2, v7
	v_cndmask_b32_e32 v16, v6, v16, vcc_lo
	ds_bpermute_b32 v8, v7, v18
	ds_bpermute_b32 v9, v7, v13
	;; [unrolled: 1-line block ×6, first 2 shown]
	v_lshlrev_b32_e32 v16, 2, v16
	s_waitcnt lgkmcnt(5)
	v_add_f32_e32 v8, v18, v8
	s_waitcnt lgkmcnt(4)
	v_add_f32_e32 v9, v13, v9
	;; [unrolled: 2-line block ×6, first 2 shown]
	ds_bpermute_b32 v7, v16, v8
	ds_bpermute_b32 v11, v16, v9
	;; [unrolled: 1-line block ×6, first 2 shown]
	v_xor_b32_e32 v19, 1, v6
	v_cmp_gt_i32_e32 vcc_lo, 32, v19
	v_cndmask_b32_e32 v6, v6, v19, vcc_lo
	v_cmp_eq_u32_e32 vcc_lo, 7, v0
	v_lshlrev_b32_e32 v19, 2, v6
	s_waitcnt lgkmcnt(5)
	v_add_f32_e32 v6, v8, v7
	s_waitcnt lgkmcnt(4)
	v_add_f32_e32 v9, v9, v11
	;; [unrolled: 2-line block ×6, first 2 shown]
	ds_bpermute_b32 v10, v19, v6
	ds_bpermute_b32 v15, v19, v9
	;; [unrolled: 1-line block ×6, first 2 shown]
	s_and_b32 exec_lo, exec_lo, vcc_lo
	s_cbranch_execz .LBB95_21
; %bb.17:
	s_load_dwordx2 s[2:3], s[4:5], 0x38
	v_cmp_eq_f32_e32 vcc_lo, 0, v3
	v_cmp_eq_f32_e64 s0, 0, v4
	s_waitcnt lgkmcnt(0)
	v_add_f32_e32 v0, v6, v10
	v_add_f32_e32 v10, v9, v15
	;; [unrolled: 1-line block ×6, first 2 shown]
	s_and_b32 s0, vcc_lo, s0
	s_and_saveexec_b32 s1, s0
	s_xor_b32 s0, exec_lo, s1
	s_cbranch_execz .LBB95_19
; %bb.18:
	v_lshl_add_u32 v3, v5, 1, v5
	v_mul_f32_e64 v11, v10, -v2
	v_mul_f32_e32 v12, v1, v10
	v_mul_f32_e64 v13, v9, -v2
	v_mul_f32_e32 v14, v1, v9
	v_ashrrev_i32_e32 v4, 31, v3
	v_mul_f32_e64 v9, v8, -v2
	v_mul_f32_e32 v10, v1, v8
	v_fmac_f32_e32 v11, v1, v0
	v_fmac_f32_e32 v12, v2, v0
	v_lshlrev_b64 v[3:4], 3, v[3:4]
	v_fmac_f32_e32 v13, v1, v6
	v_fmac_f32_e32 v14, v2, v6
	;; [unrolled: 1-line block ×4, first 2 shown]
                                        ; implicit-def: $vgpr5
                                        ; implicit-def: $vgpr0
                                        ; implicit-def: $vgpr6
                                        ; implicit-def: $vgpr7
                                        ; implicit-def: $vgpr8
                                        ; implicit-def: $vgpr1_vgpr2
	v_add_co_u32 v3, vcc_lo, s2, v3
	v_add_co_ci_u32_e64 v4, null, s3, v4, vcc_lo
	global_store_dwordx4 v[3:4], v[11:14], off
	global_store_dwordx2 v[3:4], v[9:10], off offset:16
                                        ; implicit-def: $vgpr10
                                        ; implicit-def: $vgpr9
                                        ; implicit-def: $vgpr3_vgpr4
.LBB95_19:
	s_andn2_saveexec_b32 s0, s0
	s_cbranch_execz .LBB95_21
; %bb.20:
	v_lshl_add_u32 v11, v5, 1, v5
	v_mul_f32_e64 v15, v10, -v2
	v_mul_f32_e32 v16, v1, v10
	v_mul_f32_e64 v10, v9, -v2
	v_mul_f32_e32 v18, v1, v9
	v_ashrrev_i32_e32 v12, 31, v11
	v_mul_f32_e64 v9, v8, -v2
	v_mul_f32_e32 v5, v1, v8
	v_fmac_f32_e32 v15, v1, v0
	v_fmac_f32_e32 v16, v2, v0
	v_lshlrev_b64 v[11:12], 3, v[11:12]
	v_fmac_f32_e32 v10, v1, v6
	v_fmac_f32_e32 v18, v2, v6
	;; [unrolled: 1-line block ×4, first 2 shown]
	v_add_co_u32 v19, vcc_lo, s2, v11
	v_add_co_ci_u32_e64 v20, null, s3, v12, vcc_lo
	s_clause 0x1
	global_load_dwordx4 v[11:14], v[19:20], off
	global_load_dwordx2 v[21:22], v[19:20], off offset:16
	s_waitcnt vmcnt(1)
	v_fmac_f32_e32 v15, v3, v11
	v_fmac_f32_e32 v16, v4, v11
	v_fmac_f32_e32 v10, v3, v13
	v_fmac_f32_e32 v18, v4, v13
	s_waitcnt vmcnt(0)
	v_fmac_f32_e32 v9, v3, v21
	v_fmac_f32_e32 v5, v4, v21
	v_fma_f32 v15, -v4, v12, v15
	v_fmac_f32_e32 v16, v3, v12
	v_fma_f32 v17, -v4, v14, v10
	v_fmac_f32_e32 v18, v3, v14
	v_fma_f32 v4, -v4, v22, v9
	v_fmac_f32_e32 v5, v3, v22
	global_store_dwordx4 v[19:20], v[15:18], off
	global_store_dwordx2 v[19:20], v[4:5], off offset:16
.LBB95_21:
	s_endpgm
	.section	.rodata,"a",@progbits
	.p2align	6, 0x0
	.amdhsa_kernel _ZN9rocsparseL19gebsrmvn_3xn_kernelILj128ELj6ELj8E21rocsparse_complex_numIfEEEvi20rocsparse_direction_NS_24const_host_device_scalarIT2_EEPKiS8_PKS5_SA_S6_PS5_21rocsparse_index_base_b
		.amdhsa_group_segment_fixed_size 0
		.amdhsa_private_segment_fixed_size 0
		.amdhsa_kernarg_size 72
		.amdhsa_user_sgpr_count 6
		.amdhsa_user_sgpr_private_segment_buffer 1
		.amdhsa_user_sgpr_dispatch_ptr 0
		.amdhsa_user_sgpr_queue_ptr 0
		.amdhsa_user_sgpr_kernarg_segment_ptr 1
		.amdhsa_user_sgpr_dispatch_id 0
		.amdhsa_user_sgpr_flat_scratch_init 0
		.amdhsa_user_sgpr_private_segment_size 0
		.amdhsa_wavefront_size32 1
		.amdhsa_uses_dynamic_stack 0
		.amdhsa_system_sgpr_private_segment_wavefront_offset 0
		.amdhsa_system_sgpr_workgroup_id_x 1
		.amdhsa_system_sgpr_workgroup_id_y 0
		.amdhsa_system_sgpr_workgroup_id_z 0
		.amdhsa_system_sgpr_workgroup_info 0
		.amdhsa_system_vgpr_workitem_id 0
		.amdhsa_next_free_vgpr 67
		.amdhsa_next_free_sgpr 16
		.amdhsa_reserve_vcc 1
		.amdhsa_reserve_flat_scratch 0
		.amdhsa_float_round_mode_32 0
		.amdhsa_float_round_mode_16_64 0
		.amdhsa_float_denorm_mode_32 3
		.amdhsa_float_denorm_mode_16_64 3
		.amdhsa_dx10_clamp 1
		.amdhsa_ieee_mode 1
		.amdhsa_fp16_overflow 0
		.amdhsa_workgroup_processor_mode 1
		.amdhsa_memory_ordered 1
		.amdhsa_forward_progress 1
		.amdhsa_shared_vgpr_count 0
		.amdhsa_exception_fp_ieee_invalid_op 0
		.amdhsa_exception_fp_denorm_src 0
		.amdhsa_exception_fp_ieee_div_zero 0
		.amdhsa_exception_fp_ieee_overflow 0
		.amdhsa_exception_fp_ieee_underflow 0
		.amdhsa_exception_fp_ieee_inexact 0
		.amdhsa_exception_int_div_zero 0
	.end_amdhsa_kernel
	.section	.text._ZN9rocsparseL19gebsrmvn_3xn_kernelILj128ELj6ELj8E21rocsparse_complex_numIfEEEvi20rocsparse_direction_NS_24const_host_device_scalarIT2_EEPKiS8_PKS5_SA_S6_PS5_21rocsparse_index_base_b,"axG",@progbits,_ZN9rocsparseL19gebsrmvn_3xn_kernelILj128ELj6ELj8E21rocsparse_complex_numIfEEEvi20rocsparse_direction_NS_24const_host_device_scalarIT2_EEPKiS8_PKS5_SA_S6_PS5_21rocsparse_index_base_b,comdat
.Lfunc_end95:
	.size	_ZN9rocsparseL19gebsrmvn_3xn_kernelILj128ELj6ELj8E21rocsparse_complex_numIfEEEvi20rocsparse_direction_NS_24const_host_device_scalarIT2_EEPKiS8_PKS5_SA_S6_PS5_21rocsparse_index_base_b, .Lfunc_end95-_ZN9rocsparseL19gebsrmvn_3xn_kernelILj128ELj6ELj8E21rocsparse_complex_numIfEEEvi20rocsparse_direction_NS_24const_host_device_scalarIT2_EEPKiS8_PKS5_SA_S6_PS5_21rocsparse_index_base_b
                                        ; -- End function
	.set _ZN9rocsparseL19gebsrmvn_3xn_kernelILj128ELj6ELj8E21rocsparse_complex_numIfEEEvi20rocsparse_direction_NS_24const_host_device_scalarIT2_EEPKiS8_PKS5_SA_S6_PS5_21rocsparse_index_base_b.num_vgpr, 67
	.set _ZN9rocsparseL19gebsrmvn_3xn_kernelILj128ELj6ELj8E21rocsparse_complex_numIfEEEvi20rocsparse_direction_NS_24const_host_device_scalarIT2_EEPKiS8_PKS5_SA_S6_PS5_21rocsparse_index_base_b.num_agpr, 0
	.set _ZN9rocsparseL19gebsrmvn_3xn_kernelILj128ELj6ELj8E21rocsparse_complex_numIfEEEvi20rocsparse_direction_NS_24const_host_device_scalarIT2_EEPKiS8_PKS5_SA_S6_PS5_21rocsparse_index_base_b.numbered_sgpr, 16
	.set _ZN9rocsparseL19gebsrmvn_3xn_kernelILj128ELj6ELj8E21rocsparse_complex_numIfEEEvi20rocsparse_direction_NS_24const_host_device_scalarIT2_EEPKiS8_PKS5_SA_S6_PS5_21rocsparse_index_base_b.num_named_barrier, 0
	.set _ZN9rocsparseL19gebsrmvn_3xn_kernelILj128ELj6ELj8E21rocsparse_complex_numIfEEEvi20rocsparse_direction_NS_24const_host_device_scalarIT2_EEPKiS8_PKS5_SA_S6_PS5_21rocsparse_index_base_b.private_seg_size, 0
	.set _ZN9rocsparseL19gebsrmvn_3xn_kernelILj128ELj6ELj8E21rocsparse_complex_numIfEEEvi20rocsparse_direction_NS_24const_host_device_scalarIT2_EEPKiS8_PKS5_SA_S6_PS5_21rocsparse_index_base_b.uses_vcc, 1
	.set _ZN9rocsparseL19gebsrmvn_3xn_kernelILj128ELj6ELj8E21rocsparse_complex_numIfEEEvi20rocsparse_direction_NS_24const_host_device_scalarIT2_EEPKiS8_PKS5_SA_S6_PS5_21rocsparse_index_base_b.uses_flat_scratch, 0
	.set _ZN9rocsparseL19gebsrmvn_3xn_kernelILj128ELj6ELj8E21rocsparse_complex_numIfEEEvi20rocsparse_direction_NS_24const_host_device_scalarIT2_EEPKiS8_PKS5_SA_S6_PS5_21rocsparse_index_base_b.has_dyn_sized_stack, 0
	.set _ZN9rocsparseL19gebsrmvn_3xn_kernelILj128ELj6ELj8E21rocsparse_complex_numIfEEEvi20rocsparse_direction_NS_24const_host_device_scalarIT2_EEPKiS8_PKS5_SA_S6_PS5_21rocsparse_index_base_b.has_recursion, 0
	.set _ZN9rocsparseL19gebsrmvn_3xn_kernelILj128ELj6ELj8E21rocsparse_complex_numIfEEEvi20rocsparse_direction_NS_24const_host_device_scalarIT2_EEPKiS8_PKS5_SA_S6_PS5_21rocsparse_index_base_b.has_indirect_call, 0
	.section	.AMDGPU.csdata,"",@progbits
; Kernel info:
; codeLenInByte = 3608
; TotalNumSgprs: 18
; NumVgprs: 67
; ScratchSize: 0
; MemoryBound: 0
; FloatMode: 240
; IeeeMode: 1
; LDSByteSize: 0 bytes/workgroup (compile time only)
; SGPRBlocks: 0
; VGPRBlocks: 8
; NumSGPRsForWavesPerEU: 18
; NumVGPRsForWavesPerEU: 67
; Occupancy: 12
; WaveLimiterHint : 1
; COMPUTE_PGM_RSRC2:SCRATCH_EN: 0
; COMPUTE_PGM_RSRC2:USER_SGPR: 6
; COMPUTE_PGM_RSRC2:TRAP_HANDLER: 0
; COMPUTE_PGM_RSRC2:TGID_X_EN: 1
; COMPUTE_PGM_RSRC2:TGID_Y_EN: 0
; COMPUTE_PGM_RSRC2:TGID_Z_EN: 0
; COMPUTE_PGM_RSRC2:TIDIG_COMP_CNT: 0
	.section	.text._ZN9rocsparseL19gebsrmvn_3xn_kernelILj128ELj6ELj16E21rocsparse_complex_numIfEEEvi20rocsparse_direction_NS_24const_host_device_scalarIT2_EEPKiS8_PKS5_SA_S6_PS5_21rocsparse_index_base_b,"axG",@progbits,_ZN9rocsparseL19gebsrmvn_3xn_kernelILj128ELj6ELj16E21rocsparse_complex_numIfEEEvi20rocsparse_direction_NS_24const_host_device_scalarIT2_EEPKiS8_PKS5_SA_S6_PS5_21rocsparse_index_base_b,comdat
	.globl	_ZN9rocsparseL19gebsrmvn_3xn_kernelILj128ELj6ELj16E21rocsparse_complex_numIfEEEvi20rocsparse_direction_NS_24const_host_device_scalarIT2_EEPKiS8_PKS5_SA_S6_PS5_21rocsparse_index_base_b ; -- Begin function _ZN9rocsparseL19gebsrmvn_3xn_kernelILj128ELj6ELj16E21rocsparse_complex_numIfEEEvi20rocsparse_direction_NS_24const_host_device_scalarIT2_EEPKiS8_PKS5_SA_S6_PS5_21rocsparse_index_base_b
	.p2align	8
	.type	_ZN9rocsparseL19gebsrmvn_3xn_kernelILj128ELj6ELj16E21rocsparse_complex_numIfEEEvi20rocsparse_direction_NS_24const_host_device_scalarIT2_EEPKiS8_PKS5_SA_S6_PS5_21rocsparse_index_base_b,@function
_ZN9rocsparseL19gebsrmvn_3xn_kernelILj128ELj6ELj16E21rocsparse_complex_numIfEEEvi20rocsparse_direction_NS_24const_host_device_scalarIT2_EEPKiS8_PKS5_SA_S6_PS5_21rocsparse_index_base_b: ; @_ZN9rocsparseL19gebsrmvn_3xn_kernelILj128ELj6ELj16E21rocsparse_complex_numIfEEEvi20rocsparse_direction_NS_24const_host_device_scalarIT2_EEPKiS8_PKS5_SA_S6_PS5_21rocsparse_index_base_b
; %bb.0:
	s_clause 0x2
	s_load_dwordx2 s[2:3], s[4:5], 0x40
	s_load_dwordx2 s[0:1], s[4:5], 0x8
	;; [unrolled: 1-line block ×3, first 2 shown]
	s_add_u32 s7, s4, 8
	s_addc_u32 s10, s5, 0
	s_add_u32 s11, s4, 48
	s_addc_u32 s12, s5, 0
	s_waitcnt lgkmcnt(0)
	s_bitcmp1_b32 s3, 0
	s_cselect_b32 s0, s7, s0
	s_cselect_b32 s1, s10, s1
	v_mov_b32_e32 v1, s0
	v_mov_b32_e32 v2, s1
	s_cselect_b32 s0, s11, s8
	s_cselect_b32 s1, s12, s9
	v_mov_b32_e32 v3, s0
	v_mov_b32_e32 v4, s1
	flat_load_dwordx2 v[1:2], v[1:2]
	flat_load_dwordx2 v[3:4], v[3:4]
	s_waitcnt vmcnt(1) lgkmcnt(1)
	v_cmp_eq_f32_e32 vcc_lo, 0, v1
	v_cmp_eq_f32_e64 s0, 0, v2
	s_and_b32 s3, vcc_lo, s0
	s_mov_b32 s0, -1
	s_and_saveexec_b32 s1, s3
	s_cbranch_execz .LBB96_2
; %bb.1:
	s_waitcnt vmcnt(0) lgkmcnt(0)
	v_cmp_neq_f32_e32 vcc_lo, 1.0, v3
	v_cmp_neq_f32_e64 s0, 0, v4
	s_or_b32 s0, vcc_lo, s0
	s_orn2_b32 s0, s0, exec_lo
.LBB96_2:
	s_or_b32 exec_lo, exec_lo, s1
	s_and_saveexec_b32 s1, s0
	s_cbranch_execz .LBB96_21
; %bb.3:
	s_load_dwordx2 s[0:1], s[4:5], 0x0
	v_lshrrev_b32_e32 v5, 4, v0
	v_lshl_or_b32 v5, s6, 3, v5
	s_waitcnt lgkmcnt(0)
	v_cmp_gt_i32_e32 vcc_lo, s0, v5
	s_and_b32 exec_lo, exec_lo, vcc_lo
	s_cbranch_execz .LBB96_21
; %bb.4:
	s_load_dwordx8 s[8:15], s[4:5], 0x10
	v_ashrrev_i32_e32 v6, 31, v5
	v_and_b32_e32 v0, 15, v0
	s_cmp_lg_u32 s1, 0
	v_lshlrev_b64 v[6:7], 2, v[5:6]
	s_waitcnt lgkmcnt(0)
	v_add_co_u32 v6, vcc_lo, s8, v6
	v_add_co_ci_u32_e64 v7, null, s9, v7, vcc_lo
	global_load_dwordx2 v[6:7], v[6:7], off
	s_waitcnt vmcnt(0)
	v_subrev_nc_u32_e32 v6, s2, v6
	v_subrev_nc_u32_e32 v16, s2, v7
	v_add_nc_u32_e32 v6, v6, v0
	v_cmp_lt_i32_e64 s0, v6, v16
	s_cbranch_scc0 .LBB96_10
; %bb.5:
	v_mov_b32_e32 v13, 0
	v_mov_b32_e32 v18, 0
	;; [unrolled: 1-line block ×6, first 2 shown]
	s_and_saveexec_b32 s1, s0
	s_cbranch_execz .LBB96_9
; %bb.6:
	v_mad_u64_u32 v[7:8], null, v6, 18, 17
	v_mov_b32_e32 v10, 0
	v_mov_b32_e32 v11, v6
	v_mov_b32_e32 v13, 0
	v_mov_b32_e32 v18, 0
	v_mov_b32_e32 v17, 0
	v_mov_b32_e32 v14, 0
	v_mov_b32_e32 v19, 0
	v_mov_b32_e32 v15, 0
	s_mov_b32 s3, 0
.LBB96_7:                               ; =>This Inner Loop Header: Depth=1
	v_ashrrev_i32_e32 v12, 31, v11
	v_subrev_nc_u32_e32 v9, 17, v7
	v_mov_b32_e32 v8, v10
	v_mov_b32_e32 v33, v10
	v_lshlrev_b64 v[22:23], 2, v[11:12]
	v_lshlrev_b64 v[20:21], 3, v[9:10]
	v_add_nc_u32_e32 v9, -15, v7
	v_lshlrev_b64 v[24:25], 3, v[7:8]
	v_add_nc_u32_e32 v11, 16, v11
	v_add_co_u32 v22, vcc_lo, s10, v22
	v_add_co_ci_u32_e64 v23, null, s11, v23, vcc_lo
	v_lshlrev_b64 v[26:27], 3, v[9:10]
	v_add_nc_u32_e32 v9, -14, v7
	v_add_co_u32 v20, vcc_lo, s12, v20
	global_load_dword v12, v[22:23], off
	v_add_co_ci_u32_e64 v21, null, s13, v21, vcc_lo
	v_add_co_u32 v24, vcc_lo, s12, v24
	v_lshlrev_b64 v[28:29], 3, v[9:10]
	v_add_nc_u32_e32 v9, -13, v7
	v_add_co_ci_u32_e64 v25, null, s13, v25, vcc_lo
	s_clause 0x1
	global_load_dwordx4 v[20:23], v[20:21], off
	global_load_dwordx2 v[36:37], v[24:25], off
	v_lshlrev_b64 v[24:25], 3, v[9:10]
	v_add_co_u32 v26, vcc_lo, s12, v26
	v_add_co_ci_u32_e64 v27, null, s13, v27, vcc_lo
	v_add_co_u32 v28, vcc_lo, s12, v28
	v_add_co_ci_u32_e64 v29, null, s13, v29, vcc_lo
	v_add_co_u32 v24, vcc_lo, s12, v24
	v_add_nc_u32_e32 v9, -12, v7
	v_add_co_ci_u32_e64 v25, null, s13, v25, vcc_lo
	s_clause 0x2
	global_load_dwordx2 v[38:39], v[26:27], off
	global_load_dwordx2 v[40:41], v[28:29], off
	;; [unrolled: 1-line block ×3, first 2 shown]
	v_lshlrev_b64 v[26:27], 3, v[9:10]
	v_add_nc_u32_e32 v9, -11, v7
	v_lshlrev_b64 v[8:9], 3, v[9:10]
	v_add_co_u32 v26, vcc_lo, s12, v26
	v_add_co_ci_u32_e64 v27, null, s13, v27, vcc_lo
	v_add_co_u32 v8, vcc_lo, s12, v8
	v_add_co_ci_u32_e64 v9, null, s13, v9, vcc_lo
	s_clause 0x1
	global_load_dwordx2 v[44:45], v[26:27], off
	global_load_dwordx2 v[46:47], v[8:9], off
	s_waitcnt vmcnt(7)
	v_subrev_nc_u32_e32 v8, s2, v12
	v_mul_lo_u32 v32, v8, 6
	v_lshlrev_b64 v[24:25], 3, v[32:33]
	v_add_nc_u32_e32 v9, 2, v32
	v_lshlrev_b64 v[28:29], 3, v[9:10]
	v_add_co_u32 v24, vcc_lo, s14, v24
	v_add_co_ci_u32_e64 v25, null, s15, v25, vcc_lo
	v_add_nc_u32_e32 v9, -10, v7
	v_add_co_u32 v28, vcc_lo, s14, v28
	global_load_dwordx4 v[24:27], v[24:25], off
	v_add_co_ci_u32_e64 v29, null, s15, v29, vcc_lo
	v_lshlrev_b64 v[30:31], 3, v[9:10]
	v_add_nc_u32_e32 v9, -9, v7
	v_lshlrev_b64 v[33:34], 3, v[9:10]
	v_add_nc_u32_e32 v9, -8, v7
	v_add_co_u32 v48, vcc_lo, s12, v30
	v_add_co_ci_u32_e64 v49, null, s13, v31, vcc_lo
	v_lshlrev_b64 v[50:51], 3, v[9:10]
	v_add_nc_u32_e32 v9, -7, v7
	v_add_co_u32 v33, vcc_lo, s12, v33
	v_add_co_ci_u32_e64 v34, null, s13, v34, vcc_lo
	v_add_co_u32 v50, vcc_lo, s12, v50
	v_lshlrev_b64 v[52:53], 3, v[9:10]
	v_add_nc_u32_e32 v9, -6, v7
	v_add_co_ci_u32_e64 v51, null, s13, v51, vcc_lo
	global_load_dwordx2 v[54:55], v[33:34], off
	global_load_dwordx4 v[28:31], v[28:29], off
	v_add_co_u32 v52, vcc_lo, s12, v52
	global_load_dwordx2 v[50:51], v[50:51], off
	v_lshlrev_b64 v[33:34], 3, v[9:10]
	v_add_nc_u32_e32 v9, -5, v7
	v_add_co_ci_u32_e64 v53, null, s13, v53, vcc_lo
	global_load_dwordx2 v[48:49], v[48:49], off
	v_lshlrev_b64 v[56:57], 3, v[9:10]
	v_add_nc_u32_e32 v9, 4, v32
	v_add_co_u32 v32, vcc_lo, s12, v33
	v_add_co_ci_u32_e64 v33, null, s13, v34, vcc_lo
	v_add_co_u32 v56, vcc_lo, s12, v56
	v_lshlrev_b64 v[34:35], 3, v[9:10]
	v_add_nc_u32_e32 v9, -4, v7
	v_add_co_ci_u32_e64 v57, null, s13, v57, vcc_lo
	global_load_dwordx2 v[52:53], v[52:53], off
	v_add_co_u32 v34, vcc_lo, s14, v34
	s_clause 0x1
	global_load_dwordx2 v[56:57], v[56:57], off
	global_load_dwordx2 v[58:59], v[32:33], off
	v_lshlrev_b64 v[32:33], 3, v[9:10]
	v_add_nc_u32_e32 v9, -3, v7
	v_add_co_ci_u32_e64 v35, null, s15, v35, vcc_lo
	v_lshlrev_b64 v[60:61], 3, v[9:10]
	v_add_nc_u32_e32 v9, -2, v7
	v_add_co_u32 v62, vcc_lo, s12, v32
	v_add_co_ci_u32_e64 v63, null, s13, v33, vcc_lo
	v_add_co_u32 v60, vcc_lo, s12, v60
	v_lshlrev_b64 v[64:65], 3, v[9:10]
	v_add_nc_u32_e32 v9, -1, v7
	v_add_co_ci_u32_e64 v61, null, s13, v61, vcc_lo
	global_load_dwordx4 v[32:35], v[34:35], off
	global_load_dwordx2 v[62:63], v[62:63], off
	v_lshlrev_b64 v[8:9], 3, v[9:10]
	v_add_nc_u32_e32 v7, 0x120, v7
	s_waitcnt vmcnt(9)
	v_fmac_f32_e32 v18, v20, v24
	v_fmac_f32_e32 v13, v21, v24
	v_fmac_f32_e32 v19, v22, v24
	v_fmac_f32_e32 v15, v23, v24
	v_fmac_f32_e32 v17, v38, v24
	v_fma_f32 v12, -v21, v25, v18
	v_fmac_f32_e32 v13, v20, v25
	global_load_dwordx2 v[20:21], v[60:61], off
	v_add_co_u32 v18, vcc_lo, s12, v64
	v_fma_f32 v66, -v23, v25, v19
	v_add_co_ci_u32_e64 v19, null, s13, v65, vcc_lo
	v_add_co_u32 v8, vcc_lo, s12, v8
	v_add_co_ci_u32_e64 v9, null, s13, v9, vcc_lo
	v_fmac_f32_e32 v15, v22, v25
	s_clause 0x1
	global_load_dwordx2 v[22:23], v[18:19], off
	global_load_dwordx2 v[8:9], v[8:9], off
	v_fmac_f32_e32 v14, v39, v24
	v_fma_f32 v17, -v39, v25, v17
	v_fmac_f32_e32 v12, v40, v26
	v_fmac_f32_e32 v13, v41, v26
	;; [unrolled: 1-line block ×6, first 2 shown]
	v_fma_f32 v12, -v41, v27, v12
	v_fmac_f32_e32 v13, v40, v27
	v_fmac_f32_e32 v14, v45, v26
	v_fma_f32 v18, -v43, v27, v66
	v_fmac_f32_e32 v15, v42, v27
	v_fma_f32 v17, -v45, v27, v17
	s_waitcnt vmcnt(10)
	v_fmac_f32_e32 v12, v46, v28
	v_fmac_f32_e32 v14, v44, v27
	;; [unrolled: 1-line block ×3, first 2 shown]
	s_waitcnt vmcnt(8)
	v_fmac_f32_e32 v18, v48, v28
	v_fmac_f32_e32 v15, v49, v28
	;; [unrolled: 1-line block ×4, first 2 shown]
	v_fma_f32 v12, -v47, v29, v12
	v_fmac_f32_e32 v13, v46, v29
	v_fma_f32 v18, -v49, v29, v18
	v_fmac_f32_e32 v15, v48, v29
	v_fma_f32 v17, -v55, v29, v17
	v_fmac_f32_e32 v14, v54, v29
	v_fmac_f32_e32 v12, v50, v30
	v_fmac_f32_e32 v13, v51, v30
	v_cmp_ge_i32_e32 vcc_lo, v11, v16
	s_waitcnt vmcnt(7)
	v_fmac_f32_e32 v18, v52, v30
	v_fmac_f32_e32 v15, v53, v30
	v_fma_f32 v12, -v51, v31, v12
	v_fmac_f32_e32 v13, v50, v31
	s_or_b32 s3, vcc_lo, s3
	s_waitcnt vmcnt(5)
	v_fmac_f32_e32 v17, v58, v30
	v_fmac_f32_e32 v14, v59, v30
	v_fma_f32 v18, -v53, v31, v18
	v_fmac_f32_e32 v15, v52, v31
	v_fma_f32 v17, -v59, v31, v17
	v_fmac_f32_e32 v14, v58, v31
	s_waitcnt vmcnt(4)
	v_fmac_f32_e32 v12, v56, v32
	v_fmac_f32_e32 v13, v57, v32
	s_waitcnt vmcnt(3)
	v_fmac_f32_e32 v18, v62, v32
	v_fmac_f32_e32 v15, v63, v32
	v_fma_f32 v12, -v57, v33, v12
	v_fmac_f32_e32 v13, v56, v33
	v_fma_f32 v19, -v63, v33, v18
	v_fmac_f32_e32 v15, v62, v33
	s_waitcnt vmcnt(2)
	v_fmac_f32_e32 v17, v20, v32
	v_fmac_f32_e32 v14, v21, v32
	v_fma_f32 v17, -v21, v33, v17
	v_fmac_f32_e32 v14, v20, v33
	v_fmac_f32_e32 v17, v36, v34
	s_waitcnt vmcnt(1)
	v_fmac_f32_e32 v12, v22, v34
	v_fmac_f32_e32 v13, v23, v34
	s_waitcnt vmcnt(0)
	v_fmac_f32_e32 v19, v8, v34
	v_fmac_f32_e32 v15, v9, v34
	;; [unrolled: 1-line block ×3, first 2 shown]
	v_fma_f32 v18, -v23, v35, v12
	v_fmac_f32_e32 v13, v22, v35
	v_fma_f32 v19, -v9, v35, v19
	v_fmac_f32_e32 v15, v8, v35
	;; [unrolled: 2-line block ×3, first 2 shown]
	s_andn2_b32 exec_lo, exec_lo, s3
	s_cbranch_execnz .LBB96_7
; %bb.8:
	s_or_b32 exec_lo, exec_lo, s3
.LBB96_9:
	s_or_b32 exec_lo, exec_lo, s1
	s_cbranch_execz .LBB96_11
	s_branch .LBB96_16
.LBB96_10:
                                        ; implicit-def: $vgpr13
                                        ; implicit-def: $vgpr18
                                        ; implicit-def: $vgpr17
                                        ; implicit-def: $vgpr14
                                        ; implicit-def: $vgpr19
                                        ; implicit-def: $vgpr15
.LBB96_11:
	v_mov_b32_e32 v13, 0
	v_mov_b32_e32 v18, 0
	;; [unrolled: 1-line block ×6, first 2 shown]
	s_and_saveexec_b32 s1, s0
	s_cbranch_execz .LBB96_15
; %bb.12:
	v_mad_u64_u32 v[8:9], null, v6, 18, 17
	v_mov_b32_e32 v11, 0
	v_mov_b32_e32 v13, 0
	;; [unrolled: 1-line block ×7, first 2 shown]
	s_mov_b32 s0, 0
.LBB96_13:                              ; =>This Inner Loop Header: Depth=1
	v_ashrrev_i32_e32 v7, 31, v6
	v_subrev_nc_u32_e32 v10, 17, v8
	v_add_nc_u32_e32 v20, -11, v8
	v_mov_b32_e32 v21, v11
	v_add_nc_u32_e32 v22, -5, v8
	v_lshlrev_b64 v[26:27], 2, v[6:7]
	v_mov_b32_e32 v23, v11
	v_lshlrev_b64 v[24:25], 3, v[10:11]
	v_mov_b32_e32 v9, v11
	v_add_nc_u32_e32 v10, -10, v8
	v_lshlrev_b64 v[20:21], 3, v[20:21]
	v_add_co_u32 v26, vcc_lo, s10, v26
	v_add_co_ci_u32_e64 v27, null, s11, v27, vcc_lo
	v_lshlrev_b64 v[22:23], 3, v[22:23]
	v_lshlrev_b64 v[30:31], 3, v[8:9]
	v_add_co_u32 v24, vcc_lo, s12, v24
	global_load_dword v7, v[26:27], off
	v_lshlrev_b64 v[32:33], 3, v[10:11]
	v_add_nc_u32_e32 v10, -4, v8
	v_add_co_ci_u32_e64 v25, null, s13, v25, vcc_lo
	v_add_co_u32 v34, vcc_lo, s12, v20
	v_add_co_ci_u32_e64 v35, null, s13, v21, vcc_lo
	v_add_co_u32 v36, vcc_lo, s12, v22
	;; [unrolled: 2-line block ×3, first 2 shown]
	v_lshlrev_b64 v[26:27], 3, v[10:11]
	v_add_nc_u32_e32 v10, -15, v8
	v_add_co_ci_u32_e64 v31, null, s13, v31, vcc_lo
	global_load_dwordx4 v[20:23], v[24:25], off
	v_add_co_u32 v24, vcc_lo, s12, v32
	v_add_co_ci_u32_e64 v25, null, s13, v33, vcc_lo
	v_lshlrev_b64 v[9:10], 3, v[10:11]
	s_clause 0x2
	global_load_dwordx2 v[32:33], v[34:35], off
	global_load_dwordx2 v[36:37], v[36:37], off
	;; [unrolled: 1-line block ×3, first 2 shown]
	v_mov_b32_e32 v29, v11
	global_load_dwordx2 v[40:41], v[24:25], off
	v_add_co_u32 v24, vcc_lo, s12, v26
	v_add_co_ci_u32_e64 v25, null, s13, v27, vcc_lo
	v_add_co_u32 v9, vcc_lo, s12, v9
	v_add_co_ci_u32_e64 v10, null, s13, v10, vcc_lo
	s_clause 0x1
	global_load_dwordx2 v[42:43], v[24:25], off
	global_load_dwordx2 v[44:45], v[9:10], off
	v_add_nc_u32_e32 v6, 16, v6
	s_waitcnt vmcnt(7)
	v_subrev_nc_u32_e32 v7, s2, v7
	v_mul_lo_u32 v28, v7, 6
	v_lshlrev_b64 v[24:25], 3, v[28:29]
	v_add_nc_u32_e32 v10, 2, v28
	v_lshlrev_b64 v[29:30], 3, v[10:11]
	v_add_co_u32 v24, vcc_lo, s14, v24
	v_add_co_ci_u32_e64 v25, null, s15, v25, vcc_lo
	v_add_nc_u32_e32 v10, -9, v8
	v_add_co_u32 v29, vcc_lo, s14, v29
	global_load_dwordx4 v[24:27], v[24:25], off
	v_add_co_ci_u32_e64 v30, null, s15, v30, vcc_lo
	v_lshlrev_b64 v[34:35], 3, v[10:11]
	v_add_nc_u32_e32 v10, -3, v8
	v_lshlrev_b64 v[46:47], 3, v[10:11]
	v_add_nc_u32_e32 v10, -14, v8
	v_add_co_u32 v34, vcc_lo, s12, v34
	v_add_co_ci_u32_e64 v35, null, s13, v35, vcc_lo
	v_lshlrev_b64 v[48:49], 3, v[10:11]
	v_add_nc_u32_e32 v10, -8, v8
	v_add_co_u32 v46, vcc_lo, s12, v46
	v_add_co_ci_u32_e64 v47, null, s13, v47, vcc_lo
	v_lshlrev_b64 v[50:51], 3, v[10:11]
	v_add_nc_u32_e32 v10, -2, v8
	v_add_co_u32 v48, vcc_lo, s12, v48
	v_add_co_ci_u32_e64 v49, null, s13, v49, vcc_lo
	v_lshlrev_b64 v[52:53], 3, v[10:11]
	v_add_nc_u32_e32 v10, -13, v8
	v_add_co_u32 v50, vcc_lo, s12, v50
	v_add_co_ci_u32_e64 v51, null, s13, v51, vcc_lo
	v_lshlrev_b64 v[54:55], 3, v[10:11]
	v_add_nc_u32_e32 v10, 4, v28
	v_add_co_u32 v52, vcc_lo, s12, v52
	v_add_co_ci_u32_e64 v53, null, s13, v53, vcc_lo
	v_lshlrev_b64 v[56:57], 3, v[10:11]
	v_add_nc_u32_e32 v10, -7, v8
	v_add_co_u32 v54, vcc_lo, s12, v54
	v_add_co_ci_u32_e64 v55, null, s13, v55, vcc_lo
	v_lshlrev_b64 v[58:59], 3, v[10:11]
	v_add_nc_u32_e32 v10, -1, v8
	global_load_dwordx4 v[28:31], v[29:30], off
	s_clause 0x5
	global_load_dwordx2 v[64:65], v[34:35], off
	global_load_dwordx2 v[46:47], v[46:47], off
	;; [unrolled: 1-line block ×6, first 2 shown]
	v_add_co_u32 v56, vcc_lo, s14, v56
	v_add_co_ci_u32_e64 v57, null, s15, v57, vcc_lo
	v_lshlrev_b64 v[60:61], 3, v[10:11]
	v_add_nc_u32_e32 v10, -12, v8
	v_add_co_u32 v58, vcc_lo, s12, v58
	v_add_co_ci_u32_e64 v59, null, s13, v59, vcc_lo
	v_lshlrev_b64 v[62:63], 3, v[10:11]
	v_add_nc_u32_e32 v10, -6, v8
	v_add_co_u32 v60, vcc_lo, s12, v60
	v_add_co_ci_u32_e64 v61, null, s13, v61, vcc_lo
	v_lshlrev_b64 v[9:10], 3, v[10:11]
	v_add_co_u32 v62, vcc_lo, s12, v62
	v_add_co_ci_u32_e64 v63, null, s13, v63, vcc_lo
	v_add_nc_u32_e32 v8, 0x120, v8
	v_add_co_u32 v9, vcc_lo, s12, v9
	v_add_co_ci_u32_e64 v10, null, s13, v10, vcc_lo
	v_cmp_ge_i32_e32 vcc_lo, v6, v16
	s_or_b32 s0, vcc_lo, s0
	s_waitcnt vmcnt(7)
	v_fmac_f32_e32 v19, v32, v24
	v_fmac_f32_e32 v15, v33, v24
	;; [unrolled: 1-line block ×5, first 2 shown]
	v_fma_f32 v7, -v33, v25, v19
	v_fmac_f32_e32 v15, v32, v25
	global_load_dwordx4 v[32:35], v[56:57], off
	s_clause 0x3
	global_load_dwordx2 v[56:57], v[58:59], off
	global_load_dwordx2 v[58:59], v[60:61], off
	;; [unrolled: 1-line block ×4, first 2 shown]
	v_fmac_f32_e32 v14, v37, v24
	v_fma_f32 v12, -v21, v25, v18
	v_fmac_f32_e32 v13, v20, v25
	v_fma_f32 v17, -v37, v25, v17
	v_fmac_f32_e32 v7, v40, v26
	v_fmac_f32_e32 v14, v36, v25
	;; [unrolled: 1-line block ×7, first 2 shown]
	v_fma_f32 v12, -v23, v27, v12
	v_fmac_f32_e32 v13, v22, v27
	v_fma_f32 v7, -v41, v27, v7
	v_fmac_f32_e32 v15, v40, v27
	v_fma_f32 v17, -v43, v27, v17
	v_fmac_f32_e32 v14, v42, v27
	s_waitcnt vmcnt(11)
	v_fmac_f32_e32 v12, v44, v28
	v_fmac_f32_e32 v13, v45, v28
	s_waitcnt vmcnt(10)
	v_fmac_f32_e32 v7, v64, v28
	v_fmac_f32_e32 v15, v65, v28
	s_waitcnt vmcnt(9)
	v_fmac_f32_e32 v17, v46, v28
	v_fmac_f32_e32 v14, v47, v28
	v_fma_f32 v12, -v45, v29, v12
	v_fmac_f32_e32 v13, v44, v29
	v_fma_f32 v7, -v65, v29, v7
	v_fmac_f32_e32 v15, v64, v29
	v_fma_f32 v17, -v47, v29, v17
	v_fmac_f32_e32 v14, v46, v29
	s_waitcnt vmcnt(8)
	v_fmac_f32_e32 v12, v48, v30
	v_fmac_f32_e32 v13, v49, v30
	s_waitcnt vmcnt(7)
	v_fmac_f32_e32 v7, v50, v30
	v_fmac_f32_e32 v15, v51, v30
	s_waitcnt vmcnt(6)
	v_fmac_f32_e32 v17, v52, v30
	v_fmac_f32_e32 v14, v53, v30
	v_fma_f32 v12, -v49, v31, v12
	v_fmac_f32_e32 v13, v48, v31
	v_fma_f32 v7, -v51, v31, v7
	v_fmac_f32_e32 v15, v50, v31
	v_fma_f32 v17, -v53, v31, v17
	v_fmac_f32_e32 v14, v52, v31
	s_waitcnt vmcnt(4)
	v_fmac_f32_e32 v12, v54, v32
	v_fmac_f32_e32 v13, v55, v32
	s_waitcnt vmcnt(3)
	v_fmac_f32_e32 v7, v56, v32
	v_fmac_f32_e32 v15, v57, v32
	s_waitcnt vmcnt(2)
	v_fmac_f32_e32 v17, v58, v32
	v_fmac_f32_e32 v14, v59, v32
	v_fma_f32 v12, -v55, v33, v12
	v_fmac_f32_e32 v13, v54, v33
	v_fma_f32 v7, -v57, v33, v7
	v_fmac_f32_e32 v15, v56, v33
	v_fma_f32 v17, -v59, v33, v17
	v_fmac_f32_e32 v14, v58, v33
	s_waitcnt vmcnt(1)
	v_fmac_f32_e32 v12, v60, v34
	v_fmac_f32_e32 v13, v61, v34
	s_waitcnt vmcnt(0)
	v_fmac_f32_e32 v7, v9, v34
	v_fmac_f32_e32 v15, v10, v34
	;; [unrolled: 1-line block ×4, first 2 shown]
	v_fma_f32 v18, -v61, v35, v12
	v_fmac_f32_e32 v13, v60, v35
	v_fma_f32 v19, -v10, v35, v7
	v_fmac_f32_e32 v15, v9, v35
	;; [unrolled: 2-line block ×3, first 2 shown]
	s_andn2_b32 exec_lo, exec_lo, s0
	s_cbranch_execnz .LBB96_13
; %bb.14:
	s_or_b32 exec_lo, exec_lo, s0
.LBB96_15:
	s_or_b32 exec_lo, exec_lo, s1
.LBB96_16:
	v_mbcnt_lo_u32_b32 v6, -1, 0
	v_xor_b32_e32 v7, 8, v6
	v_xor_b32_e32 v16, 4, v6
	v_cmp_gt_i32_e32 vcc_lo, 32, v7
	v_cndmask_b32_e32 v7, v6, v7, vcc_lo
	v_cmp_gt_i32_e32 vcc_lo, 32, v16
	v_lshlrev_b32_e32 v7, 2, v7
	v_cndmask_b32_e32 v16, v6, v16, vcc_lo
	ds_bpermute_b32 v8, v7, v18
	ds_bpermute_b32 v9, v7, v13
	;; [unrolled: 1-line block ×6, first 2 shown]
	v_lshlrev_b32_e32 v16, 2, v16
	s_waitcnt lgkmcnt(5)
	v_add_f32_e32 v8, v18, v8
	s_waitcnt lgkmcnt(4)
	v_add_f32_e32 v9, v13, v9
	;; [unrolled: 2-line block ×6, first 2 shown]
	ds_bpermute_b32 v13, v16, v8
	ds_bpermute_b32 v14, v16, v9
	;; [unrolled: 1-line block ×6, first 2 shown]
	v_xor_b32_e32 v19, 2, v6
	v_cmp_gt_i32_e32 vcc_lo, 32, v19
	v_cndmask_b32_e32 v19, v6, v19, vcc_lo
	s_waitcnt lgkmcnt(5)
	v_add_f32_e32 v8, v8, v13
	v_lshlrev_b32_e32 v19, 2, v19
	s_waitcnt lgkmcnt(4)
	v_add_f32_e32 v9, v9, v14
	s_waitcnt lgkmcnt(3)
	v_add_f32_e32 v10, v10, v15
	;; [unrolled: 2-line block ×5, first 2 shown]
	ds_bpermute_b32 v7, v19, v8
	ds_bpermute_b32 v11, v19, v9
	ds_bpermute_b32 v12, v19, v10
	ds_bpermute_b32 v16, v19, v13
	ds_bpermute_b32 v17, v19, v14
	ds_bpermute_b32 v18, v19, v15
	v_xor_b32_e32 v19, 1, v6
	v_cmp_gt_i32_e32 vcc_lo, 32, v19
	v_cndmask_b32_e32 v6, v6, v19, vcc_lo
	v_cmp_eq_u32_e32 vcc_lo, 15, v0
	v_lshlrev_b32_e32 v19, 2, v6
	s_waitcnt lgkmcnt(5)
	v_add_f32_e32 v6, v8, v7
	s_waitcnt lgkmcnt(4)
	v_add_f32_e32 v9, v9, v11
	;; [unrolled: 2-line block ×6, first 2 shown]
	ds_bpermute_b32 v10, v19, v6
	ds_bpermute_b32 v15, v19, v9
	;; [unrolled: 1-line block ×6, first 2 shown]
	s_and_b32 exec_lo, exec_lo, vcc_lo
	s_cbranch_execz .LBB96_21
; %bb.17:
	s_load_dwordx2 s[2:3], s[4:5], 0x38
	v_cmp_eq_f32_e32 vcc_lo, 0, v3
	v_cmp_eq_f32_e64 s0, 0, v4
	s_waitcnt lgkmcnt(0)
	v_add_f32_e32 v0, v6, v10
	v_add_f32_e32 v10, v9, v15
	;; [unrolled: 1-line block ×6, first 2 shown]
	s_and_b32 s0, vcc_lo, s0
	s_and_saveexec_b32 s1, s0
	s_xor_b32 s0, exec_lo, s1
	s_cbranch_execz .LBB96_19
; %bb.18:
	v_lshl_add_u32 v3, v5, 1, v5
	v_mul_f32_e64 v11, v10, -v2
	v_mul_f32_e32 v12, v1, v10
	v_mul_f32_e64 v13, v9, -v2
	v_mul_f32_e32 v14, v1, v9
	v_ashrrev_i32_e32 v4, 31, v3
	v_mul_f32_e64 v9, v8, -v2
	v_mul_f32_e32 v10, v1, v8
	v_fmac_f32_e32 v11, v1, v0
	v_fmac_f32_e32 v12, v2, v0
	v_lshlrev_b64 v[3:4], 3, v[3:4]
	v_fmac_f32_e32 v13, v1, v6
	v_fmac_f32_e32 v14, v2, v6
	;; [unrolled: 1-line block ×4, first 2 shown]
                                        ; implicit-def: $vgpr5
                                        ; implicit-def: $vgpr0
                                        ; implicit-def: $vgpr6
                                        ; implicit-def: $vgpr7
                                        ; implicit-def: $vgpr8
                                        ; implicit-def: $vgpr1_vgpr2
	v_add_co_u32 v3, vcc_lo, s2, v3
	v_add_co_ci_u32_e64 v4, null, s3, v4, vcc_lo
	global_store_dwordx4 v[3:4], v[11:14], off
	global_store_dwordx2 v[3:4], v[9:10], off offset:16
                                        ; implicit-def: $vgpr10
                                        ; implicit-def: $vgpr9
                                        ; implicit-def: $vgpr3_vgpr4
.LBB96_19:
	s_andn2_saveexec_b32 s0, s0
	s_cbranch_execz .LBB96_21
; %bb.20:
	v_lshl_add_u32 v11, v5, 1, v5
	v_mul_f32_e64 v15, v10, -v2
	v_mul_f32_e32 v16, v1, v10
	v_mul_f32_e64 v10, v9, -v2
	v_mul_f32_e32 v18, v1, v9
	v_ashrrev_i32_e32 v12, 31, v11
	v_mul_f32_e64 v9, v8, -v2
	v_mul_f32_e32 v5, v1, v8
	v_fmac_f32_e32 v15, v1, v0
	v_fmac_f32_e32 v16, v2, v0
	v_lshlrev_b64 v[11:12], 3, v[11:12]
	v_fmac_f32_e32 v10, v1, v6
	v_fmac_f32_e32 v18, v2, v6
	;; [unrolled: 1-line block ×4, first 2 shown]
	v_add_co_u32 v19, vcc_lo, s2, v11
	v_add_co_ci_u32_e64 v20, null, s3, v12, vcc_lo
	s_clause 0x1
	global_load_dwordx4 v[11:14], v[19:20], off
	global_load_dwordx2 v[21:22], v[19:20], off offset:16
	s_waitcnt vmcnt(1)
	v_fmac_f32_e32 v15, v3, v11
	v_fmac_f32_e32 v16, v4, v11
	;; [unrolled: 1-line block ×4, first 2 shown]
	s_waitcnt vmcnt(0)
	v_fmac_f32_e32 v9, v3, v21
	v_fmac_f32_e32 v5, v4, v21
	v_fma_f32 v15, -v4, v12, v15
	v_fmac_f32_e32 v16, v3, v12
	v_fma_f32 v17, -v4, v14, v10
	;; [unrolled: 2-line block ×3, first 2 shown]
	v_fmac_f32_e32 v5, v3, v22
	global_store_dwordx4 v[19:20], v[15:18], off
	global_store_dwordx2 v[19:20], v[4:5], off offset:16
.LBB96_21:
	s_endpgm
	.section	.rodata,"a",@progbits
	.p2align	6, 0x0
	.amdhsa_kernel _ZN9rocsparseL19gebsrmvn_3xn_kernelILj128ELj6ELj16E21rocsparse_complex_numIfEEEvi20rocsparse_direction_NS_24const_host_device_scalarIT2_EEPKiS8_PKS5_SA_S6_PS5_21rocsparse_index_base_b
		.amdhsa_group_segment_fixed_size 0
		.amdhsa_private_segment_fixed_size 0
		.amdhsa_kernarg_size 72
		.amdhsa_user_sgpr_count 6
		.amdhsa_user_sgpr_private_segment_buffer 1
		.amdhsa_user_sgpr_dispatch_ptr 0
		.amdhsa_user_sgpr_queue_ptr 0
		.amdhsa_user_sgpr_kernarg_segment_ptr 1
		.amdhsa_user_sgpr_dispatch_id 0
		.amdhsa_user_sgpr_flat_scratch_init 0
		.amdhsa_user_sgpr_private_segment_size 0
		.amdhsa_wavefront_size32 1
		.amdhsa_uses_dynamic_stack 0
		.amdhsa_system_sgpr_private_segment_wavefront_offset 0
		.amdhsa_system_sgpr_workgroup_id_x 1
		.amdhsa_system_sgpr_workgroup_id_y 0
		.amdhsa_system_sgpr_workgroup_id_z 0
		.amdhsa_system_sgpr_workgroup_info 0
		.amdhsa_system_vgpr_workitem_id 0
		.amdhsa_next_free_vgpr 67
		.amdhsa_next_free_sgpr 16
		.amdhsa_reserve_vcc 1
		.amdhsa_reserve_flat_scratch 0
		.amdhsa_float_round_mode_32 0
		.amdhsa_float_round_mode_16_64 0
		.amdhsa_float_denorm_mode_32 3
		.amdhsa_float_denorm_mode_16_64 3
		.amdhsa_dx10_clamp 1
		.amdhsa_ieee_mode 1
		.amdhsa_fp16_overflow 0
		.amdhsa_workgroup_processor_mode 1
		.amdhsa_memory_ordered 1
		.amdhsa_forward_progress 1
		.amdhsa_shared_vgpr_count 0
		.amdhsa_exception_fp_ieee_invalid_op 0
		.amdhsa_exception_fp_denorm_src 0
		.amdhsa_exception_fp_ieee_div_zero 0
		.amdhsa_exception_fp_ieee_overflow 0
		.amdhsa_exception_fp_ieee_underflow 0
		.amdhsa_exception_fp_ieee_inexact 0
		.amdhsa_exception_int_div_zero 0
	.end_amdhsa_kernel
	.section	.text._ZN9rocsparseL19gebsrmvn_3xn_kernelILj128ELj6ELj16E21rocsparse_complex_numIfEEEvi20rocsparse_direction_NS_24const_host_device_scalarIT2_EEPKiS8_PKS5_SA_S6_PS5_21rocsparse_index_base_b,"axG",@progbits,_ZN9rocsparseL19gebsrmvn_3xn_kernelILj128ELj6ELj16E21rocsparse_complex_numIfEEEvi20rocsparse_direction_NS_24const_host_device_scalarIT2_EEPKiS8_PKS5_SA_S6_PS5_21rocsparse_index_base_b,comdat
.Lfunc_end96:
	.size	_ZN9rocsparseL19gebsrmvn_3xn_kernelILj128ELj6ELj16E21rocsparse_complex_numIfEEEvi20rocsparse_direction_NS_24const_host_device_scalarIT2_EEPKiS8_PKS5_SA_S6_PS5_21rocsparse_index_base_b, .Lfunc_end96-_ZN9rocsparseL19gebsrmvn_3xn_kernelILj128ELj6ELj16E21rocsparse_complex_numIfEEEvi20rocsparse_direction_NS_24const_host_device_scalarIT2_EEPKiS8_PKS5_SA_S6_PS5_21rocsparse_index_base_b
                                        ; -- End function
	.set _ZN9rocsparseL19gebsrmvn_3xn_kernelILj128ELj6ELj16E21rocsparse_complex_numIfEEEvi20rocsparse_direction_NS_24const_host_device_scalarIT2_EEPKiS8_PKS5_SA_S6_PS5_21rocsparse_index_base_b.num_vgpr, 67
	.set _ZN9rocsparseL19gebsrmvn_3xn_kernelILj128ELj6ELj16E21rocsparse_complex_numIfEEEvi20rocsparse_direction_NS_24const_host_device_scalarIT2_EEPKiS8_PKS5_SA_S6_PS5_21rocsparse_index_base_b.num_agpr, 0
	.set _ZN9rocsparseL19gebsrmvn_3xn_kernelILj128ELj6ELj16E21rocsparse_complex_numIfEEEvi20rocsparse_direction_NS_24const_host_device_scalarIT2_EEPKiS8_PKS5_SA_S6_PS5_21rocsparse_index_base_b.numbered_sgpr, 16
	.set _ZN9rocsparseL19gebsrmvn_3xn_kernelILj128ELj6ELj16E21rocsparse_complex_numIfEEEvi20rocsparse_direction_NS_24const_host_device_scalarIT2_EEPKiS8_PKS5_SA_S6_PS5_21rocsparse_index_base_b.num_named_barrier, 0
	.set _ZN9rocsparseL19gebsrmvn_3xn_kernelILj128ELj6ELj16E21rocsparse_complex_numIfEEEvi20rocsparse_direction_NS_24const_host_device_scalarIT2_EEPKiS8_PKS5_SA_S6_PS5_21rocsparse_index_base_b.private_seg_size, 0
	.set _ZN9rocsparseL19gebsrmvn_3xn_kernelILj128ELj6ELj16E21rocsparse_complex_numIfEEEvi20rocsparse_direction_NS_24const_host_device_scalarIT2_EEPKiS8_PKS5_SA_S6_PS5_21rocsparse_index_base_b.uses_vcc, 1
	.set _ZN9rocsparseL19gebsrmvn_3xn_kernelILj128ELj6ELj16E21rocsparse_complex_numIfEEEvi20rocsparse_direction_NS_24const_host_device_scalarIT2_EEPKiS8_PKS5_SA_S6_PS5_21rocsparse_index_base_b.uses_flat_scratch, 0
	.set _ZN9rocsparseL19gebsrmvn_3xn_kernelILj128ELj6ELj16E21rocsparse_complex_numIfEEEvi20rocsparse_direction_NS_24const_host_device_scalarIT2_EEPKiS8_PKS5_SA_S6_PS5_21rocsparse_index_base_b.has_dyn_sized_stack, 0
	.set _ZN9rocsparseL19gebsrmvn_3xn_kernelILj128ELj6ELj16E21rocsparse_complex_numIfEEEvi20rocsparse_direction_NS_24const_host_device_scalarIT2_EEPKiS8_PKS5_SA_S6_PS5_21rocsparse_index_base_b.has_recursion, 0
	.set _ZN9rocsparseL19gebsrmvn_3xn_kernelILj128ELj6ELj16E21rocsparse_complex_numIfEEEvi20rocsparse_direction_NS_24const_host_device_scalarIT2_EEPKiS8_PKS5_SA_S6_PS5_21rocsparse_index_base_b.has_indirect_call, 0
	.section	.AMDGPU.csdata,"",@progbits
; Kernel info:
; codeLenInByte = 3720
; TotalNumSgprs: 18
; NumVgprs: 67
; ScratchSize: 0
; MemoryBound: 0
; FloatMode: 240
; IeeeMode: 1
; LDSByteSize: 0 bytes/workgroup (compile time only)
; SGPRBlocks: 0
; VGPRBlocks: 8
; NumSGPRsForWavesPerEU: 18
; NumVGPRsForWavesPerEU: 67
; Occupancy: 12
; WaveLimiterHint : 1
; COMPUTE_PGM_RSRC2:SCRATCH_EN: 0
; COMPUTE_PGM_RSRC2:USER_SGPR: 6
; COMPUTE_PGM_RSRC2:TRAP_HANDLER: 0
; COMPUTE_PGM_RSRC2:TGID_X_EN: 1
; COMPUTE_PGM_RSRC2:TGID_Y_EN: 0
; COMPUTE_PGM_RSRC2:TGID_Z_EN: 0
; COMPUTE_PGM_RSRC2:TIDIG_COMP_CNT: 0
	.section	.text._ZN9rocsparseL19gebsrmvn_3xn_kernelILj128ELj6ELj32E21rocsparse_complex_numIfEEEvi20rocsparse_direction_NS_24const_host_device_scalarIT2_EEPKiS8_PKS5_SA_S6_PS5_21rocsparse_index_base_b,"axG",@progbits,_ZN9rocsparseL19gebsrmvn_3xn_kernelILj128ELj6ELj32E21rocsparse_complex_numIfEEEvi20rocsparse_direction_NS_24const_host_device_scalarIT2_EEPKiS8_PKS5_SA_S6_PS5_21rocsparse_index_base_b,comdat
	.globl	_ZN9rocsparseL19gebsrmvn_3xn_kernelILj128ELj6ELj32E21rocsparse_complex_numIfEEEvi20rocsparse_direction_NS_24const_host_device_scalarIT2_EEPKiS8_PKS5_SA_S6_PS5_21rocsparse_index_base_b ; -- Begin function _ZN9rocsparseL19gebsrmvn_3xn_kernelILj128ELj6ELj32E21rocsparse_complex_numIfEEEvi20rocsparse_direction_NS_24const_host_device_scalarIT2_EEPKiS8_PKS5_SA_S6_PS5_21rocsparse_index_base_b
	.p2align	8
	.type	_ZN9rocsparseL19gebsrmvn_3xn_kernelILj128ELj6ELj32E21rocsparse_complex_numIfEEEvi20rocsparse_direction_NS_24const_host_device_scalarIT2_EEPKiS8_PKS5_SA_S6_PS5_21rocsparse_index_base_b,@function
_ZN9rocsparseL19gebsrmvn_3xn_kernelILj128ELj6ELj32E21rocsparse_complex_numIfEEEvi20rocsparse_direction_NS_24const_host_device_scalarIT2_EEPKiS8_PKS5_SA_S6_PS5_21rocsparse_index_base_b: ; @_ZN9rocsparseL19gebsrmvn_3xn_kernelILj128ELj6ELj32E21rocsparse_complex_numIfEEEvi20rocsparse_direction_NS_24const_host_device_scalarIT2_EEPKiS8_PKS5_SA_S6_PS5_21rocsparse_index_base_b
; %bb.0:
	s_clause 0x2
	s_load_dwordx2 s[2:3], s[4:5], 0x40
	s_load_dwordx2 s[0:1], s[4:5], 0x8
	;; [unrolled: 1-line block ×3, first 2 shown]
	s_add_u32 s7, s4, 8
	s_addc_u32 s10, s5, 0
	s_add_u32 s11, s4, 48
	s_addc_u32 s12, s5, 0
	s_waitcnt lgkmcnt(0)
	s_bitcmp1_b32 s3, 0
	s_cselect_b32 s0, s7, s0
	s_cselect_b32 s1, s10, s1
	v_mov_b32_e32 v1, s0
	v_mov_b32_e32 v2, s1
	s_cselect_b32 s0, s11, s8
	s_cselect_b32 s1, s12, s9
	v_mov_b32_e32 v3, s0
	v_mov_b32_e32 v4, s1
	flat_load_dwordx2 v[1:2], v[1:2]
	flat_load_dwordx2 v[3:4], v[3:4]
	s_waitcnt vmcnt(1) lgkmcnt(1)
	v_cmp_eq_f32_e32 vcc_lo, 0, v1
	v_cmp_eq_f32_e64 s0, 0, v2
	s_and_b32 s3, vcc_lo, s0
	s_mov_b32 s0, -1
	s_and_saveexec_b32 s1, s3
	s_cbranch_execz .LBB97_2
; %bb.1:
	s_waitcnt vmcnt(0) lgkmcnt(0)
	v_cmp_neq_f32_e32 vcc_lo, 1.0, v3
	v_cmp_neq_f32_e64 s0, 0, v4
	s_or_b32 s0, vcc_lo, s0
	s_orn2_b32 s0, s0, exec_lo
.LBB97_2:
	s_or_b32 exec_lo, exec_lo, s1
	s_and_saveexec_b32 s1, s0
	s_cbranch_execz .LBB97_21
; %bb.3:
	s_load_dwordx2 s[0:1], s[4:5], 0x0
	v_lshrrev_b32_e32 v5, 5, v0
	v_lshl_or_b32 v5, s6, 2, v5
	s_waitcnt lgkmcnt(0)
	v_cmp_gt_i32_e32 vcc_lo, s0, v5
	s_and_b32 exec_lo, exec_lo, vcc_lo
	s_cbranch_execz .LBB97_21
; %bb.4:
	s_load_dwordx8 s[8:15], s[4:5], 0x10
	v_ashrrev_i32_e32 v6, 31, v5
	v_and_b32_e32 v0, 31, v0
	s_cmp_lg_u32 s1, 0
	v_lshlrev_b64 v[6:7], 2, v[5:6]
	s_waitcnt lgkmcnt(0)
	v_add_co_u32 v6, vcc_lo, s8, v6
	v_add_co_ci_u32_e64 v7, null, s9, v7, vcc_lo
	global_load_dwordx2 v[6:7], v[6:7], off
	s_waitcnt vmcnt(0)
	v_subrev_nc_u32_e32 v6, s2, v6
	v_subrev_nc_u32_e32 v16, s2, v7
	v_add_nc_u32_e32 v6, v6, v0
	v_cmp_lt_i32_e64 s0, v6, v16
	s_cbranch_scc0 .LBB97_10
; %bb.5:
	v_mov_b32_e32 v13, 0
	v_mov_b32_e32 v18, 0
	;; [unrolled: 1-line block ×6, first 2 shown]
	s_and_saveexec_b32 s1, s0
	s_cbranch_execz .LBB97_9
; %bb.6:
	v_mad_u64_u32 v[7:8], null, v6, 18, 17
	v_mov_b32_e32 v10, 0
	v_mov_b32_e32 v11, v6
	;; [unrolled: 1-line block ×8, first 2 shown]
	s_mov_b32 s3, 0
.LBB97_7:                               ; =>This Inner Loop Header: Depth=1
	v_ashrrev_i32_e32 v12, 31, v11
	v_subrev_nc_u32_e32 v9, 17, v7
	v_mov_b32_e32 v8, v10
	v_mov_b32_e32 v33, v10
	v_lshlrev_b64 v[22:23], 2, v[11:12]
	v_lshlrev_b64 v[20:21], 3, v[9:10]
	v_add_nc_u32_e32 v9, -15, v7
	v_lshlrev_b64 v[24:25], 3, v[7:8]
	v_add_nc_u32_e32 v11, 32, v11
	v_add_co_u32 v22, vcc_lo, s10, v22
	v_add_co_ci_u32_e64 v23, null, s11, v23, vcc_lo
	v_lshlrev_b64 v[26:27], 3, v[9:10]
	v_add_nc_u32_e32 v9, -14, v7
	v_add_co_u32 v20, vcc_lo, s12, v20
	global_load_dword v12, v[22:23], off
	v_add_co_ci_u32_e64 v21, null, s13, v21, vcc_lo
	v_add_co_u32 v24, vcc_lo, s12, v24
	v_lshlrev_b64 v[28:29], 3, v[9:10]
	v_add_nc_u32_e32 v9, -13, v7
	v_add_co_ci_u32_e64 v25, null, s13, v25, vcc_lo
	s_clause 0x1
	global_load_dwordx4 v[20:23], v[20:21], off
	global_load_dwordx2 v[36:37], v[24:25], off
	v_lshlrev_b64 v[24:25], 3, v[9:10]
	v_add_co_u32 v26, vcc_lo, s12, v26
	v_add_co_ci_u32_e64 v27, null, s13, v27, vcc_lo
	v_add_co_u32 v28, vcc_lo, s12, v28
	v_add_co_ci_u32_e64 v29, null, s13, v29, vcc_lo
	v_add_co_u32 v24, vcc_lo, s12, v24
	v_add_nc_u32_e32 v9, -12, v7
	v_add_co_ci_u32_e64 v25, null, s13, v25, vcc_lo
	s_clause 0x2
	global_load_dwordx2 v[38:39], v[26:27], off
	global_load_dwordx2 v[40:41], v[28:29], off
	;; [unrolled: 1-line block ×3, first 2 shown]
	v_lshlrev_b64 v[26:27], 3, v[9:10]
	v_add_nc_u32_e32 v9, -11, v7
	v_lshlrev_b64 v[8:9], 3, v[9:10]
	v_add_co_u32 v26, vcc_lo, s12, v26
	v_add_co_ci_u32_e64 v27, null, s13, v27, vcc_lo
	v_add_co_u32 v8, vcc_lo, s12, v8
	v_add_co_ci_u32_e64 v9, null, s13, v9, vcc_lo
	s_clause 0x1
	global_load_dwordx2 v[44:45], v[26:27], off
	global_load_dwordx2 v[46:47], v[8:9], off
	s_waitcnt vmcnt(7)
	v_subrev_nc_u32_e32 v8, s2, v12
	v_mul_lo_u32 v32, v8, 6
	v_lshlrev_b64 v[24:25], 3, v[32:33]
	v_add_nc_u32_e32 v9, 2, v32
	v_lshlrev_b64 v[28:29], 3, v[9:10]
	v_add_co_u32 v24, vcc_lo, s14, v24
	v_add_co_ci_u32_e64 v25, null, s15, v25, vcc_lo
	v_add_nc_u32_e32 v9, -10, v7
	v_add_co_u32 v28, vcc_lo, s14, v28
	global_load_dwordx4 v[24:27], v[24:25], off
	v_add_co_ci_u32_e64 v29, null, s15, v29, vcc_lo
	v_lshlrev_b64 v[30:31], 3, v[9:10]
	v_add_nc_u32_e32 v9, -9, v7
	v_lshlrev_b64 v[33:34], 3, v[9:10]
	v_add_nc_u32_e32 v9, -8, v7
	v_add_co_u32 v48, vcc_lo, s12, v30
	v_add_co_ci_u32_e64 v49, null, s13, v31, vcc_lo
	v_lshlrev_b64 v[50:51], 3, v[9:10]
	v_add_nc_u32_e32 v9, -7, v7
	v_add_co_u32 v33, vcc_lo, s12, v33
	v_add_co_ci_u32_e64 v34, null, s13, v34, vcc_lo
	v_add_co_u32 v50, vcc_lo, s12, v50
	v_lshlrev_b64 v[52:53], 3, v[9:10]
	v_add_nc_u32_e32 v9, -6, v7
	v_add_co_ci_u32_e64 v51, null, s13, v51, vcc_lo
	global_load_dwordx2 v[54:55], v[33:34], off
	global_load_dwordx4 v[28:31], v[28:29], off
	v_add_co_u32 v52, vcc_lo, s12, v52
	global_load_dwordx2 v[50:51], v[50:51], off
	v_lshlrev_b64 v[33:34], 3, v[9:10]
	v_add_nc_u32_e32 v9, -5, v7
	v_add_co_ci_u32_e64 v53, null, s13, v53, vcc_lo
	global_load_dwordx2 v[48:49], v[48:49], off
	v_lshlrev_b64 v[56:57], 3, v[9:10]
	v_add_nc_u32_e32 v9, 4, v32
	v_add_co_u32 v32, vcc_lo, s12, v33
	v_add_co_ci_u32_e64 v33, null, s13, v34, vcc_lo
	v_add_co_u32 v56, vcc_lo, s12, v56
	v_lshlrev_b64 v[34:35], 3, v[9:10]
	v_add_nc_u32_e32 v9, -4, v7
	v_add_co_ci_u32_e64 v57, null, s13, v57, vcc_lo
	global_load_dwordx2 v[52:53], v[52:53], off
	v_add_co_u32 v34, vcc_lo, s14, v34
	s_clause 0x1
	global_load_dwordx2 v[56:57], v[56:57], off
	global_load_dwordx2 v[58:59], v[32:33], off
	v_lshlrev_b64 v[32:33], 3, v[9:10]
	v_add_nc_u32_e32 v9, -3, v7
	v_add_co_ci_u32_e64 v35, null, s15, v35, vcc_lo
	v_lshlrev_b64 v[60:61], 3, v[9:10]
	v_add_nc_u32_e32 v9, -2, v7
	v_add_co_u32 v62, vcc_lo, s12, v32
	v_add_co_ci_u32_e64 v63, null, s13, v33, vcc_lo
	v_add_co_u32 v60, vcc_lo, s12, v60
	v_lshlrev_b64 v[64:65], 3, v[9:10]
	v_add_nc_u32_e32 v9, -1, v7
	v_add_co_ci_u32_e64 v61, null, s13, v61, vcc_lo
	global_load_dwordx4 v[32:35], v[34:35], off
	global_load_dwordx2 v[62:63], v[62:63], off
	v_lshlrev_b64 v[8:9], 3, v[9:10]
	v_add_nc_u32_e32 v7, 0x240, v7
	s_waitcnt vmcnt(9)
	v_fmac_f32_e32 v18, v20, v24
	v_fmac_f32_e32 v13, v21, v24
	;; [unrolled: 1-line block ×5, first 2 shown]
	v_fma_f32 v12, -v21, v25, v18
	v_fmac_f32_e32 v13, v20, v25
	global_load_dwordx2 v[20:21], v[60:61], off
	v_add_co_u32 v18, vcc_lo, s12, v64
	v_fma_f32 v66, -v23, v25, v19
	v_add_co_ci_u32_e64 v19, null, s13, v65, vcc_lo
	v_add_co_u32 v8, vcc_lo, s12, v8
	v_add_co_ci_u32_e64 v9, null, s13, v9, vcc_lo
	v_fmac_f32_e32 v15, v22, v25
	s_clause 0x1
	global_load_dwordx2 v[22:23], v[18:19], off
	global_load_dwordx2 v[8:9], v[8:9], off
	v_fmac_f32_e32 v14, v39, v24
	v_fma_f32 v17, -v39, v25, v17
	v_fmac_f32_e32 v12, v40, v26
	v_fmac_f32_e32 v13, v41, v26
	;; [unrolled: 1-line block ×6, first 2 shown]
	v_fma_f32 v12, -v41, v27, v12
	v_fmac_f32_e32 v13, v40, v27
	v_fmac_f32_e32 v14, v45, v26
	v_fma_f32 v18, -v43, v27, v66
	v_fmac_f32_e32 v15, v42, v27
	v_fma_f32 v17, -v45, v27, v17
	s_waitcnt vmcnt(10)
	v_fmac_f32_e32 v12, v46, v28
	v_fmac_f32_e32 v14, v44, v27
	;; [unrolled: 1-line block ×3, first 2 shown]
	s_waitcnt vmcnt(8)
	v_fmac_f32_e32 v18, v48, v28
	v_fmac_f32_e32 v15, v49, v28
	v_fmac_f32_e32 v17, v54, v28
	v_fmac_f32_e32 v14, v55, v28
	v_fma_f32 v12, -v47, v29, v12
	v_fmac_f32_e32 v13, v46, v29
	v_fma_f32 v18, -v49, v29, v18
	v_fmac_f32_e32 v15, v48, v29
	;; [unrolled: 2-line block ×3, first 2 shown]
	v_fmac_f32_e32 v12, v50, v30
	v_fmac_f32_e32 v13, v51, v30
	v_cmp_ge_i32_e32 vcc_lo, v11, v16
	s_waitcnt vmcnt(7)
	v_fmac_f32_e32 v18, v52, v30
	v_fmac_f32_e32 v15, v53, v30
	v_fma_f32 v12, -v51, v31, v12
	v_fmac_f32_e32 v13, v50, v31
	s_or_b32 s3, vcc_lo, s3
	s_waitcnt vmcnt(5)
	v_fmac_f32_e32 v17, v58, v30
	v_fmac_f32_e32 v14, v59, v30
	v_fma_f32 v18, -v53, v31, v18
	v_fmac_f32_e32 v15, v52, v31
	v_fma_f32 v17, -v59, v31, v17
	v_fmac_f32_e32 v14, v58, v31
	s_waitcnt vmcnt(4)
	v_fmac_f32_e32 v12, v56, v32
	v_fmac_f32_e32 v13, v57, v32
	s_waitcnt vmcnt(3)
	v_fmac_f32_e32 v18, v62, v32
	v_fmac_f32_e32 v15, v63, v32
	v_fma_f32 v12, -v57, v33, v12
	v_fmac_f32_e32 v13, v56, v33
	v_fma_f32 v19, -v63, v33, v18
	v_fmac_f32_e32 v15, v62, v33
	s_waitcnt vmcnt(2)
	v_fmac_f32_e32 v17, v20, v32
	v_fmac_f32_e32 v14, v21, v32
	v_fma_f32 v17, -v21, v33, v17
	v_fmac_f32_e32 v14, v20, v33
	v_fmac_f32_e32 v17, v36, v34
	s_waitcnt vmcnt(1)
	v_fmac_f32_e32 v12, v22, v34
	v_fmac_f32_e32 v13, v23, v34
	s_waitcnt vmcnt(0)
	v_fmac_f32_e32 v19, v8, v34
	v_fmac_f32_e32 v15, v9, v34
	;; [unrolled: 1-line block ×3, first 2 shown]
	v_fma_f32 v18, -v23, v35, v12
	v_fmac_f32_e32 v13, v22, v35
	v_fma_f32 v19, -v9, v35, v19
	v_fmac_f32_e32 v15, v8, v35
	;; [unrolled: 2-line block ×3, first 2 shown]
	s_andn2_b32 exec_lo, exec_lo, s3
	s_cbranch_execnz .LBB97_7
; %bb.8:
	s_or_b32 exec_lo, exec_lo, s3
.LBB97_9:
	s_or_b32 exec_lo, exec_lo, s1
	s_cbranch_execz .LBB97_11
	s_branch .LBB97_16
.LBB97_10:
                                        ; implicit-def: $vgpr13
                                        ; implicit-def: $vgpr18
                                        ; implicit-def: $vgpr17
                                        ; implicit-def: $vgpr14
                                        ; implicit-def: $vgpr19
                                        ; implicit-def: $vgpr15
.LBB97_11:
	v_mov_b32_e32 v13, 0
	v_mov_b32_e32 v18, 0
	;; [unrolled: 1-line block ×6, first 2 shown]
	s_and_saveexec_b32 s1, s0
	s_cbranch_execz .LBB97_15
; %bb.12:
	v_mad_u64_u32 v[8:9], null, v6, 18, 17
	v_mov_b32_e32 v11, 0
	v_mov_b32_e32 v13, 0
	;; [unrolled: 1-line block ×7, first 2 shown]
	s_mov_b32 s0, 0
.LBB97_13:                              ; =>This Inner Loop Header: Depth=1
	v_ashrrev_i32_e32 v7, 31, v6
	v_subrev_nc_u32_e32 v10, 17, v8
	v_add_nc_u32_e32 v20, -11, v8
	v_mov_b32_e32 v21, v11
	v_add_nc_u32_e32 v22, -5, v8
	v_lshlrev_b64 v[26:27], 2, v[6:7]
	v_mov_b32_e32 v23, v11
	v_lshlrev_b64 v[24:25], 3, v[10:11]
	v_mov_b32_e32 v9, v11
	v_add_nc_u32_e32 v10, -10, v8
	v_lshlrev_b64 v[20:21], 3, v[20:21]
	v_add_co_u32 v26, vcc_lo, s10, v26
	v_add_co_ci_u32_e64 v27, null, s11, v27, vcc_lo
	v_lshlrev_b64 v[22:23], 3, v[22:23]
	v_lshlrev_b64 v[30:31], 3, v[8:9]
	v_add_co_u32 v24, vcc_lo, s12, v24
	global_load_dword v7, v[26:27], off
	v_lshlrev_b64 v[32:33], 3, v[10:11]
	v_add_nc_u32_e32 v10, -4, v8
	v_add_co_ci_u32_e64 v25, null, s13, v25, vcc_lo
	v_add_co_u32 v34, vcc_lo, s12, v20
	v_add_co_ci_u32_e64 v35, null, s13, v21, vcc_lo
	v_add_co_u32 v36, vcc_lo, s12, v22
	;; [unrolled: 2-line block ×3, first 2 shown]
	v_lshlrev_b64 v[26:27], 3, v[10:11]
	v_add_nc_u32_e32 v10, -15, v8
	v_add_co_ci_u32_e64 v31, null, s13, v31, vcc_lo
	global_load_dwordx4 v[20:23], v[24:25], off
	v_add_co_u32 v24, vcc_lo, s12, v32
	v_add_co_ci_u32_e64 v25, null, s13, v33, vcc_lo
	v_lshlrev_b64 v[9:10], 3, v[10:11]
	s_clause 0x2
	global_load_dwordx2 v[32:33], v[34:35], off
	global_load_dwordx2 v[36:37], v[36:37], off
	;; [unrolled: 1-line block ×3, first 2 shown]
	v_mov_b32_e32 v29, v11
	global_load_dwordx2 v[40:41], v[24:25], off
	v_add_co_u32 v24, vcc_lo, s12, v26
	v_add_co_ci_u32_e64 v25, null, s13, v27, vcc_lo
	v_add_co_u32 v9, vcc_lo, s12, v9
	v_add_co_ci_u32_e64 v10, null, s13, v10, vcc_lo
	s_clause 0x1
	global_load_dwordx2 v[42:43], v[24:25], off
	global_load_dwordx2 v[44:45], v[9:10], off
	v_add_nc_u32_e32 v6, 32, v6
	s_waitcnt vmcnt(7)
	v_subrev_nc_u32_e32 v7, s2, v7
	v_mul_lo_u32 v28, v7, 6
	v_lshlrev_b64 v[24:25], 3, v[28:29]
	v_add_nc_u32_e32 v10, 2, v28
	v_lshlrev_b64 v[29:30], 3, v[10:11]
	v_add_co_u32 v24, vcc_lo, s14, v24
	v_add_co_ci_u32_e64 v25, null, s15, v25, vcc_lo
	v_add_nc_u32_e32 v10, -9, v8
	v_add_co_u32 v29, vcc_lo, s14, v29
	global_load_dwordx4 v[24:27], v[24:25], off
	v_add_co_ci_u32_e64 v30, null, s15, v30, vcc_lo
	v_lshlrev_b64 v[34:35], 3, v[10:11]
	v_add_nc_u32_e32 v10, -3, v8
	v_lshlrev_b64 v[46:47], 3, v[10:11]
	v_add_nc_u32_e32 v10, -14, v8
	v_add_co_u32 v34, vcc_lo, s12, v34
	v_add_co_ci_u32_e64 v35, null, s13, v35, vcc_lo
	v_lshlrev_b64 v[48:49], 3, v[10:11]
	v_add_nc_u32_e32 v10, -8, v8
	v_add_co_u32 v46, vcc_lo, s12, v46
	v_add_co_ci_u32_e64 v47, null, s13, v47, vcc_lo
	;; [unrolled: 4-line block ×4, first 2 shown]
	v_lshlrev_b64 v[54:55], 3, v[10:11]
	v_add_nc_u32_e32 v10, 4, v28
	v_add_co_u32 v52, vcc_lo, s12, v52
	v_add_co_ci_u32_e64 v53, null, s13, v53, vcc_lo
	v_lshlrev_b64 v[56:57], 3, v[10:11]
	v_add_nc_u32_e32 v10, -7, v8
	v_add_co_u32 v54, vcc_lo, s12, v54
	v_add_co_ci_u32_e64 v55, null, s13, v55, vcc_lo
	v_lshlrev_b64 v[58:59], 3, v[10:11]
	v_add_nc_u32_e32 v10, -1, v8
	global_load_dwordx4 v[28:31], v[29:30], off
	s_clause 0x5
	global_load_dwordx2 v[64:65], v[34:35], off
	global_load_dwordx2 v[46:47], v[46:47], off
	;; [unrolled: 1-line block ×6, first 2 shown]
	v_add_co_u32 v56, vcc_lo, s14, v56
	v_add_co_ci_u32_e64 v57, null, s15, v57, vcc_lo
	v_lshlrev_b64 v[60:61], 3, v[10:11]
	v_add_nc_u32_e32 v10, -12, v8
	v_add_co_u32 v58, vcc_lo, s12, v58
	v_add_co_ci_u32_e64 v59, null, s13, v59, vcc_lo
	v_lshlrev_b64 v[62:63], 3, v[10:11]
	v_add_nc_u32_e32 v10, -6, v8
	v_add_co_u32 v60, vcc_lo, s12, v60
	v_add_co_ci_u32_e64 v61, null, s13, v61, vcc_lo
	v_lshlrev_b64 v[9:10], 3, v[10:11]
	v_add_co_u32 v62, vcc_lo, s12, v62
	v_add_co_ci_u32_e64 v63, null, s13, v63, vcc_lo
	v_add_nc_u32_e32 v8, 0x240, v8
	v_add_co_u32 v9, vcc_lo, s12, v9
	v_add_co_ci_u32_e64 v10, null, s13, v10, vcc_lo
	v_cmp_ge_i32_e32 vcc_lo, v6, v16
	s_or_b32 s0, vcc_lo, s0
	s_waitcnt vmcnt(7)
	v_fmac_f32_e32 v19, v32, v24
	v_fmac_f32_e32 v15, v33, v24
	;; [unrolled: 1-line block ×5, first 2 shown]
	v_fma_f32 v7, -v33, v25, v19
	v_fmac_f32_e32 v15, v32, v25
	global_load_dwordx4 v[32:35], v[56:57], off
	s_clause 0x3
	global_load_dwordx2 v[56:57], v[58:59], off
	global_load_dwordx2 v[58:59], v[60:61], off
	;; [unrolled: 1-line block ×4, first 2 shown]
	v_fmac_f32_e32 v14, v37, v24
	v_fma_f32 v12, -v21, v25, v18
	v_fmac_f32_e32 v13, v20, v25
	v_fma_f32 v17, -v37, v25, v17
	v_fmac_f32_e32 v7, v40, v26
	v_fmac_f32_e32 v14, v36, v25
	;; [unrolled: 1-line block ×7, first 2 shown]
	v_fma_f32 v12, -v23, v27, v12
	v_fmac_f32_e32 v13, v22, v27
	v_fma_f32 v7, -v41, v27, v7
	v_fmac_f32_e32 v15, v40, v27
	v_fma_f32 v17, -v43, v27, v17
	v_fmac_f32_e32 v14, v42, v27
	s_waitcnt vmcnt(11)
	v_fmac_f32_e32 v12, v44, v28
	v_fmac_f32_e32 v13, v45, v28
	s_waitcnt vmcnt(10)
	v_fmac_f32_e32 v7, v64, v28
	v_fmac_f32_e32 v15, v65, v28
	s_waitcnt vmcnt(9)
	v_fmac_f32_e32 v17, v46, v28
	v_fmac_f32_e32 v14, v47, v28
	v_fma_f32 v12, -v45, v29, v12
	v_fmac_f32_e32 v13, v44, v29
	v_fma_f32 v7, -v65, v29, v7
	v_fmac_f32_e32 v15, v64, v29
	v_fma_f32 v17, -v47, v29, v17
	v_fmac_f32_e32 v14, v46, v29
	s_waitcnt vmcnt(8)
	v_fmac_f32_e32 v12, v48, v30
	v_fmac_f32_e32 v13, v49, v30
	s_waitcnt vmcnt(7)
	v_fmac_f32_e32 v7, v50, v30
	v_fmac_f32_e32 v15, v51, v30
	s_waitcnt vmcnt(6)
	v_fmac_f32_e32 v17, v52, v30
	v_fmac_f32_e32 v14, v53, v30
	;; [unrolled: 15-line block ×3, first 2 shown]
	v_fma_f32 v12, -v55, v33, v12
	v_fmac_f32_e32 v13, v54, v33
	v_fma_f32 v7, -v57, v33, v7
	v_fmac_f32_e32 v15, v56, v33
	;; [unrolled: 2-line block ×3, first 2 shown]
	s_waitcnt vmcnt(1)
	v_fmac_f32_e32 v12, v60, v34
	v_fmac_f32_e32 v13, v61, v34
	s_waitcnt vmcnt(0)
	v_fmac_f32_e32 v7, v9, v34
	v_fmac_f32_e32 v15, v10, v34
	;; [unrolled: 1-line block ×4, first 2 shown]
	v_fma_f32 v18, -v61, v35, v12
	v_fmac_f32_e32 v13, v60, v35
	v_fma_f32 v19, -v10, v35, v7
	v_fmac_f32_e32 v15, v9, v35
	;; [unrolled: 2-line block ×3, first 2 shown]
	s_andn2_b32 exec_lo, exec_lo, s0
	s_cbranch_execnz .LBB97_13
; %bb.14:
	s_or_b32 exec_lo, exec_lo, s0
.LBB97_15:
	s_or_b32 exec_lo, exec_lo, s1
.LBB97_16:
	v_mbcnt_lo_u32_b32 v6, -1, 0
	v_xor_b32_e32 v7, 16, v6
	v_xor_b32_e32 v16, 8, v6
	v_cmp_gt_i32_e32 vcc_lo, 32, v7
	v_cndmask_b32_e32 v7, v6, v7, vcc_lo
	v_cmp_gt_i32_e32 vcc_lo, 32, v16
	v_lshlrev_b32_e32 v7, 2, v7
	v_cndmask_b32_e32 v16, v6, v16, vcc_lo
	ds_bpermute_b32 v8, v7, v18
	ds_bpermute_b32 v9, v7, v13
	;; [unrolled: 1-line block ×6, first 2 shown]
	v_lshlrev_b32_e32 v16, 2, v16
	s_waitcnt lgkmcnt(5)
	v_add_f32_e32 v8, v18, v8
	s_waitcnt lgkmcnt(4)
	v_add_f32_e32 v9, v13, v9
	;; [unrolled: 2-line block ×6, first 2 shown]
	ds_bpermute_b32 v13, v16, v8
	ds_bpermute_b32 v14, v16, v9
	;; [unrolled: 1-line block ×6, first 2 shown]
	v_xor_b32_e32 v19, 4, v6
	v_cmp_gt_i32_e32 vcc_lo, 32, v19
	v_cndmask_b32_e32 v19, v6, v19, vcc_lo
	s_waitcnt lgkmcnt(5)
	v_add_f32_e32 v8, v8, v13
	v_lshlrev_b32_e32 v19, 2, v19
	s_waitcnt lgkmcnt(4)
	v_add_f32_e32 v9, v9, v14
	s_waitcnt lgkmcnt(3)
	v_add_f32_e32 v10, v10, v15
	;; [unrolled: 2-line block ×5, first 2 shown]
	ds_bpermute_b32 v13, v19, v8
	ds_bpermute_b32 v14, v19, v9
	ds_bpermute_b32 v15, v19, v10
	ds_bpermute_b32 v16, v19, v11
	ds_bpermute_b32 v17, v19, v12
	ds_bpermute_b32 v18, v19, v7
	v_xor_b32_e32 v19, 2, v6
	v_cmp_gt_i32_e32 vcc_lo, 32, v19
	v_cndmask_b32_e32 v19, v6, v19, vcc_lo
	s_waitcnt lgkmcnt(5)
	v_add_f32_e32 v8, v8, v13
	v_lshlrev_b32_e32 v19, 2, v19
	s_waitcnt lgkmcnt(4)
	v_add_f32_e32 v9, v9, v14
	s_waitcnt lgkmcnt(3)
	v_add_f32_e32 v10, v10, v15
	;; [unrolled: 2-line block ×5, first 2 shown]
	ds_bpermute_b32 v7, v19, v8
	ds_bpermute_b32 v11, v19, v9
	;; [unrolled: 1-line block ×6, first 2 shown]
	v_xor_b32_e32 v19, 1, v6
	v_cmp_gt_i32_e32 vcc_lo, 32, v19
	v_cndmask_b32_e32 v6, v6, v19, vcc_lo
	v_cmp_eq_u32_e32 vcc_lo, 31, v0
	v_lshlrev_b32_e32 v19, 2, v6
	s_waitcnt lgkmcnt(5)
	v_add_f32_e32 v6, v8, v7
	s_waitcnt lgkmcnt(4)
	v_add_f32_e32 v9, v9, v11
	;; [unrolled: 2-line block ×6, first 2 shown]
	ds_bpermute_b32 v10, v19, v6
	ds_bpermute_b32 v15, v19, v9
	;; [unrolled: 1-line block ×6, first 2 shown]
	s_and_b32 exec_lo, exec_lo, vcc_lo
	s_cbranch_execz .LBB97_21
; %bb.17:
	s_load_dwordx2 s[2:3], s[4:5], 0x38
	v_cmp_eq_f32_e32 vcc_lo, 0, v3
	v_cmp_eq_f32_e64 s0, 0, v4
	s_waitcnt lgkmcnt(0)
	v_add_f32_e32 v0, v6, v10
	v_add_f32_e32 v10, v9, v15
	v_add_f32_e32 v6, v11, v16
	v_add_f32_e32 v9, v12, v17
	v_add_f32_e32 v7, v7, v13
	v_add_f32_e32 v8, v8, v14
	s_and_b32 s0, vcc_lo, s0
	s_and_saveexec_b32 s1, s0
	s_xor_b32 s0, exec_lo, s1
	s_cbranch_execz .LBB97_19
; %bb.18:
	v_lshl_add_u32 v3, v5, 1, v5
	v_mul_f32_e64 v11, v10, -v2
	v_mul_f32_e32 v12, v1, v10
	v_mul_f32_e64 v13, v9, -v2
	v_mul_f32_e32 v14, v1, v9
	v_ashrrev_i32_e32 v4, 31, v3
	v_mul_f32_e64 v9, v8, -v2
	v_mul_f32_e32 v10, v1, v8
	v_fmac_f32_e32 v11, v1, v0
	v_fmac_f32_e32 v12, v2, v0
	v_lshlrev_b64 v[3:4], 3, v[3:4]
	v_fmac_f32_e32 v13, v1, v6
	v_fmac_f32_e32 v14, v2, v6
	;; [unrolled: 1-line block ×4, first 2 shown]
                                        ; implicit-def: $vgpr5
                                        ; implicit-def: $vgpr0
                                        ; implicit-def: $vgpr6
                                        ; implicit-def: $vgpr7
                                        ; implicit-def: $vgpr8
                                        ; implicit-def: $vgpr1_vgpr2
	v_add_co_u32 v3, vcc_lo, s2, v3
	v_add_co_ci_u32_e64 v4, null, s3, v4, vcc_lo
	global_store_dwordx4 v[3:4], v[11:14], off
	global_store_dwordx2 v[3:4], v[9:10], off offset:16
                                        ; implicit-def: $vgpr10
                                        ; implicit-def: $vgpr9
                                        ; implicit-def: $vgpr3_vgpr4
.LBB97_19:
	s_andn2_saveexec_b32 s0, s0
	s_cbranch_execz .LBB97_21
; %bb.20:
	v_lshl_add_u32 v11, v5, 1, v5
	v_mul_f32_e64 v15, v10, -v2
	v_mul_f32_e32 v16, v1, v10
	v_mul_f32_e64 v10, v9, -v2
	v_mul_f32_e32 v18, v1, v9
	v_ashrrev_i32_e32 v12, 31, v11
	v_mul_f32_e64 v9, v8, -v2
	v_mul_f32_e32 v5, v1, v8
	v_fmac_f32_e32 v15, v1, v0
	v_fmac_f32_e32 v16, v2, v0
	v_lshlrev_b64 v[11:12], 3, v[11:12]
	v_fmac_f32_e32 v10, v1, v6
	v_fmac_f32_e32 v18, v2, v6
	;; [unrolled: 1-line block ×4, first 2 shown]
	v_add_co_u32 v19, vcc_lo, s2, v11
	v_add_co_ci_u32_e64 v20, null, s3, v12, vcc_lo
	s_clause 0x1
	global_load_dwordx4 v[11:14], v[19:20], off
	global_load_dwordx2 v[21:22], v[19:20], off offset:16
	s_waitcnt vmcnt(1)
	v_fmac_f32_e32 v15, v3, v11
	v_fmac_f32_e32 v16, v4, v11
	;; [unrolled: 1-line block ×4, first 2 shown]
	s_waitcnt vmcnt(0)
	v_fmac_f32_e32 v9, v3, v21
	v_fmac_f32_e32 v5, v4, v21
	v_fma_f32 v15, -v4, v12, v15
	v_fmac_f32_e32 v16, v3, v12
	v_fma_f32 v17, -v4, v14, v10
	;; [unrolled: 2-line block ×3, first 2 shown]
	v_fmac_f32_e32 v5, v3, v22
	global_store_dwordx4 v[19:20], v[15:18], off
	global_store_dwordx2 v[19:20], v[4:5], off offset:16
.LBB97_21:
	s_endpgm
	.section	.rodata,"a",@progbits
	.p2align	6, 0x0
	.amdhsa_kernel _ZN9rocsparseL19gebsrmvn_3xn_kernelILj128ELj6ELj32E21rocsparse_complex_numIfEEEvi20rocsparse_direction_NS_24const_host_device_scalarIT2_EEPKiS8_PKS5_SA_S6_PS5_21rocsparse_index_base_b
		.amdhsa_group_segment_fixed_size 0
		.amdhsa_private_segment_fixed_size 0
		.amdhsa_kernarg_size 72
		.amdhsa_user_sgpr_count 6
		.amdhsa_user_sgpr_private_segment_buffer 1
		.amdhsa_user_sgpr_dispatch_ptr 0
		.amdhsa_user_sgpr_queue_ptr 0
		.amdhsa_user_sgpr_kernarg_segment_ptr 1
		.amdhsa_user_sgpr_dispatch_id 0
		.amdhsa_user_sgpr_flat_scratch_init 0
		.amdhsa_user_sgpr_private_segment_size 0
		.amdhsa_wavefront_size32 1
		.amdhsa_uses_dynamic_stack 0
		.amdhsa_system_sgpr_private_segment_wavefront_offset 0
		.amdhsa_system_sgpr_workgroup_id_x 1
		.amdhsa_system_sgpr_workgroup_id_y 0
		.amdhsa_system_sgpr_workgroup_id_z 0
		.amdhsa_system_sgpr_workgroup_info 0
		.amdhsa_system_vgpr_workitem_id 0
		.amdhsa_next_free_vgpr 67
		.amdhsa_next_free_sgpr 16
		.amdhsa_reserve_vcc 1
		.amdhsa_reserve_flat_scratch 0
		.amdhsa_float_round_mode_32 0
		.amdhsa_float_round_mode_16_64 0
		.amdhsa_float_denorm_mode_32 3
		.amdhsa_float_denorm_mode_16_64 3
		.amdhsa_dx10_clamp 1
		.amdhsa_ieee_mode 1
		.amdhsa_fp16_overflow 0
		.amdhsa_workgroup_processor_mode 1
		.amdhsa_memory_ordered 1
		.amdhsa_forward_progress 1
		.amdhsa_shared_vgpr_count 0
		.amdhsa_exception_fp_ieee_invalid_op 0
		.amdhsa_exception_fp_denorm_src 0
		.amdhsa_exception_fp_ieee_div_zero 0
		.amdhsa_exception_fp_ieee_overflow 0
		.amdhsa_exception_fp_ieee_underflow 0
		.amdhsa_exception_fp_ieee_inexact 0
		.amdhsa_exception_int_div_zero 0
	.end_amdhsa_kernel
	.section	.text._ZN9rocsparseL19gebsrmvn_3xn_kernelILj128ELj6ELj32E21rocsparse_complex_numIfEEEvi20rocsparse_direction_NS_24const_host_device_scalarIT2_EEPKiS8_PKS5_SA_S6_PS5_21rocsparse_index_base_b,"axG",@progbits,_ZN9rocsparseL19gebsrmvn_3xn_kernelILj128ELj6ELj32E21rocsparse_complex_numIfEEEvi20rocsparse_direction_NS_24const_host_device_scalarIT2_EEPKiS8_PKS5_SA_S6_PS5_21rocsparse_index_base_b,comdat
.Lfunc_end97:
	.size	_ZN9rocsparseL19gebsrmvn_3xn_kernelILj128ELj6ELj32E21rocsparse_complex_numIfEEEvi20rocsparse_direction_NS_24const_host_device_scalarIT2_EEPKiS8_PKS5_SA_S6_PS5_21rocsparse_index_base_b, .Lfunc_end97-_ZN9rocsparseL19gebsrmvn_3xn_kernelILj128ELj6ELj32E21rocsparse_complex_numIfEEEvi20rocsparse_direction_NS_24const_host_device_scalarIT2_EEPKiS8_PKS5_SA_S6_PS5_21rocsparse_index_base_b
                                        ; -- End function
	.set _ZN9rocsparseL19gebsrmvn_3xn_kernelILj128ELj6ELj32E21rocsparse_complex_numIfEEEvi20rocsparse_direction_NS_24const_host_device_scalarIT2_EEPKiS8_PKS5_SA_S6_PS5_21rocsparse_index_base_b.num_vgpr, 67
	.set _ZN9rocsparseL19gebsrmvn_3xn_kernelILj128ELj6ELj32E21rocsparse_complex_numIfEEEvi20rocsparse_direction_NS_24const_host_device_scalarIT2_EEPKiS8_PKS5_SA_S6_PS5_21rocsparse_index_base_b.num_agpr, 0
	.set _ZN9rocsparseL19gebsrmvn_3xn_kernelILj128ELj6ELj32E21rocsparse_complex_numIfEEEvi20rocsparse_direction_NS_24const_host_device_scalarIT2_EEPKiS8_PKS5_SA_S6_PS5_21rocsparse_index_base_b.numbered_sgpr, 16
	.set _ZN9rocsparseL19gebsrmvn_3xn_kernelILj128ELj6ELj32E21rocsparse_complex_numIfEEEvi20rocsparse_direction_NS_24const_host_device_scalarIT2_EEPKiS8_PKS5_SA_S6_PS5_21rocsparse_index_base_b.num_named_barrier, 0
	.set _ZN9rocsparseL19gebsrmvn_3xn_kernelILj128ELj6ELj32E21rocsparse_complex_numIfEEEvi20rocsparse_direction_NS_24const_host_device_scalarIT2_EEPKiS8_PKS5_SA_S6_PS5_21rocsparse_index_base_b.private_seg_size, 0
	.set _ZN9rocsparseL19gebsrmvn_3xn_kernelILj128ELj6ELj32E21rocsparse_complex_numIfEEEvi20rocsparse_direction_NS_24const_host_device_scalarIT2_EEPKiS8_PKS5_SA_S6_PS5_21rocsparse_index_base_b.uses_vcc, 1
	.set _ZN9rocsparseL19gebsrmvn_3xn_kernelILj128ELj6ELj32E21rocsparse_complex_numIfEEEvi20rocsparse_direction_NS_24const_host_device_scalarIT2_EEPKiS8_PKS5_SA_S6_PS5_21rocsparse_index_base_b.uses_flat_scratch, 0
	.set _ZN9rocsparseL19gebsrmvn_3xn_kernelILj128ELj6ELj32E21rocsparse_complex_numIfEEEvi20rocsparse_direction_NS_24const_host_device_scalarIT2_EEPKiS8_PKS5_SA_S6_PS5_21rocsparse_index_base_b.has_dyn_sized_stack, 0
	.set _ZN9rocsparseL19gebsrmvn_3xn_kernelILj128ELj6ELj32E21rocsparse_complex_numIfEEEvi20rocsparse_direction_NS_24const_host_device_scalarIT2_EEPKiS8_PKS5_SA_S6_PS5_21rocsparse_index_base_b.has_recursion, 0
	.set _ZN9rocsparseL19gebsrmvn_3xn_kernelILj128ELj6ELj32E21rocsparse_complex_numIfEEEvi20rocsparse_direction_NS_24const_host_device_scalarIT2_EEPKiS8_PKS5_SA_S6_PS5_21rocsparse_index_base_b.has_indirect_call, 0
	.section	.AMDGPU.csdata,"",@progbits
; Kernel info:
; codeLenInByte = 3832
; TotalNumSgprs: 18
; NumVgprs: 67
; ScratchSize: 0
; MemoryBound: 0
; FloatMode: 240
; IeeeMode: 1
; LDSByteSize: 0 bytes/workgroup (compile time only)
; SGPRBlocks: 0
; VGPRBlocks: 8
; NumSGPRsForWavesPerEU: 18
; NumVGPRsForWavesPerEU: 67
; Occupancy: 12
; WaveLimiterHint : 1
; COMPUTE_PGM_RSRC2:SCRATCH_EN: 0
; COMPUTE_PGM_RSRC2:USER_SGPR: 6
; COMPUTE_PGM_RSRC2:TRAP_HANDLER: 0
; COMPUTE_PGM_RSRC2:TGID_X_EN: 1
; COMPUTE_PGM_RSRC2:TGID_Y_EN: 0
; COMPUTE_PGM_RSRC2:TGID_Z_EN: 0
; COMPUTE_PGM_RSRC2:TIDIG_COMP_CNT: 0
	.section	.text._ZN9rocsparseL19gebsrmvn_3xn_kernelILj128ELj6ELj64E21rocsparse_complex_numIfEEEvi20rocsparse_direction_NS_24const_host_device_scalarIT2_EEPKiS8_PKS5_SA_S6_PS5_21rocsparse_index_base_b,"axG",@progbits,_ZN9rocsparseL19gebsrmvn_3xn_kernelILj128ELj6ELj64E21rocsparse_complex_numIfEEEvi20rocsparse_direction_NS_24const_host_device_scalarIT2_EEPKiS8_PKS5_SA_S6_PS5_21rocsparse_index_base_b,comdat
	.globl	_ZN9rocsparseL19gebsrmvn_3xn_kernelILj128ELj6ELj64E21rocsparse_complex_numIfEEEvi20rocsparse_direction_NS_24const_host_device_scalarIT2_EEPKiS8_PKS5_SA_S6_PS5_21rocsparse_index_base_b ; -- Begin function _ZN9rocsparseL19gebsrmvn_3xn_kernelILj128ELj6ELj64E21rocsparse_complex_numIfEEEvi20rocsparse_direction_NS_24const_host_device_scalarIT2_EEPKiS8_PKS5_SA_S6_PS5_21rocsparse_index_base_b
	.p2align	8
	.type	_ZN9rocsparseL19gebsrmvn_3xn_kernelILj128ELj6ELj64E21rocsparse_complex_numIfEEEvi20rocsparse_direction_NS_24const_host_device_scalarIT2_EEPKiS8_PKS5_SA_S6_PS5_21rocsparse_index_base_b,@function
_ZN9rocsparseL19gebsrmvn_3xn_kernelILj128ELj6ELj64E21rocsparse_complex_numIfEEEvi20rocsparse_direction_NS_24const_host_device_scalarIT2_EEPKiS8_PKS5_SA_S6_PS5_21rocsparse_index_base_b: ; @_ZN9rocsparseL19gebsrmvn_3xn_kernelILj128ELj6ELj64E21rocsparse_complex_numIfEEEvi20rocsparse_direction_NS_24const_host_device_scalarIT2_EEPKiS8_PKS5_SA_S6_PS5_21rocsparse_index_base_b
; %bb.0:
	s_clause 0x2
	s_load_dwordx2 s[2:3], s[4:5], 0x40
	s_load_dwordx2 s[0:1], s[4:5], 0x8
	;; [unrolled: 1-line block ×3, first 2 shown]
	s_add_u32 s7, s4, 8
	s_addc_u32 s10, s5, 0
	s_add_u32 s11, s4, 48
	s_addc_u32 s12, s5, 0
	s_waitcnt lgkmcnt(0)
	s_bitcmp1_b32 s3, 0
	s_cselect_b32 s0, s7, s0
	s_cselect_b32 s1, s10, s1
	v_mov_b32_e32 v1, s0
	v_mov_b32_e32 v2, s1
	s_cselect_b32 s0, s11, s8
	s_cselect_b32 s1, s12, s9
	v_mov_b32_e32 v3, s0
	v_mov_b32_e32 v4, s1
	flat_load_dwordx2 v[1:2], v[1:2]
	flat_load_dwordx2 v[3:4], v[3:4]
	s_waitcnt vmcnt(1) lgkmcnt(1)
	v_cmp_eq_f32_e32 vcc_lo, 0, v1
	v_cmp_eq_f32_e64 s0, 0, v2
	s_and_b32 s3, vcc_lo, s0
	s_mov_b32 s0, -1
	s_and_saveexec_b32 s1, s3
	s_cbranch_execz .LBB98_2
; %bb.1:
	s_waitcnt vmcnt(0) lgkmcnt(0)
	v_cmp_neq_f32_e32 vcc_lo, 1.0, v3
	v_cmp_neq_f32_e64 s0, 0, v4
	s_or_b32 s0, vcc_lo, s0
	s_orn2_b32 s0, s0, exec_lo
.LBB98_2:
	s_or_b32 exec_lo, exec_lo, s1
	s_and_saveexec_b32 s1, s0
	s_cbranch_execz .LBB98_21
; %bb.3:
	s_load_dwordx2 s[0:1], s[4:5], 0x0
	v_lshrrev_b32_e32 v5, 6, v0
	v_lshl_or_b32 v5, s6, 1, v5
	s_waitcnt lgkmcnt(0)
	v_cmp_gt_i32_e32 vcc_lo, s0, v5
	s_and_b32 exec_lo, exec_lo, vcc_lo
	s_cbranch_execz .LBB98_21
; %bb.4:
	s_load_dwordx8 s[8:15], s[4:5], 0x10
	v_ashrrev_i32_e32 v6, 31, v5
	v_and_b32_e32 v0, 63, v0
	s_cmp_lg_u32 s1, 0
	v_lshlrev_b64 v[6:7], 2, v[5:6]
	s_waitcnt lgkmcnt(0)
	v_add_co_u32 v6, vcc_lo, s8, v6
	v_add_co_ci_u32_e64 v7, null, s9, v7, vcc_lo
	global_load_dwordx2 v[6:7], v[6:7], off
	s_waitcnt vmcnt(0)
	v_subrev_nc_u32_e32 v6, s2, v6
	v_subrev_nc_u32_e32 v16, s2, v7
	v_add_nc_u32_e32 v6, v6, v0
	v_cmp_lt_i32_e64 s0, v6, v16
	s_cbranch_scc0 .LBB98_10
; %bb.5:
	v_mov_b32_e32 v13, 0
	v_mov_b32_e32 v18, 0
	;; [unrolled: 1-line block ×6, first 2 shown]
	s_and_saveexec_b32 s1, s0
	s_cbranch_execz .LBB98_9
; %bb.6:
	v_mad_u64_u32 v[7:8], null, v6, 18, 17
	v_mov_b32_e32 v10, 0
	v_mov_b32_e32 v11, v6
	;; [unrolled: 1-line block ×8, first 2 shown]
	s_mov_b32 s3, 0
.LBB98_7:                               ; =>This Inner Loop Header: Depth=1
	v_ashrrev_i32_e32 v12, 31, v11
	v_subrev_nc_u32_e32 v9, 17, v7
	v_mov_b32_e32 v8, v10
	v_mov_b32_e32 v33, v10
	v_lshlrev_b64 v[22:23], 2, v[11:12]
	v_lshlrev_b64 v[20:21], 3, v[9:10]
	v_add_nc_u32_e32 v9, -15, v7
	v_lshlrev_b64 v[24:25], 3, v[7:8]
	v_add_nc_u32_e32 v11, 64, v11
	v_add_co_u32 v22, vcc_lo, s10, v22
	v_add_co_ci_u32_e64 v23, null, s11, v23, vcc_lo
	v_lshlrev_b64 v[26:27], 3, v[9:10]
	v_add_nc_u32_e32 v9, -14, v7
	v_add_co_u32 v20, vcc_lo, s12, v20
	global_load_dword v12, v[22:23], off
	v_add_co_ci_u32_e64 v21, null, s13, v21, vcc_lo
	v_add_co_u32 v24, vcc_lo, s12, v24
	v_lshlrev_b64 v[28:29], 3, v[9:10]
	v_add_nc_u32_e32 v9, -13, v7
	v_add_co_ci_u32_e64 v25, null, s13, v25, vcc_lo
	s_clause 0x1
	global_load_dwordx4 v[20:23], v[20:21], off
	global_load_dwordx2 v[36:37], v[24:25], off
	v_lshlrev_b64 v[24:25], 3, v[9:10]
	v_add_co_u32 v26, vcc_lo, s12, v26
	v_add_co_ci_u32_e64 v27, null, s13, v27, vcc_lo
	v_add_co_u32 v28, vcc_lo, s12, v28
	v_add_co_ci_u32_e64 v29, null, s13, v29, vcc_lo
	v_add_co_u32 v24, vcc_lo, s12, v24
	v_add_nc_u32_e32 v9, -12, v7
	v_add_co_ci_u32_e64 v25, null, s13, v25, vcc_lo
	s_clause 0x2
	global_load_dwordx2 v[38:39], v[26:27], off
	global_load_dwordx2 v[40:41], v[28:29], off
	global_load_dwordx2 v[42:43], v[24:25], off
	v_lshlrev_b64 v[26:27], 3, v[9:10]
	v_add_nc_u32_e32 v9, -11, v7
	v_lshlrev_b64 v[8:9], 3, v[9:10]
	v_add_co_u32 v26, vcc_lo, s12, v26
	v_add_co_ci_u32_e64 v27, null, s13, v27, vcc_lo
	v_add_co_u32 v8, vcc_lo, s12, v8
	v_add_co_ci_u32_e64 v9, null, s13, v9, vcc_lo
	s_clause 0x1
	global_load_dwordx2 v[44:45], v[26:27], off
	global_load_dwordx2 v[46:47], v[8:9], off
	s_waitcnt vmcnt(7)
	v_subrev_nc_u32_e32 v8, s2, v12
	v_mul_lo_u32 v32, v8, 6
	v_lshlrev_b64 v[24:25], 3, v[32:33]
	v_add_nc_u32_e32 v9, 2, v32
	v_lshlrev_b64 v[28:29], 3, v[9:10]
	v_add_co_u32 v24, vcc_lo, s14, v24
	v_add_co_ci_u32_e64 v25, null, s15, v25, vcc_lo
	v_add_nc_u32_e32 v9, -10, v7
	v_add_co_u32 v28, vcc_lo, s14, v28
	global_load_dwordx4 v[24:27], v[24:25], off
	v_add_co_ci_u32_e64 v29, null, s15, v29, vcc_lo
	v_lshlrev_b64 v[30:31], 3, v[9:10]
	v_add_nc_u32_e32 v9, -9, v7
	v_lshlrev_b64 v[33:34], 3, v[9:10]
	v_add_nc_u32_e32 v9, -8, v7
	v_add_co_u32 v48, vcc_lo, s12, v30
	v_add_co_ci_u32_e64 v49, null, s13, v31, vcc_lo
	v_lshlrev_b64 v[50:51], 3, v[9:10]
	v_add_nc_u32_e32 v9, -7, v7
	v_add_co_u32 v33, vcc_lo, s12, v33
	v_add_co_ci_u32_e64 v34, null, s13, v34, vcc_lo
	v_add_co_u32 v50, vcc_lo, s12, v50
	v_lshlrev_b64 v[52:53], 3, v[9:10]
	v_add_nc_u32_e32 v9, -6, v7
	v_add_co_ci_u32_e64 v51, null, s13, v51, vcc_lo
	global_load_dwordx2 v[54:55], v[33:34], off
	global_load_dwordx4 v[28:31], v[28:29], off
	v_add_co_u32 v52, vcc_lo, s12, v52
	global_load_dwordx2 v[50:51], v[50:51], off
	v_lshlrev_b64 v[33:34], 3, v[9:10]
	v_add_nc_u32_e32 v9, -5, v7
	v_add_co_ci_u32_e64 v53, null, s13, v53, vcc_lo
	global_load_dwordx2 v[48:49], v[48:49], off
	v_lshlrev_b64 v[56:57], 3, v[9:10]
	v_add_nc_u32_e32 v9, 4, v32
	v_add_co_u32 v32, vcc_lo, s12, v33
	v_add_co_ci_u32_e64 v33, null, s13, v34, vcc_lo
	v_add_co_u32 v56, vcc_lo, s12, v56
	v_lshlrev_b64 v[34:35], 3, v[9:10]
	v_add_nc_u32_e32 v9, -4, v7
	v_add_co_ci_u32_e64 v57, null, s13, v57, vcc_lo
	global_load_dwordx2 v[52:53], v[52:53], off
	v_add_co_u32 v34, vcc_lo, s14, v34
	s_clause 0x1
	global_load_dwordx2 v[56:57], v[56:57], off
	global_load_dwordx2 v[58:59], v[32:33], off
	v_lshlrev_b64 v[32:33], 3, v[9:10]
	v_add_nc_u32_e32 v9, -3, v7
	v_add_co_ci_u32_e64 v35, null, s15, v35, vcc_lo
	v_lshlrev_b64 v[60:61], 3, v[9:10]
	v_add_nc_u32_e32 v9, -2, v7
	v_add_co_u32 v62, vcc_lo, s12, v32
	v_add_co_ci_u32_e64 v63, null, s13, v33, vcc_lo
	v_add_co_u32 v60, vcc_lo, s12, v60
	v_lshlrev_b64 v[64:65], 3, v[9:10]
	v_add_nc_u32_e32 v9, -1, v7
	v_add_co_ci_u32_e64 v61, null, s13, v61, vcc_lo
	global_load_dwordx4 v[32:35], v[34:35], off
	global_load_dwordx2 v[62:63], v[62:63], off
	v_lshlrev_b64 v[8:9], 3, v[9:10]
	v_add_nc_u32_e32 v7, 0x480, v7
	s_waitcnt vmcnt(9)
	v_fmac_f32_e32 v18, v20, v24
	v_fmac_f32_e32 v13, v21, v24
	;; [unrolled: 1-line block ×5, first 2 shown]
	v_fma_f32 v12, -v21, v25, v18
	v_fmac_f32_e32 v13, v20, v25
	global_load_dwordx2 v[20:21], v[60:61], off
	v_add_co_u32 v18, vcc_lo, s12, v64
	v_fma_f32 v66, -v23, v25, v19
	v_add_co_ci_u32_e64 v19, null, s13, v65, vcc_lo
	v_add_co_u32 v8, vcc_lo, s12, v8
	v_add_co_ci_u32_e64 v9, null, s13, v9, vcc_lo
	v_fmac_f32_e32 v15, v22, v25
	s_clause 0x1
	global_load_dwordx2 v[22:23], v[18:19], off
	global_load_dwordx2 v[8:9], v[8:9], off
	v_fmac_f32_e32 v14, v39, v24
	v_fma_f32 v17, -v39, v25, v17
	v_fmac_f32_e32 v12, v40, v26
	v_fmac_f32_e32 v13, v41, v26
	;; [unrolled: 1-line block ×6, first 2 shown]
	v_fma_f32 v12, -v41, v27, v12
	v_fmac_f32_e32 v13, v40, v27
	v_fmac_f32_e32 v14, v45, v26
	v_fma_f32 v18, -v43, v27, v66
	v_fmac_f32_e32 v15, v42, v27
	v_fma_f32 v17, -v45, v27, v17
	s_waitcnt vmcnt(10)
	v_fmac_f32_e32 v12, v46, v28
	v_fmac_f32_e32 v14, v44, v27
	;; [unrolled: 1-line block ×3, first 2 shown]
	s_waitcnt vmcnt(8)
	v_fmac_f32_e32 v18, v48, v28
	v_fmac_f32_e32 v15, v49, v28
	;; [unrolled: 1-line block ×4, first 2 shown]
	v_fma_f32 v12, -v47, v29, v12
	v_fmac_f32_e32 v13, v46, v29
	v_fma_f32 v18, -v49, v29, v18
	v_fmac_f32_e32 v15, v48, v29
	;; [unrolled: 2-line block ×3, first 2 shown]
	v_fmac_f32_e32 v12, v50, v30
	v_fmac_f32_e32 v13, v51, v30
	v_cmp_ge_i32_e32 vcc_lo, v11, v16
	s_waitcnt vmcnt(7)
	v_fmac_f32_e32 v18, v52, v30
	v_fmac_f32_e32 v15, v53, v30
	v_fma_f32 v12, -v51, v31, v12
	v_fmac_f32_e32 v13, v50, v31
	s_or_b32 s3, vcc_lo, s3
	s_waitcnt vmcnt(5)
	v_fmac_f32_e32 v17, v58, v30
	v_fmac_f32_e32 v14, v59, v30
	v_fma_f32 v18, -v53, v31, v18
	v_fmac_f32_e32 v15, v52, v31
	v_fma_f32 v17, -v59, v31, v17
	v_fmac_f32_e32 v14, v58, v31
	s_waitcnt vmcnt(4)
	v_fmac_f32_e32 v12, v56, v32
	v_fmac_f32_e32 v13, v57, v32
	s_waitcnt vmcnt(3)
	v_fmac_f32_e32 v18, v62, v32
	v_fmac_f32_e32 v15, v63, v32
	v_fma_f32 v12, -v57, v33, v12
	v_fmac_f32_e32 v13, v56, v33
	v_fma_f32 v19, -v63, v33, v18
	v_fmac_f32_e32 v15, v62, v33
	s_waitcnt vmcnt(2)
	v_fmac_f32_e32 v17, v20, v32
	v_fmac_f32_e32 v14, v21, v32
	v_fma_f32 v17, -v21, v33, v17
	v_fmac_f32_e32 v14, v20, v33
	v_fmac_f32_e32 v17, v36, v34
	s_waitcnt vmcnt(1)
	v_fmac_f32_e32 v12, v22, v34
	v_fmac_f32_e32 v13, v23, v34
	s_waitcnt vmcnt(0)
	v_fmac_f32_e32 v19, v8, v34
	v_fmac_f32_e32 v15, v9, v34
	;; [unrolled: 1-line block ×3, first 2 shown]
	v_fma_f32 v18, -v23, v35, v12
	v_fmac_f32_e32 v13, v22, v35
	v_fma_f32 v19, -v9, v35, v19
	v_fmac_f32_e32 v15, v8, v35
	;; [unrolled: 2-line block ×3, first 2 shown]
	s_andn2_b32 exec_lo, exec_lo, s3
	s_cbranch_execnz .LBB98_7
; %bb.8:
	s_or_b32 exec_lo, exec_lo, s3
.LBB98_9:
	s_or_b32 exec_lo, exec_lo, s1
	s_cbranch_execz .LBB98_11
	s_branch .LBB98_16
.LBB98_10:
                                        ; implicit-def: $vgpr13
                                        ; implicit-def: $vgpr18
                                        ; implicit-def: $vgpr17
                                        ; implicit-def: $vgpr14
                                        ; implicit-def: $vgpr19
                                        ; implicit-def: $vgpr15
.LBB98_11:
	v_mov_b32_e32 v13, 0
	v_mov_b32_e32 v18, 0
	;; [unrolled: 1-line block ×6, first 2 shown]
	s_and_saveexec_b32 s1, s0
	s_cbranch_execz .LBB98_15
; %bb.12:
	v_mad_u64_u32 v[8:9], null, v6, 18, 17
	v_mov_b32_e32 v11, 0
	v_mov_b32_e32 v13, 0
	;; [unrolled: 1-line block ×7, first 2 shown]
	s_mov_b32 s0, 0
.LBB98_13:                              ; =>This Inner Loop Header: Depth=1
	v_ashrrev_i32_e32 v7, 31, v6
	v_subrev_nc_u32_e32 v10, 17, v8
	v_add_nc_u32_e32 v20, -11, v8
	v_mov_b32_e32 v21, v11
	v_add_nc_u32_e32 v22, -5, v8
	v_lshlrev_b64 v[26:27], 2, v[6:7]
	v_mov_b32_e32 v23, v11
	v_lshlrev_b64 v[24:25], 3, v[10:11]
	v_mov_b32_e32 v9, v11
	v_add_nc_u32_e32 v10, -10, v8
	v_lshlrev_b64 v[20:21], 3, v[20:21]
	v_add_co_u32 v26, vcc_lo, s10, v26
	v_add_co_ci_u32_e64 v27, null, s11, v27, vcc_lo
	v_lshlrev_b64 v[22:23], 3, v[22:23]
	v_lshlrev_b64 v[30:31], 3, v[8:9]
	v_add_co_u32 v24, vcc_lo, s12, v24
	global_load_dword v7, v[26:27], off
	v_lshlrev_b64 v[32:33], 3, v[10:11]
	v_add_nc_u32_e32 v10, -4, v8
	v_add_co_ci_u32_e64 v25, null, s13, v25, vcc_lo
	v_add_co_u32 v34, vcc_lo, s12, v20
	v_add_co_ci_u32_e64 v35, null, s13, v21, vcc_lo
	v_add_co_u32 v36, vcc_lo, s12, v22
	;; [unrolled: 2-line block ×3, first 2 shown]
	v_lshlrev_b64 v[26:27], 3, v[10:11]
	v_add_nc_u32_e32 v10, -15, v8
	v_add_co_ci_u32_e64 v31, null, s13, v31, vcc_lo
	global_load_dwordx4 v[20:23], v[24:25], off
	v_add_co_u32 v24, vcc_lo, s12, v32
	v_add_co_ci_u32_e64 v25, null, s13, v33, vcc_lo
	v_lshlrev_b64 v[9:10], 3, v[10:11]
	s_clause 0x2
	global_load_dwordx2 v[32:33], v[34:35], off
	global_load_dwordx2 v[36:37], v[36:37], off
	;; [unrolled: 1-line block ×3, first 2 shown]
	v_mov_b32_e32 v29, v11
	global_load_dwordx2 v[40:41], v[24:25], off
	v_add_co_u32 v24, vcc_lo, s12, v26
	v_add_co_ci_u32_e64 v25, null, s13, v27, vcc_lo
	v_add_co_u32 v9, vcc_lo, s12, v9
	v_add_co_ci_u32_e64 v10, null, s13, v10, vcc_lo
	s_clause 0x1
	global_load_dwordx2 v[42:43], v[24:25], off
	global_load_dwordx2 v[44:45], v[9:10], off
	v_add_nc_u32_e32 v6, 64, v6
	s_waitcnt vmcnt(7)
	v_subrev_nc_u32_e32 v7, s2, v7
	v_mul_lo_u32 v28, v7, 6
	v_lshlrev_b64 v[24:25], 3, v[28:29]
	v_add_nc_u32_e32 v10, 2, v28
	v_lshlrev_b64 v[29:30], 3, v[10:11]
	v_add_co_u32 v24, vcc_lo, s14, v24
	v_add_co_ci_u32_e64 v25, null, s15, v25, vcc_lo
	v_add_nc_u32_e32 v10, -9, v8
	v_add_co_u32 v29, vcc_lo, s14, v29
	global_load_dwordx4 v[24:27], v[24:25], off
	v_add_co_ci_u32_e64 v30, null, s15, v30, vcc_lo
	v_lshlrev_b64 v[34:35], 3, v[10:11]
	v_add_nc_u32_e32 v10, -3, v8
	v_lshlrev_b64 v[46:47], 3, v[10:11]
	v_add_nc_u32_e32 v10, -14, v8
	v_add_co_u32 v34, vcc_lo, s12, v34
	v_add_co_ci_u32_e64 v35, null, s13, v35, vcc_lo
	v_lshlrev_b64 v[48:49], 3, v[10:11]
	v_add_nc_u32_e32 v10, -8, v8
	v_add_co_u32 v46, vcc_lo, s12, v46
	v_add_co_ci_u32_e64 v47, null, s13, v47, vcc_lo
	;; [unrolled: 4-line block ×4, first 2 shown]
	v_lshlrev_b64 v[54:55], 3, v[10:11]
	v_add_nc_u32_e32 v10, 4, v28
	v_add_co_u32 v52, vcc_lo, s12, v52
	v_add_co_ci_u32_e64 v53, null, s13, v53, vcc_lo
	v_lshlrev_b64 v[56:57], 3, v[10:11]
	v_add_nc_u32_e32 v10, -7, v8
	v_add_co_u32 v54, vcc_lo, s12, v54
	v_add_co_ci_u32_e64 v55, null, s13, v55, vcc_lo
	v_lshlrev_b64 v[58:59], 3, v[10:11]
	v_add_nc_u32_e32 v10, -1, v8
	global_load_dwordx4 v[28:31], v[29:30], off
	s_clause 0x5
	global_load_dwordx2 v[64:65], v[34:35], off
	global_load_dwordx2 v[46:47], v[46:47], off
	;; [unrolled: 1-line block ×6, first 2 shown]
	v_add_co_u32 v56, vcc_lo, s14, v56
	v_add_co_ci_u32_e64 v57, null, s15, v57, vcc_lo
	v_lshlrev_b64 v[60:61], 3, v[10:11]
	v_add_nc_u32_e32 v10, -12, v8
	v_add_co_u32 v58, vcc_lo, s12, v58
	v_add_co_ci_u32_e64 v59, null, s13, v59, vcc_lo
	v_lshlrev_b64 v[62:63], 3, v[10:11]
	v_add_nc_u32_e32 v10, -6, v8
	v_add_co_u32 v60, vcc_lo, s12, v60
	v_add_co_ci_u32_e64 v61, null, s13, v61, vcc_lo
	v_lshlrev_b64 v[9:10], 3, v[10:11]
	v_add_co_u32 v62, vcc_lo, s12, v62
	v_add_co_ci_u32_e64 v63, null, s13, v63, vcc_lo
	v_add_nc_u32_e32 v8, 0x480, v8
	v_add_co_u32 v9, vcc_lo, s12, v9
	v_add_co_ci_u32_e64 v10, null, s13, v10, vcc_lo
	v_cmp_ge_i32_e32 vcc_lo, v6, v16
	s_or_b32 s0, vcc_lo, s0
	s_waitcnt vmcnt(7)
	v_fmac_f32_e32 v19, v32, v24
	v_fmac_f32_e32 v15, v33, v24
	;; [unrolled: 1-line block ×5, first 2 shown]
	v_fma_f32 v7, -v33, v25, v19
	v_fmac_f32_e32 v15, v32, v25
	global_load_dwordx4 v[32:35], v[56:57], off
	s_clause 0x3
	global_load_dwordx2 v[56:57], v[58:59], off
	global_load_dwordx2 v[58:59], v[60:61], off
	;; [unrolled: 1-line block ×4, first 2 shown]
	v_fmac_f32_e32 v14, v37, v24
	v_fma_f32 v12, -v21, v25, v18
	v_fmac_f32_e32 v13, v20, v25
	v_fma_f32 v17, -v37, v25, v17
	v_fmac_f32_e32 v7, v40, v26
	v_fmac_f32_e32 v14, v36, v25
	;; [unrolled: 1-line block ×7, first 2 shown]
	v_fma_f32 v12, -v23, v27, v12
	v_fmac_f32_e32 v13, v22, v27
	v_fma_f32 v7, -v41, v27, v7
	v_fmac_f32_e32 v15, v40, v27
	v_fma_f32 v17, -v43, v27, v17
	v_fmac_f32_e32 v14, v42, v27
	s_waitcnt vmcnt(11)
	v_fmac_f32_e32 v12, v44, v28
	v_fmac_f32_e32 v13, v45, v28
	s_waitcnt vmcnt(10)
	v_fmac_f32_e32 v7, v64, v28
	v_fmac_f32_e32 v15, v65, v28
	s_waitcnt vmcnt(9)
	v_fmac_f32_e32 v17, v46, v28
	v_fmac_f32_e32 v14, v47, v28
	v_fma_f32 v12, -v45, v29, v12
	v_fmac_f32_e32 v13, v44, v29
	v_fma_f32 v7, -v65, v29, v7
	v_fmac_f32_e32 v15, v64, v29
	v_fma_f32 v17, -v47, v29, v17
	v_fmac_f32_e32 v14, v46, v29
	s_waitcnt vmcnt(8)
	v_fmac_f32_e32 v12, v48, v30
	v_fmac_f32_e32 v13, v49, v30
	s_waitcnt vmcnt(7)
	v_fmac_f32_e32 v7, v50, v30
	v_fmac_f32_e32 v15, v51, v30
	s_waitcnt vmcnt(6)
	v_fmac_f32_e32 v17, v52, v30
	v_fmac_f32_e32 v14, v53, v30
	;; [unrolled: 15-line block ×3, first 2 shown]
	v_fma_f32 v12, -v55, v33, v12
	v_fmac_f32_e32 v13, v54, v33
	v_fma_f32 v7, -v57, v33, v7
	v_fmac_f32_e32 v15, v56, v33
	;; [unrolled: 2-line block ×3, first 2 shown]
	s_waitcnt vmcnt(1)
	v_fmac_f32_e32 v12, v60, v34
	v_fmac_f32_e32 v13, v61, v34
	s_waitcnt vmcnt(0)
	v_fmac_f32_e32 v7, v9, v34
	v_fmac_f32_e32 v15, v10, v34
	;; [unrolled: 1-line block ×4, first 2 shown]
	v_fma_f32 v18, -v61, v35, v12
	v_fmac_f32_e32 v13, v60, v35
	v_fma_f32 v19, -v10, v35, v7
	v_fmac_f32_e32 v15, v9, v35
	;; [unrolled: 2-line block ×3, first 2 shown]
	s_andn2_b32 exec_lo, exec_lo, s0
	s_cbranch_execnz .LBB98_13
; %bb.14:
	s_or_b32 exec_lo, exec_lo, s0
.LBB98_15:
	s_or_b32 exec_lo, exec_lo, s1
.LBB98_16:
	v_mbcnt_lo_u32_b32 v6, -1, 0
	v_or_b32_e32 v7, 32, v6
	v_xor_b32_e32 v16, 16, v6
	v_cmp_gt_i32_e32 vcc_lo, 32, v7
	v_cndmask_b32_e32 v7, v6, v7, vcc_lo
	v_cmp_gt_i32_e32 vcc_lo, 32, v16
	v_lshlrev_b32_e32 v7, 2, v7
	v_cndmask_b32_e32 v16, v6, v16, vcc_lo
	ds_bpermute_b32 v8, v7, v18
	ds_bpermute_b32 v9, v7, v13
	;; [unrolled: 1-line block ×6, first 2 shown]
	v_lshlrev_b32_e32 v16, 2, v16
	s_waitcnt lgkmcnt(5)
	v_add_f32_e32 v8, v18, v8
	s_waitcnt lgkmcnt(4)
	v_add_f32_e32 v9, v13, v9
	;; [unrolled: 2-line block ×6, first 2 shown]
	ds_bpermute_b32 v13, v16, v8
	ds_bpermute_b32 v14, v16, v9
	ds_bpermute_b32 v15, v16, v10
	ds_bpermute_b32 v17, v16, v11
	ds_bpermute_b32 v18, v16, v12
	ds_bpermute_b32 v16, v16, v7
	v_xor_b32_e32 v19, 8, v6
	v_cmp_gt_i32_e32 vcc_lo, 32, v19
	v_cndmask_b32_e32 v19, v6, v19, vcc_lo
	s_waitcnt lgkmcnt(5)
	v_add_f32_e32 v8, v8, v13
	v_lshlrev_b32_e32 v19, 2, v19
	s_waitcnt lgkmcnt(4)
	v_add_f32_e32 v9, v9, v14
	s_waitcnt lgkmcnt(3)
	v_add_f32_e32 v10, v10, v15
	s_waitcnt lgkmcnt(2)
	v_add_f32_e32 v11, v11, v17
	s_waitcnt lgkmcnt(1)
	v_add_f32_e32 v12, v12, v18
	s_waitcnt lgkmcnt(0)
	v_add_f32_e32 v7, v7, v16
	ds_bpermute_b32 v13, v19, v8
	ds_bpermute_b32 v14, v19, v9
	ds_bpermute_b32 v15, v19, v10
	ds_bpermute_b32 v16, v19, v11
	ds_bpermute_b32 v17, v19, v12
	ds_bpermute_b32 v18, v19, v7
	v_xor_b32_e32 v19, 4, v6
	v_cmp_gt_i32_e32 vcc_lo, 32, v19
	v_cndmask_b32_e32 v19, v6, v19, vcc_lo
	s_waitcnt lgkmcnt(5)
	v_add_f32_e32 v8, v8, v13
	v_lshlrev_b32_e32 v19, 2, v19
	s_waitcnt lgkmcnt(4)
	v_add_f32_e32 v9, v9, v14
	s_waitcnt lgkmcnt(3)
	v_add_f32_e32 v10, v10, v15
	s_waitcnt lgkmcnt(2)
	v_add_f32_e32 v11, v11, v16
	s_waitcnt lgkmcnt(1)
	v_add_f32_e32 v12, v12, v17
	s_waitcnt lgkmcnt(0)
	v_add_f32_e32 v7, v7, v18
	;; [unrolled: 22-line block ×3, first 2 shown]
	ds_bpermute_b32 v7, v19, v8
	ds_bpermute_b32 v11, v19, v9
	ds_bpermute_b32 v12, v19, v10
	ds_bpermute_b32 v16, v19, v13
	ds_bpermute_b32 v17, v19, v14
	ds_bpermute_b32 v18, v19, v15
	v_xor_b32_e32 v19, 1, v6
	v_cmp_gt_i32_e32 vcc_lo, 32, v19
	v_cndmask_b32_e32 v6, v6, v19, vcc_lo
	v_cmp_eq_u32_e32 vcc_lo, 63, v0
	v_lshlrev_b32_e32 v19, 2, v6
	s_waitcnt lgkmcnt(5)
	v_add_f32_e32 v6, v8, v7
	s_waitcnt lgkmcnt(4)
	v_add_f32_e32 v9, v9, v11
	;; [unrolled: 2-line block ×6, first 2 shown]
	ds_bpermute_b32 v10, v19, v6
	ds_bpermute_b32 v15, v19, v9
	;; [unrolled: 1-line block ×6, first 2 shown]
	s_and_b32 exec_lo, exec_lo, vcc_lo
	s_cbranch_execz .LBB98_21
; %bb.17:
	s_load_dwordx2 s[2:3], s[4:5], 0x38
	v_cmp_eq_f32_e32 vcc_lo, 0, v3
	v_cmp_eq_f32_e64 s0, 0, v4
	s_waitcnt lgkmcnt(0)
	v_add_f32_e32 v0, v6, v10
	v_add_f32_e32 v10, v9, v15
	v_add_f32_e32 v6, v11, v16
	v_add_f32_e32 v9, v12, v17
	v_add_f32_e32 v7, v7, v13
	v_add_f32_e32 v8, v8, v14
	s_and_b32 s0, vcc_lo, s0
	s_and_saveexec_b32 s1, s0
	s_xor_b32 s0, exec_lo, s1
	s_cbranch_execz .LBB98_19
; %bb.18:
	v_lshl_add_u32 v3, v5, 1, v5
	v_mul_f32_e64 v11, v10, -v2
	v_mul_f32_e32 v12, v1, v10
	v_mul_f32_e64 v13, v9, -v2
	v_mul_f32_e32 v14, v1, v9
	v_ashrrev_i32_e32 v4, 31, v3
	v_mul_f32_e64 v9, v8, -v2
	v_mul_f32_e32 v10, v1, v8
	v_fmac_f32_e32 v11, v1, v0
	v_fmac_f32_e32 v12, v2, v0
	v_lshlrev_b64 v[3:4], 3, v[3:4]
	v_fmac_f32_e32 v13, v1, v6
	v_fmac_f32_e32 v14, v2, v6
	;; [unrolled: 1-line block ×4, first 2 shown]
                                        ; implicit-def: $vgpr5
                                        ; implicit-def: $vgpr0
                                        ; implicit-def: $vgpr6
                                        ; implicit-def: $vgpr7
                                        ; implicit-def: $vgpr8
                                        ; implicit-def: $vgpr1_vgpr2
	v_add_co_u32 v3, vcc_lo, s2, v3
	v_add_co_ci_u32_e64 v4, null, s3, v4, vcc_lo
	global_store_dwordx4 v[3:4], v[11:14], off
	global_store_dwordx2 v[3:4], v[9:10], off offset:16
                                        ; implicit-def: $vgpr10
                                        ; implicit-def: $vgpr9
                                        ; implicit-def: $vgpr3_vgpr4
.LBB98_19:
	s_andn2_saveexec_b32 s0, s0
	s_cbranch_execz .LBB98_21
; %bb.20:
	v_lshl_add_u32 v11, v5, 1, v5
	v_mul_f32_e64 v15, v10, -v2
	v_mul_f32_e32 v16, v1, v10
	v_mul_f32_e64 v10, v9, -v2
	v_mul_f32_e32 v18, v1, v9
	v_ashrrev_i32_e32 v12, 31, v11
	v_mul_f32_e64 v9, v8, -v2
	v_mul_f32_e32 v5, v1, v8
	v_fmac_f32_e32 v15, v1, v0
	v_fmac_f32_e32 v16, v2, v0
	v_lshlrev_b64 v[11:12], 3, v[11:12]
	v_fmac_f32_e32 v10, v1, v6
	v_fmac_f32_e32 v18, v2, v6
	;; [unrolled: 1-line block ×4, first 2 shown]
	v_add_co_u32 v19, vcc_lo, s2, v11
	v_add_co_ci_u32_e64 v20, null, s3, v12, vcc_lo
	s_clause 0x1
	global_load_dwordx4 v[11:14], v[19:20], off
	global_load_dwordx2 v[21:22], v[19:20], off offset:16
	s_waitcnt vmcnt(1)
	v_fmac_f32_e32 v15, v3, v11
	v_fmac_f32_e32 v16, v4, v11
	;; [unrolled: 1-line block ×4, first 2 shown]
	s_waitcnt vmcnt(0)
	v_fmac_f32_e32 v9, v3, v21
	v_fmac_f32_e32 v5, v4, v21
	v_fma_f32 v15, -v4, v12, v15
	v_fmac_f32_e32 v16, v3, v12
	v_fma_f32 v17, -v4, v14, v10
	;; [unrolled: 2-line block ×3, first 2 shown]
	v_fmac_f32_e32 v5, v3, v22
	global_store_dwordx4 v[19:20], v[15:18], off
	global_store_dwordx2 v[19:20], v[4:5], off offset:16
.LBB98_21:
	s_endpgm
	.section	.rodata,"a",@progbits
	.p2align	6, 0x0
	.amdhsa_kernel _ZN9rocsparseL19gebsrmvn_3xn_kernelILj128ELj6ELj64E21rocsparse_complex_numIfEEEvi20rocsparse_direction_NS_24const_host_device_scalarIT2_EEPKiS8_PKS5_SA_S6_PS5_21rocsparse_index_base_b
		.amdhsa_group_segment_fixed_size 0
		.amdhsa_private_segment_fixed_size 0
		.amdhsa_kernarg_size 72
		.amdhsa_user_sgpr_count 6
		.amdhsa_user_sgpr_private_segment_buffer 1
		.amdhsa_user_sgpr_dispatch_ptr 0
		.amdhsa_user_sgpr_queue_ptr 0
		.amdhsa_user_sgpr_kernarg_segment_ptr 1
		.amdhsa_user_sgpr_dispatch_id 0
		.amdhsa_user_sgpr_flat_scratch_init 0
		.amdhsa_user_sgpr_private_segment_size 0
		.amdhsa_wavefront_size32 1
		.amdhsa_uses_dynamic_stack 0
		.amdhsa_system_sgpr_private_segment_wavefront_offset 0
		.amdhsa_system_sgpr_workgroup_id_x 1
		.amdhsa_system_sgpr_workgroup_id_y 0
		.amdhsa_system_sgpr_workgroup_id_z 0
		.amdhsa_system_sgpr_workgroup_info 0
		.amdhsa_system_vgpr_workitem_id 0
		.amdhsa_next_free_vgpr 67
		.amdhsa_next_free_sgpr 16
		.amdhsa_reserve_vcc 1
		.amdhsa_reserve_flat_scratch 0
		.amdhsa_float_round_mode_32 0
		.amdhsa_float_round_mode_16_64 0
		.amdhsa_float_denorm_mode_32 3
		.amdhsa_float_denorm_mode_16_64 3
		.amdhsa_dx10_clamp 1
		.amdhsa_ieee_mode 1
		.amdhsa_fp16_overflow 0
		.amdhsa_workgroup_processor_mode 1
		.amdhsa_memory_ordered 1
		.amdhsa_forward_progress 1
		.amdhsa_shared_vgpr_count 0
		.amdhsa_exception_fp_ieee_invalid_op 0
		.amdhsa_exception_fp_denorm_src 0
		.amdhsa_exception_fp_ieee_div_zero 0
		.amdhsa_exception_fp_ieee_overflow 0
		.amdhsa_exception_fp_ieee_underflow 0
		.amdhsa_exception_fp_ieee_inexact 0
		.amdhsa_exception_int_div_zero 0
	.end_amdhsa_kernel
	.section	.text._ZN9rocsparseL19gebsrmvn_3xn_kernelILj128ELj6ELj64E21rocsparse_complex_numIfEEEvi20rocsparse_direction_NS_24const_host_device_scalarIT2_EEPKiS8_PKS5_SA_S6_PS5_21rocsparse_index_base_b,"axG",@progbits,_ZN9rocsparseL19gebsrmvn_3xn_kernelILj128ELj6ELj64E21rocsparse_complex_numIfEEEvi20rocsparse_direction_NS_24const_host_device_scalarIT2_EEPKiS8_PKS5_SA_S6_PS5_21rocsparse_index_base_b,comdat
.Lfunc_end98:
	.size	_ZN9rocsparseL19gebsrmvn_3xn_kernelILj128ELj6ELj64E21rocsparse_complex_numIfEEEvi20rocsparse_direction_NS_24const_host_device_scalarIT2_EEPKiS8_PKS5_SA_S6_PS5_21rocsparse_index_base_b, .Lfunc_end98-_ZN9rocsparseL19gebsrmvn_3xn_kernelILj128ELj6ELj64E21rocsparse_complex_numIfEEEvi20rocsparse_direction_NS_24const_host_device_scalarIT2_EEPKiS8_PKS5_SA_S6_PS5_21rocsparse_index_base_b
                                        ; -- End function
	.set _ZN9rocsparseL19gebsrmvn_3xn_kernelILj128ELj6ELj64E21rocsparse_complex_numIfEEEvi20rocsparse_direction_NS_24const_host_device_scalarIT2_EEPKiS8_PKS5_SA_S6_PS5_21rocsparse_index_base_b.num_vgpr, 67
	.set _ZN9rocsparseL19gebsrmvn_3xn_kernelILj128ELj6ELj64E21rocsparse_complex_numIfEEEvi20rocsparse_direction_NS_24const_host_device_scalarIT2_EEPKiS8_PKS5_SA_S6_PS5_21rocsparse_index_base_b.num_agpr, 0
	.set _ZN9rocsparseL19gebsrmvn_3xn_kernelILj128ELj6ELj64E21rocsparse_complex_numIfEEEvi20rocsparse_direction_NS_24const_host_device_scalarIT2_EEPKiS8_PKS5_SA_S6_PS5_21rocsparse_index_base_b.numbered_sgpr, 16
	.set _ZN9rocsparseL19gebsrmvn_3xn_kernelILj128ELj6ELj64E21rocsparse_complex_numIfEEEvi20rocsparse_direction_NS_24const_host_device_scalarIT2_EEPKiS8_PKS5_SA_S6_PS5_21rocsparse_index_base_b.num_named_barrier, 0
	.set _ZN9rocsparseL19gebsrmvn_3xn_kernelILj128ELj6ELj64E21rocsparse_complex_numIfEEEvi20rocsparse_direction_NS_24const_host_device_scalarIT2_EEPKiS8_PKS5_SA_S6_PS5_21rocsparse_index_base_b.private_seg_size, 0
	.set _ZN9rocsparseL19gebsrmvn_3xn_kernelILj128ELj6ELj64E21rocsparse_complex_numIfEEEvi20rocsparse_direction_NS_24const_host_device_scalarIT2_EEPKiS8_PKS5_SA_S6_PS5_21rocsparse_index_base_b.uses_vcc, 1
	.set _ZN9rocsparseL19gebsrmvn_3xn_kernelILj128ELj6ELj64E21rocsparse_complex_numIfEEEvi20rocsparse_direction_NS_24const_host_device_scalarIT2_EEPKiS8_PKS5_SA_S6_PS5_21rocsparse_index_base_b.uses_flat_scratch, 0
	.set _ZN9rocsparseL19gebsrmvn_3xn_kernelILj128ELj6ELj64E21rocsparse_complex_numIfEEEvi20rocsparse_direction_NS_24const_host_device_scalarIT2_EEPKiS8_PKS5_SA_S6_PS5_21rocsparse_index_base_b.has_dyn_sized_stack, 0
	.set _ZN9rocsparseL19gebsrmvn_3xn_kernelILj128ELj6ELj64E21rocsparse_complex_numIfEEEvi20rocsparse_direction_NS_24const_host_device_scalarIT2_EEPKiS8_PKS5_SA_S6_PS5_21rocsparse_index_base_b.has_recursion, 0
	.set _ZN9rocsparseL19gebsrmvn_3xn_kernelILj128ELj6ELj64E21rocsparse_complex_numIfEEEvi20rocsparse_direction_NS_24const_host_device_scalarIT2_EEPKiS8_PKS5_SA_S6_PS5_21rocsparse_index_base_b.has_indirect_call, 0
	.section	.AMDGPU.csdata,"",@progbits
; Kernel info:
; codeLenInByte = 3944
; TotalNumSgprs: 18
; NumVgprs: 67
; ScratchSize: 0
; MemoryBound: 0
; FloatMode: 240
; IeeeMode: 1
; LDSByteSize: 0 bytes/workgroup (compile time only)
; SGPRBlocks: 0
; VGPRBlocks: 8
; NumSGPRsForWavesPerEU: 18
; NumVGPRsForWavesPerEU: 67
; Occupancy: 12
; WaveLimiterHint : 1
; COMPUTE_PGM_RSRC2:SCRATCH_EN: 0
; COMPUTE_PGM_RSRC2:USER_SGPR: 6
; COMPUTE_PGM_RSRC2:TRAP_HANDLER: 0
; COMPUTE_PGM_RSRC2:TGID_X_EN: 1
; COMPUTE_PGM_RSRC2:TGID_Y_EN: 0
; COMPUTE_PGM_RSRC2:TGID_Z_EN: 0
; COMPUTE_PGM_RSRC2:TIDIG_COMP_CNT: 0
	.section	.text._ZN9rocsparseL19gebsrmvn_3xn_kernelILj128ELj7ELj4E21rocsparse_complex_numIfEEEvi20rocsparse_direction_NS_24const_host_device_scalarIT2_EEPKiS8_PKS5_SA_S6_PS5_21rocsparse_index_base_b,"axG",@progbits,_ZN9rocsparseL19gebsrmvn_3xn_kernelILj128ELj7ELj4E21rocsparse_complex_numIfEEEvi20rocsparse_direction_NS_24const_host_device_scalarIT2_EEPKiS8_PKS5_SA_S6_PS5_21rocsparse_index_base_b,comdat
	.globl	_ZN9rocsparseL19gebsrmvn_3xn_kernelILj128ELj7ELj4E21rocsparse_complex_numIfEEEvi20rocsparse_direction_NS_24const_host_device_scalarIT2_EEPKiS8_PKS5_SA_S6_PS5_21rocsparse_index_base_b ; -- Begin function _ZN9rocsparseL19gebsrmvn_3xn_kernelILj128ELj7ELj4E21rocsparse_complex_numIfEEEvi20rocsparse_direction_NS_24const_host_device_scalarIT2_EEPKiS8_PKS5_SA_S6_PS5_21rocsparse_index_base_b
	.p2align	8
	.type	_ZN9rocsparseL19gebsrmvn_3xn_kernelILj128ELj7ELj4E21rocsparse_complex_numIfEEEvi20rocsparse_direction_NS_24const_host_device_scalarIT2_EEPKiS8_PKS5_SA_S6_PS5_21rocsparse_index_base_b,@function
_ZN9rocsparseL19gebsrmvn_3xn_kernelILj128ELj7ELj4E21rocsparse_complex_numIfEEEvi20rocsparse_direction_NS_24const_host_device_scalarIT2_EEPKiS8_PKS5_SA_S6_PS5_21rocsparse_index_base_b: ; @_ZN9rocsparseL19gebsrmvn_3xn_kernelILj128ELj7ELj4E21rocsparse_complex_numIfEEEvi20rocsparse_direction_NS_24const_host_device_scalarIT2_EEPKiS8_PKS5_SA_S6_PS5_21rocsparse_index_base_b
; %bb.0:
	s_clause 0x2
	s_load_dwordx2 s[2:3], s[4:5], 0x40
	s_load_dwordx2 s[0:1], s[4:5], 0x8
	;; [unrolled: 1-line block ×3, first 2 shown]
	s_add_u32 s7, s4, 8
	s_addc_u32 s10, s5, 0
	s_add_u32 s11, s4, 48
	s_addc_u32 s12, s5, 0
	s_waitcnt lgkmcnt(0)
	s_bitcmp1_b32 s3, 0
	s_cselect_b32 s0, s7, s0
	s_cselect_b32 s1, s10, s1
	v_mov_b32_e32 v1, s0
	v_mov_b32_e32 v2, s1
	s_cselect_b32 s0, s11, s8
	s_cselect_b32 s1, s12, s9
	v_mov_b32_e32 v3, s0
	v_mov_b32_e32 v4, s1
	flat_load_dwordx2 v[1:2], v[1:2]
	flat_load_dwordx2 v[3:4], v[3:4]
	s_waitcnt vmcnt(1) lgkmcnt(1)
	v_cmp_eq_f32_e32 vcc_lo, 0, v1
	v_cmp_eq_f32_e64 s0, 0, v2
	s_and_b32 s3, vcc_lo, s0
	s_mov_b32 s0, -1
	s_and_saveexec_b32 s1, s3
	s_cbranch_execz .LBB99_2
; %bb.1:
	s_waitcnt vmcnt(0) lgkmcnt(0)
	v_cmp_neq_f32_e32 vcc_lo, 1.0, v3
	v_cmp_neq_f32_e64 s0, 0, v4
	s_or_b32 s0, vcc_lo, s0
	s_orn2_b32 s0, s0, exec_lo
.LBB99_2:
	s_or_b32 exec_lo, exec_lo, s1
	s_and_saveexec_b32 s1, s0
	s_cbranch_execz .LBB99_21
; %bb.3:
	s_load_dwordx2 s[0:1], s[4:5], 0x0
	v_lshrrev_b32_e32 v5, 2, v0
	v_lshl_or_b32 v5, s6, 5, v5
	s_waitcnt lgkmcnt(0)
	v_cmp_gt_i32_e32 vcc_lo, s0, v5
	s_and_b32 exec_lo, exec_lo, vcc_lo
	s_cbranch_execz .LBB99_21
; %bb.4:
	s_load_dwordx8 s[8:15], s[4:5], 0x10
	v_ashrrev_i32_e32 v6, 31, v5
	v_and_b32_e32 v0, 3, v0
	s_cmp_lg_u32 s1, 0
	v_lshlrev_b64 v[6:7], 2, v[5:6]
	s_waitcnt lgkmcnt(0)
	v_add_co_u32 v6, vcc_lo, s8, v6
	v_add_co_ci_u32_e64 v7, null, s9, v7, vcc_lo
	global_load_dwordx2 v[6:7], v[6:7], off
	s_waitcnt vmcnt(0)
	v_subrev_nc_u32_e32 v6, s2, v6
	v_subrev_nc_u32_e32 v17, s2, v7
	v_add_nc_u32_e32 v6, v6, v0
	v_cmp_lt_i32_e64 s0, v6, v17
	s_cbranch_scc0 .LBB99_10
; %bb.5:
	v_mov_b32_e32 v14, 0
	v_mov_b32_e32 v19, 0
	;; [unrolled: 1-line block ×6, first 2 shown]
	s_and_saveexec_b32 s1, s0
	s_cbranch_execz .LBB99_9
; %bb.6:
	v_mad_u64_u32 v[7:8], null, v6, 21, 20
	v_mov_b32_e32 v10, 0
	v_mov_b32_e32 v11, v6
	;; [unrolled: 1-line block ×8, first 2 shown]
	s_mov_b32 s3, 0
.LBB99_7:                               ; =>This Inner Loop Header: Depth=1
	v_ashrrev_i32_e32 v12, 31, v11
	v_mov_b32_e32 v13, v10
	v_lshlrev_b64 v[8:9], 2, v[11:12]
	v_add_nc_u32_e32 v11, 4, v11
	v_add_co_u32 v8, vcc_lo, s10, v8
	v_add_co_ci_u32_e64 v9, null, s11, v9, vcc_lo
	global_load_dword v12, v[8:9], off
	v_subrev_nc_u32_e32 v9, 20, v7
	v_mov_b32_e32 v8, v10
	v_lshlrev_b64 v[21:22], 3, v[9:10]
	v_subrev_nc_u32_e32 v9, 19, v7
	v_lshlrev_b64 v[23:24], 3, v[7:8]
	v_lshlrev_b64 v[25:26], 3, v[9:10]
	v_subrev_nc_u32_e32 v9, 18, v7
	v_add_co_u32 v21, vcc_lo, s12, v21
	v_add_co_ci_u32_e64 v22, null, s13, v22, vcc_lo
	v_lshlrev_b64 v[27:28], 3, v[9:10]
	v_subrev_nc_u32_e32 v9, 17, v7
	v_add_co_u32 v23, vcc_lo, s12, v23
	v_add_co_ci_u32_e64 v24, null, s13, v24, vcc_lo
	v_lshlrev_b64 v[8:9], 3, v[9:10]
	v_add_co_u32 v25, vcc_lo, s12, v25
	v_add_co_ci_u32_e64 v26, null, s13, v26, vcc_lo
	v_add_co_u32 v27, vcc_lo, s12, v27
	v_add_co_ci_u32_e64 v28, null, s13, v28, vcc_lo
	;; [unrolled: 2-line block ×3, first 2 shown]
	s_clause 0x3
	global_load_dwordx2 v[21:22], v[21:22], off
	global_load_dwordx2 v[25:26], v[25:26], off
	;; [unrolled: 1-line block ×4, first 2 shown]
	s_waitcnt vmcnt(4)
	v_subrev_nc_u32_e32 v8, s2, v12
	v_mul_lo_u32 v12, v8, 7
	v_add_nc_u32_e32 v9, 1, v12
	v_lshlrev_b64 v[31:32], 3, v[12:13]
	v_lshlrev_b64 v[33:34], 3, v[9:10]
	v_add_nc_u32_e32 v9, -16, v7
	v_add_co_u32 v31, vcc_lo, s14, v31
	v_add_co_ci_u32_e64 v32, null, s15, v32, vcc_lo
	v_lshlrev_b64 v[35:36], 3, v[9:10]
	v_add_nc_u32_e32 v9, -15, v7
	v_add_co_u32 v33, vcc_lo, s14, v33
	global_load_dwordx2 v[31:32], v[31:32], off
	v_add_co_ci_u32_e64 v34, null, s15, v34, vcc_lo
	v_lshlrev_b64 v[37:38], 3, v[9:10]
	v_add_nc_u32_e32 v9, -14, v7
	v_add_co_u32 v35, vcc_lo, s12, v35
	v_add_co_ci_u32_e64 v36, null, s13, v36, vcc_lo
	v_lshlrev_b64 v[39:40], 3, v[9:10]
	v_add_nc_u32_e32 v9, 2, v12
	v_add_co_u32 v37, vcc_lo, s12, v37
	v_add_co_ci_u32_e64 v38, null, s13, v38, vcc_lo
	v_lshlrev_b64 v[41:42], 3, v[9:10]
	v_add_nc_u32_e32 v9, -13, v7
	v_add_co_u32 v39, vcc_lo, s12, v39
	v_add_co_ci_u32_e64 v40, null, s13, v40, vcc_lo
	v_lshlrev_b64 v[43:44], 3, v[9:10]
	v_add_nc_u32_e32 v9, -12, v7
	v_add_co_u32 v41, vcc_lo, s14, v41
	global_load_dwordx2 v[33:34], v[33:34], off
	s_clause 0x2
	global_load_dwordx2 v[35:36], v[35:36], off
	global_load_dwordx2 v[37:38], v[37:38], off
	;; [unrolled: 1-line block ×3, first 2 shown]
	v_lshlrev_b64 v[45:46], 3, v[9:10]
	v_add_nc_u32_e32 v9, -11, v7
	v_add_co_ci_u32_e64 v42, null, s15, v42, vcc_lo
	v_add_co_u32 v43, vcc_lo, s12, v43
	v_lshlrev_b64 v[47:48], 3, v[9:10]
	v_add_nc_u32_e32 v9, 3, v12
	v_add_co_ci_u32_e64 v44, null, s13, v44, vcc_lo
	v_add_co_u32 v45, vcc_lo, s12, v45
	v_lshlrev_b64 v[49:50], 3, v[9:10]
	v_add_nc_u32_e32 v9, -10, v7
	v_add_co_ci_u32_e64 v46, null, s13, v46, vcc_lo
	v_add_co_u32 v47, vcc_lo, s12, v47
	v_lshlrev_b64 v[51:52], 3, v[9:10]
	v_add_nc_u32_e32 v9, -9, v7
	;; [unrolled: 4-line block ×3, first 2 shown]
	v_add_co_ci_u32_e64 v50, null, s15, v50, vcc_lo
	v_add_co_u32 v51, vcc_lo, s12, v51
	v_lshlrev_b64 v[55:56], 3, v[9:10]
	v_add_nc_u32_e32 v9, 4, v12
	global_load_dwordx2 v[41:42], v[41:42], off
	s_clause 0x2
	global_load_dwordx2 v[43:44], v[43:44], off
	global_load_dwordx2 v[45:46], v[45:46], off
	global_load_dwordx2 v[47:48], v[47:48], off
	v_lshlrev_b64 v[57:58], 3, v[9:10]
	v_add_nc_u32_e32 v9, -7, v7
	v_add_co_ci_u32_e64 v52, null, s13, v52, vcc_lo
	v_add_co_u32 v53, vcc_lo, s12, v53
	v_lshlrev_b64 v[59:60], 3, v[9:10]
	v_add_nc_u32_e32 v9, -6, v7
	v_add_co_ci_u32_e64 v54, null, s13, v54, vcc_lo
	v_add_co_u32 v55, vcc_lo, s12, v55
	;; [unrolled: 4-line block ×3, first 2 shown]
	v_lshlrev_b64 v[63:64], 3, v[9:10]
	v_add_nc_u32_e32 v9, 5, v12
	v_add_co_ci_u32_e64 v58, null, s15, v58, vcc_lo
	v_add_co_u32 v59, vcc_lo, s12, v59
	v_lshlrev_b64 v[65:66], 3, v[9:10]
	v_add_nc_u32_e32 v9, -4, v7
	v_add_co_ci_u32_e64 v60, null, s13, v60, vcc_lo
	v_add_co_u32 v61, vcc_lo, s12, v61
	v_lshlrev_b64 v[67:68], 3, v[9:10]
	v_add_nc_u32_e32 v9, -3, v7
	global_load_dwordx2 v[49:50], v[49:50], off
	s_clause 0x2
	global_load_dwordx2 v[51:52], v[51:52], off
	global_load_dwordx2 v[53:54], v[53:54], off
	;; [unrolled: 1-line block ×3, first 2 shown]
	v_add_co_ci_u32_e64 v62, null, s13, v62, vcc_lo
	v_add_co_u32 v63, vcc_lo, s12, v63
	v_add_co_ci_u32_e64 v64, null, s13, v64, vcc_lo
	v_add_co_u32 v65, vcc_lo, s14, v65
	v_lshlrev_b64 v[69:70], 3, v[9:10]
	v_add_nc_u32_e32 v9, -2, v7
	v_add_co_ci_u32_e64 v66, null, s15, v66, vcc_lo
	v_add_co_u32 v67, vcc_lo, s12, v67
	v_add_co_ci_u32_e64 v68, null, s13, v68, vcc_lo
	v_lshlrev_b64 v[71:72], 3, v[9:10]
	v_add_nc_u32_e32 v9, 6, v12
	global_load_dwordx2 v[57:58], v[57:58], off
	s_clause 0x3
	global_load_dwordx2 v[59:60], v[59:60], off
	global_load_dwordx2 v[61:62], v[61:62], off
	;; [unrolled: 1-line block ×4, first 2 shown]
	v_add_co_u32 v67, vcc_lo, s12, v69
	v_add_co_ci_u32_e64 v68, null, s13, v70, vcc_lo
	v_lshlrev_b64 v[69:70], 3, v[9:10]
	v_add_nc_u32_e32 v9, -1, v7
	global_load_dwordx2 v[65:66], v[65:66], off
	v_add_co_u32 v71, vcc_lo, s12, v71
	global_load_dwordx2 v[67:68], v[67:68], off
	v_lshlrev_b64 v[8:9], 3, v[9:10]
	v_add_co_ci_u32_e64 v72, null, s13, v72, vcc_lo
	v_add_co_u32 v69, vcc_lo, s14, v69
	v_add_co_ci_u32_e64 v70, null, s15, v70, vcc_lo
	v_add_co_u32 v8, vcc_lo, s12, v8
	v_add_co_ci_u32_e64 v9, null, s13, v9, vcc_lo
	global_load_dwordx2 v[71:72], v[71:72], off
	global_load_dwordx2 v[69:70], v[69:70], off
	s_clause 0x1
	global_load_dwordx2 v[8:9], v[8:9], off
	global_load_dwordx2 v[23:24], v[23:24], off
	v_cmp_ge_i32_e32 vcc_lo, v11, v17
	v_add_nc_u32_e32 v7, 0x54, v7
	s_or_b32 s3, vcc_lo, s3
	s_waitcnt vmcnt(23)
	v_fmac_f32_e32 v19, v21, v31
	v_fmac_f32_e32 v14, v22, v31
	;; [unrolled: 1-line block ×6, first 2 shown]
	v_fma_f32 v19, -v22, v32, v19
	v_fmac_f32_e32 v14, v21, v32
	v_fma_f32 v20, -v26, v32, v20
	v_fmac_f32_e32 v16, v25, v32
	v_fma_f32 v18, -v28, v32, v18
	v_fmac_f32_e32 v15, v27, v32
	s_waitcnt vmcnt(22)
	v_fmac_f32_e32 v19, v29, v33
	v_fmac_f32_e32 v14, v30, v33
	s_waitcnt vmcnt(21)
	v_fmac_f32_e32 v20, v35, v33
	v_fmac_f32_e32 v16, v36, v33
	s_waitcnt vmcnt(20)
	v_fmac_f32_e32 v18, v37, v33
	v_fmac_f32_e32 v15, v38, v33
	v_fma_f32 v19, -v30, v34, v19
	v_fmac_f32_e32 v14, v29, v34
	v_fma_f32 v20, -v36, v34, v20
	v_fmac_f32_e32 v16, v35, v34
	v_fma_f32 v18, -v38, v34, v18
	v_fmac_f32_e32 v15, v37, v34
	s_waitcnt vmcnt(18)
	v_fmac_f32_e32 v19, v39, v41
	v_fmac_f32_e32 v14, v40, v41
	s_waitcnt vmcnt(17)
	v_fmac_f32_e32 v20, v43, v41
	v_fmac_f32_e32 v16, v44, v41
	s_waitcnt vmcnt(16)
	v_fmac_f32_e32 v18, v45, v41
	v_fmac_f32_e32 v15, v46, v41
	;; [unrolled: 15-line block ×4, first 2 shown]
	v_fma_f32 v19, -v56, v58, v19
	v_fmac_f32_e32 v14, v55, v58
	v_fma_f32 v20, -v60, v58, v20
	v_fmac_f32_e32 v16, v59, v58
	;; [unrolled: 2-line block ×3, first 2 shown]
	s_waitcnt vmcnt(5)
	v_fmac_f32_e32 v19, v63, v65
	v_fmac_f32_e32 v14, v64, v65
	;; [unrolled: 1-line block ×4, first 2 shown]
	s_waitcnt vmcnt(4)
	v_fmac_f32_e32 v18, v67, v65
	v_fmac_f32_e32 v15, v68, v65
	v_fma_f32 v19, -v64, v66, v19
	v_fmac_f32_e32 v14, v63, v66
	v_fma_f32 v13, -v13, v66, v20
	;; [unrolled: 2-line block ×3, first 2 shown]
	v_fmac_f32_e32 v15, v67, v66
	s_waitcnt vmcnt(2)
	v_fmac_f32_e32 v19, v71, v69
	v_fmac_f32_e32 v14, v72, v69
	s_waitcnt vmcnt(1)
	v_fmac_f32_e32 v13, v8, v69
	v_fmac_f32_e32 v16, v9, v69
	s_waitcnt vmcnt(0)
	v_fmac_f32_e32 v12, v23, v69
	v_fmac_f32_e32 v15, v24, v69
	v_fma_f32 v19, -v72, v70, v19
	v_fmac_f32_e32 v14, v71, v70
	v_fma_f32 v20, -v9, v70, v13
	;; [unrolled: 2-line block ×3, first 2 shown]
	v_fmac_f32_e32 v15, v23, v70
	s_andn2_b32 exec_lo, exec_lo, s3
	s_cbranch_execnz .LBB99_7
; %bb.8:
	s_or_b32 exec_lo, exec_lo, s3
.LBB99_9:
	s_or_b32 exec_lo, exec_lo, s1
	s_cbranch_execz .LBB99_11
	s_branch .LBB99_16
.LBB99_10:
                                        ; implicit-def: $vgpr14
                                        ; implicit-def: $vgpr19
                                        ; implicit-def: $vgpr18
                                        ; implicit-def: $vgpr15
                                        ; implicit-def: $vgpr20
                                        ; implicit-def: $vgpr16
.LBB99_11:
	v_mov_b32_e32 v14, 0
	v_mov_b32_e32 v19, 0
	;; [unrolled: 1-line block ×6, first 2 shown]
	s_and_saveexec_b32 s1, s0
	s_cbranch_execz .LBB99_15
; %bb.12:
	v_mad_u64_u32 v[8:9], null, v6, 21, 20
	v_mov_b32_e32 v11, 0
	v_mov_b32_e32 v14, 0
	;; [unrolled: 1-line block ×7, first 2 shown]
	s_mov_b32 s0, 0
.LBB99_13:                              ; =>This Inner Loop Header: Depth=1
	v_ashrrev_i32_e32 v7, 31, v6
	v_subrev_nc_u32_e32 v10, 20, v8
	v_add_nc_u32_e32 v21, -13, v8
	v_mov_b32_e32 v22, v11
	v_add_nc_u32_e32 v23, -6, v8
	v_lshlrev_b64 v[27:28], 2, v[6:7]
	v_mov_b32_e32 v24, v11
	v_lshlrev_b64 v[25:26], 3, v[10:11]
	v_mov_b32_e32 v9, v11
	v_lshlrev_b64 v[21:22], 3, v[21:22]
	v_subrev_nc_u32_e32 v10, 19, v8
	v_add_co_u32 v27, vcc_lo, s10, v27
	v_add_co_ci_u32_e64 v28, null, s11, v28, vcc_lo
	v_lshlrev_b64 v[23:24], 3, v[23:24]
	v_lshlrev_b64 v[29:30], 3, v[8:9]
	v_add_co_u32 v25, vcc_lo, s12, v25
	global_load_dword v7, v[27:28], off
	v_lshlrev_b64 v[9:10], 3, v[10:11]
	v_add_co_ci_u32_e64 v26, null, s13, v26, vcc_lo
	v_add_co_u32 v21, vcc_lo, s12, v21
	v_add_co_ci_u32_e64 v22, null, s13, v22, vcc_lo
	v_add_co_u32 v23, vcc_lo, s12, v23
	;; [unrolled: 2-line block ×4, first 2 shown]
	v_add_co_ci_u32_e64 v28, null, s13, v10, vcc_lo
	v_mov_b32_e32 v13, v11
	v_add_nc_u32_e32 v6, 4, v6
	s_waitcnt vmcnt(0)
	v_subrev_nc_u32_e32 v7, s2, v7
	v_mul_lo_u32 v12, v7, 7
	v_add_nc_u32_e32 v10, 1, v12
	v_lshlrev_b64 v[31:32], 3, v[12:13]
	v_lshlrev_b64 v[33:34], 3, v[10:11]
	v_add_nc_u32_e32 v10, -12, v8
	v_add_co_u32 v31, vcc_lo, s14, v31
	v_add_co_ci_u32_e64 v32, null, s15, v32, vcc_lo
	v_lshlrev_b64 v[35:36], 3, v[10:11]
	v_add_nc_u32_e32 v10, -5, v8
	v_add_co_u32 v33, vcc_lo, s14, v33
	v_add_co_ci_u32_e64 v34, null, s15, v34, vcc_lo
	v_lshlrev_b64 v[37:38], 3, v[10:11]
	v_subrev_nc_u32_e32 v10, 18, v8
	v_add_co_u32 v35, vcc_lo, s12, v35
	v_add_co_ci_u32_e64 v36, null, s13, v36, vcc_lo
	v_lshlrev_b64 v[39:40], 3, v[10:11]
	v_add_nc_u32_e32 v10, 2, v12
	v_add_co_u32 v37, vcc_lo, s12, v37
	v_add_co_ci_u32_e64 v38, null, s13, v38, vcc_lo
	v_lshlrev_b64 v[41:42], 3, v[10:11]
	v_add_nc_u32_e32 v10, -11, v8
	v_add_co_u32 v39, vcc_lo, s12, v39
	v_add_co_ci_u32_e64 v40, null, s13, v40, vcc_lo
	v_lshlrev_b64 v[43:44], 3, v[10:11]
	v_add_nc_u32_e32 v10, -4, v8
	v_add_co_u32 v41, vcc_lo, s14, v41
	v_add_co_ci_u32_e64 v42, null, s15, v42, vcc_lo
	v_lshlrev_b64 v[45:46], 3, v[10:11]
	v_subrev_nc_u32_e32 v10, 17, v8
	v_add_co_u32 v43, vcc_lo, s12, v43
	v_add_co_ci_u32_e64 v44, null, s13, v44, vcc_lo
	v_lshlrev_b64 v[47:48], 3, v[10:11]
	v_add_nc_u32_e32 v10, 3, v12
	v_add_co_u32 v45, vcc_lo, s12, v45
	v_add_co_ci_u32_e64 v46, null, s13, v46, vcc_lo
	v_lshlrev_b64 v[49:50], 3, v[10:11]
	v_add_nc_u32_e32 v10, -10, v8
	v_add_co_u32 v47, vcc_lo, s12, v47
	v_add_co_ci_u32_e64 v48, null, s13, v48, vcc_lo
	v_lshlrev_b64 v[51:52], 3, v[10:11]
	v_add_nc_u32_e32 v10, -3, v8
	;; [unrolled: 4-line block ×3, first 2 shown]
	v_add_co_u32 v51, vcc_lo, s12, v51
	v_add_co_ci_u32_e64 v52, null, s13, v52, vcc_lo
	v_lshlrev_b64 v[55:56], 3, v[10:11]
	v_add_nc_u32_e32 v10, 4, v12
	v_add_co_u32 v53, vcc_lo, s12, v53
	v_add_co_ci_u32_e64 v54, null, s13, v54, vcc_lo
	v_lshlrev_b64 v[57:58], 3, v[10:11]
	v_add_nc_u32_e32 v10, -9, v8
	v_add_co_u32 v55, vcc_lo, s12, v55
	v_add_co_ci_u32_e64 v56, null, s13, v56, vcc_lo
	v_lshlrev_b64 v[59:60], 3, v[10:11]
	v_add_nc_u32_e32 v10, -2, v8
	;; [unrolled: 4-line block ×3, first 2 shown]
	v_add_co_u32 v59, vcc_lo, s12, v59
	v_add_co_ci_u32_e64 v60, null, s13, v60, vcc_lo
	v_lshlrev_b64 v[9:10], 3, v[10:11]
	v_add_co_u32 v61, vcc_lo, s12, v61
	v_add_co_ci_u32_e64 v62, null, s13, v62, vcc_lo
	v_add_co_u32 v63, vcc_lo, s12, v9
	v_add_co_ci_u32_e64 v64, null, s13, v10, vcc_lo
	v_add_nc_u32_e32 v10, 5, v12
	v_lshlrev_b64 v[9:10], 3, v[10:11]
	v_add_co_u32 v65, vcc_lo, s14, v9
	v_add_co_ci_u32_e64 v66, null, s15, v10, vcc_lo
	global_load_dwordx2 v[9:10], v[25:26], off
	global_load_dwordx2 v[25:26], v[31:32], off
	s_clause 0x2
	global_load_dwordx2 v[21:22], v[21:22], off
	global_load_dwordx2 v[23:24], v[23:24], off
	;; [unrolled: 1-line block ×3, first 2 shown]
	s_waitcnt vmcnt(3)
	v_fmac_f32_e32 v19, v9, v25
	v_fmac_f32_e32 v14, v10, v25
	s_waitcnt vmcnt(2)
	v_fmac_f32_e32 v20, v21, v25
	v_fmac_f32_e32 v16, v22, v25
	s_waitcnt vmcnt(1)
	v_fmac_f32_e32 v18, v23, v25
	v_fma_f32 v7, -v10, v26, v19
	v_add_nc_u32_e32 v10, -8, v8
	v_fma_f32 v67, -v22, v26, v20
	v_fmac_f32_e32 v16, v21, v26
	v_fmac_f32_e32 v15, v24, v25
	v_fma_f32 v68, -v24, v26, v18
	v_lshlrev_b64 v[19:20], 3, v[10:11]
	v_add_nc_u32_e32 v10, -1, v8
	v_fmac_f32_e32 v14, v9, v26
	v_fmac_f32_e32 v15, v23, v26
	v_lshlrev_b64 v[21:22], 3, v[10:11]
	v_add_nc_u32_e32 v10, -14, v8
	v_add_co_u32 v18, vcc_lo, s12, v19
	v_add_co_ci_u32_e64 v19, null, s13, v20, vcc_lo
	v_lshlrev_b64 v[23:24], 3, v[10:11]
	v_add_nc_u32_e32 v10, 6, v12
	v_add_co_u32 v12, vcc_lo, s12, v21
	v_add_co_ci_u32_e64 v13, null, s13, v22, vcc_lo
	v_add_co_u32 v20, vcc_lo, s12, v23
	v_add_co_ci_u32_e64 v21, null, s13, v24, vcc_lo
	global_load_dwordx2 v[24:25], v[33:34], off
	v_lshlrev_b64 v[9:10], 3, v[10:11]
	v_add_co_u32 v22, vcc_lo, s14, v9
	v_add_co_ci_u32_e64 v23, null, s15, v10, vcc_lo
	v_add_nc_u32_e32 v10, -7, v8
	v_add_nc_u32_e32 v8, 0x54, v8
	v_lshlrev_b64 v[9:10], 3, v[10:11]
	v_add_co_u32 v9, vcc_lo, s12, v9
	v_add_co_ci_u32_e64 v10, null, s13, v10, vcc_lo
	v_cmp_ge_i32_e32 vcc_lo, v6, v17
	s_or_b32 s0, vcc_lo, s0
	s_waitcnt vmcnt(0)
	v_fmac_f32_e32 v7, v27, v24
	v_fmac_f32_e32 v14, v28, v24
	v_fma_f32 v7, -v28, v25, v7
	v_fmac_f32_e32 v14, v27, v25
	s_clause 0x2
	global_load_dwordx2 v[26:27], v[35:36], off
	global_load_dwordx2 v[31:32], v[37:38], off
	global_load_dwordx2 v[33:34], v[39:40], off
	global_load_dwordx2 v[35:36], v[41:42], off
	s_clause 0x2
	global_load_dwordx2 v[37:38], v[43:44], off
	global_load_dwordx2 v[39:40], v[45:46], off
	global_load_dwordx2 v[41:42], v[47:48], off
	global_load_dwordx2 v[43:44], v[49:50], off
	;; [unrolled: 5-line block ×5, first 2 shown]
	global_load_dwordx2 v[22:23], v[22:23], off
	global_load_dwordx2 v[9:10], v[9:10], off
	s_waitcnt vmcnt(21)
	v_fmac_f32_e32 v67, v26, v24
	v_fmac_f32_e32 v16, v27, v24
	s_waitcnt vmcnt(20)
	v_fmac_f32_e32 v68, v31, v24
	v_fmac_f32_e32 v15, v32, v24
	s_waitcnt vmcnt(18)
	v_fmac_f32_e32 v7, v33, v35
	v_fma_f32 v24, -v27, v25, v67
	v_fmac_f32_e32 v16, v26, v25
	v_fma_f32 v26, -v32, v25, v68
	v_fmac_f32_e32 v15, v31, v25
	v_fmac_f32_e32 v14, v34, v35
	s_waitcnt vmcnt(17)
	v_fmac_f32_e32 v24, v37, v35
	v_fmac_f32_e32 v16, v38, v35
	s_waitcnt vmcnt(16)
	v_fmac_f32_e32 v26, v39, v35
	v_fmac_f32_e32 v15, v40, v35
	v_fma_f32 v7, -v34, v36, v7
	v_fmac_f32_e32 v14, v33, v36
	v_fma_f32 v24, -v38, v36, v24
	v_fmac_f32_e32 v16, v37, v36
	v_fma_f32 v25, -v40, v36, v26
	v_fmac_f32_e32 v15, v39, v36
	s_waitcnt vmcnt(14)
	v_fmac_f32_e32 v7, v41, v43
	v_fmac_f32_e32 v14, v42, v43
	s_waitcnt vmcnt(13)
	v_fmac_f32_e32 v24, v45, v43
	v_fmac_f32_e32 v16, v46, v43
	s_waitcnt vmcnt(12)
	v_fmac_f32_e32 v25, v47, v43
	v_fmac_f32_e32 v15, v48, v43
	v_fma_f32 v7, -v42, v44, v7
	v_fmac_f32_e32 v14, v41, v44
	v_fma_f32 v24, -v46, v44, v24
	v_fmac_f32_e32 v16, v45, v44
	v_fma_f32 v25, -v48, v44, v25
	v_fmac_f32_e32 v15, v47, v44
	s_waitcnt vmcnt(10)
	;; [unrolled: 15-line block ×4, first 2 shown]
	v_fmac_f32_e32 v7, v20, v22
	v_fmac_f32_e32 v14, v21, v22
	s_waitcnt vmcnt(0)
	v_fmac_f32_e32 v24, v9, v22
	v_fmac_f32_e32 v13, v28, v22
	;; [unrolled: 1-line block ×4, first 2 shown]
	v_fma_f32 v19, -v21, v23, v7
	v_fmac_f32_e32 v14, v20, v23
	v_fma_f32 v18, -v29, v23, v13
	v_fmac_f32_e32 v15, v28, v23
	;; [unrolled: 2-line block ×3, first 2 shown]
	s_andn2_b32 exec_lo, exec_lo, s0
	s_cbranch_execnz .LBB99_13
; %bb.14:
	s_or_b32 exec_lo, exec_lo, s0
.LBB99_15:
	s_or_b32 exec_lo, exec_lo, s1
.LBB99_16:
	v_mbcnt_lo_u32_b32 v6, -1, 0
	v_xor_b32_e32 v7, 2, v6
	v_cmp_gt_i32_e32 vcc_lo, 32, v7
	v_cndmask_b32_e32 v7, v6, v7, vcc_lo
	v_lshlrev_b32_e32 v7, 2, v7
	ds_bpermute_b32 v8, v7, v19
	ds_bpermute_b32 v9, v7, v14
	;; [unrolled: 1-line block ×6, first 2 shown]
	v_xor_b32_e32 v7, 1, v6
	v_cmp_gt_i32_e32 vcc_lo, 32, v7
	v_cndmask_b32_e32 v6, v6, v7, vcc_lo
	v_cmp_eq_u32_e32 vcc_lo, 3, v0
	v_lshlrev_b32_e32 v21, 2, v6
	s_waitcnt lgkmcnt(5)
	v_add_f32_e32 v6, v19, v8
	s_waitcnt lgkmcnt(4)
	v_add_f32_e32 v9, v14, v9
	;; [unrolled: 2-line block ×6, first 2 shown]
	ds_bpermute_b32 v10, v21, v6
	ds_bpermute_b32 v15, v21, v9
	;; [unrolled: 1-line block ×6, first 2 shown]
	s_and_b32 exec_lo, exec_lo, vcc_lo
	s_cbranch_execz .LBB99_21
; %bb.17:
	s_load_dwordx2 s[2:3], s[4:5], 0x38
	v_cmp_eq_f32_e32 vcc_lo, 0, v3
	v_cmp_eq_f32_e64 s0, 0, v4
	s_waitcnt lgkmcnt(0)
	v_add_f32_e32 v0, v6, v10
	v_add_f32_e32 v10, v9, v15
	;; [unrolled: 1-line block ×6, first 2 shown]
	s_and_b32 s0, vcc_lo, s0
	s_and_saveexec_b32 s1, s0
	s_xor_b32 s0, exec_lo, s1
	s_cbranch_execz .LBB99_19
; %bb.18:
	v_lshl_add_u32 v3, v5, 1, v5
	v_mul_f32_e64 v11, v10, -v2
	v_mul_f32_e32 v12, v1, v10
	v_mul_f32_e64 v13, v9, -v2
	v_mul_f32_e32 v14, v1, v9
	v_ashrrev_i32_e32 v4, 31, v3
	v_mul_f32_e64 v9, v8, -v2
	v_mul_f32_e32 v10, v1, v8
	v_fmac_f32_e32 v11, v1, v0
	v_fmac_f32_e32 v12, v2, v0
	v_lshlrev_b64 v[3:4], 3, v[3:4]
	v_fmac_f32_e32 v13, v1, v6
	v_fmac_f32_e32 v14, v2, v6
	;; [unrolled: 1-line block ×4, first 2 shown]
                                        ; implicit-def: $vgpr5
                                        ; implicit-def: $vgpr0
                                        ; implicit-def: $vgpr6
                                        ; implicit-def: $vgpr7
                                        ; implicit-def: $vgpr8
                                        ; implicit-def: $vgpr1_vgpr2
	v_add_co_u32 v3, vcc_lo, s2, v3
	v_add_co_ci_u32_e64 v4, null, s3, v4, vcc_lo
	global_store_dwordx4 v[3:4], v[11:14], off
	global_store_dwordx2 v[3:4], v[9:10], off offset:16
                                        ; implicit-def: $vgpr10
                                        ; implicit-def: $vgpr9
                                        ; implicit-def: $vgpr3_vgpr4
.LBB99_19:
	s_andn2_saveexec_b32 s0, s0
	s_cbranch_execz .LBB99_21
; %bb.20:
	v_lshl_add_u32 v11, v5, 1, v5
	v_mul_f32_e64 v15, v10, -v2
	v_mul_f32_e32 v16, v1, v10
	v_mul_f32_e64 v10, v9, -v2
	v_mul_f32_e32 v18, v1, v9
	v_ashrrev_i32_e32 v12, 31, v11
	v_mul_f32_e64 v9, v8, -v2
	v_mul_f32_e32 v5, v1, v8
	v_fmac_f32_e32 v15, v1, v0
	v_fmac_f32_e32 v16, v2, v0
	v_lshlrev_b64 v[11:12], 3, v[11:12]
	v_fmac_f32_e32 v10, v1, v6
	v_fmac_f32_e32 v18, v2, v6
	;; [unrolled: 1-line block ×4, first 2 shown]
	v_add_co_u32 v19, vcc_lo, s2, v11
	v_add_co_ci_u32_e64 v20, null, s3, v12, vcc_lo
	s_clause 0x1
	global_load_dwordx4 v[11:14], v[19:20], off
	global_load_dwordx2 v[21:22], v[19:20], off offset:16
	s_waitcnt vmcnt(1)
	v_fmac_f32_e32 v15, v3, v11
	v_fmac_f32_e32 v16, v4, v11
	;; [unrolled: 1-line block ×4, first 2 shown]
	s_waitcnt vmcnt(0)
	v_fmac_f32_e32 v9, v3, v21
	v_fmac_f32_e32 v5, v4, v21
	v_fma_f32 v15, -v4, v12, v15
	v_fmac_f32_e32 v16, v3, v12
	v_fma_f32 v17, -v4, v14, v10
	;; [unrolled: 2-line block ×3, first 2 shown]
	v_fmac_f32_e32 v5, v3, v22
	global_store_dwordx4 v[19:20], v[15:18], off
	global_store_dwordx2 v[19:20], v[4:5], off offset:16
.LBB99_21:
	s_endpgm
	.section	.rodata,"a",@progbits
	.p2align	6, 0x0
	.amdhsa_kernel _ZN9rocsparseL19gebsrmvn_3xn_kernelILj128ELj7ELj4E21rocsparse_complex_numIfEEEvi20rocsparse_direction_NS_24const_host_device_scalarIT2_EEPKiS8_PKS5_SA_S6_PS5_21rocsparse_index_base_b
		.amdhsa_group_segment_fixed_size 0
		.amdhsa_private_segment_fixed_size 0
		.amdhsa_kernarg_size 72
		.amdhsa_user_sgpr_count 6
		.amdhsa_user_sgpr_private_segment_buffer 1
		.amdhsa_user_sgpr_dispatch_ptr 0
		.amdhsa_user_sgpr_queue_ptr 0
		.amdhsa_user_sgpr_kernarg_segment_ptr 1
		.amdhsa_user_sgpr_dispatch_id 0
		.amdhsa_user_sgpr_flat_scratch_init 0
		.amdhsa_user_sgpr_private_segment_size 0
		.amdhsa_wavefront_size32 1
		.amdhsa_uses_dynamic_stack 0
		.amdhsa_system_sgpr_private_segment_wavefront_offset 0
		.amdhsa_system_sgpr_workgroup_id_x 1
		.amdhsa_system_sgpr_workgroup_id_y 0
		.amdhsa_system_sgpr_workgroup_id_z 0
		.amdhsa_system_sgpr_workgroup_info 0
		.amdhsa_system_vgpr_workitem_id 0
		.amdhsa_next_free_vgpr 73
		.amdhsa_next_free_sgpr 16
		.amdhsa_reserve_vcc 1
		.amdhsa_reserve_flat_scratch 0
		.amdhsa_float_round_mode_32 0
		.amdhsa_float_round_mode_16_64 0
		.amdhsa_float_denorm_mode_32 3
		.amdhsa_float_denorm_mode_16_64 3
		.amdhsa_dx10_clamp 1
		.amdhsa_ieee_mode 1
		.amdhsa_fp16_overflow 0
		.amdhsa_workgroup_processor_mode 1
		.amdhsa_memory_ordered 1
		.amdhsa_forward_progress 1
		.amdhsa_shared_vgpr_count 0
		.amdhsa_exception_fp_ieee_invalid_op 0
		.amdhsa_exception_fp_denorm_src 0
		.amdhsa_exception_fp_ieee_div_zero 0
		.amdhsa_exception_fp_ieee_overflow 0
		.amdhsa_exception_fp_ieee_underflow 0
		.amdhsa_exception_fp_ieee_inexact 0
		.amdhsa_exception_int_div_zero 0
	.end_amdhsa_kernel
	.section	.text._ZN9rocsparseL19gebsrmvn_3xn_kernelILj128ELj7ELj4E21rocsparse_complex_numIfEEEvi20rocsparse_direction_NS_24const_host_device_scalarIT2_EEPKiS8_PKS5_SA_S6_PS5_21rocsparse_index_base_b,"axG",@progbits,_ZN9rocsparseL19gebsrmvn_3xn_kernelILj128ELj7ELj4E21rocsparse_complex_numIfEEEvi20rocsparse_direction_NS_24const_host_device_scalarIT2_EEPKiS8_PKS5_SA_S6_PS5_21rocsparse_index_base_b,comdat
.Lfunc_end99:
	.size	_ZN9rocsparseL19gebsrmvn_3xn_kernelILj128ELj7ELj4E21rocsparse_complex_numIfEEEvi20rocsparse_direction_NS_24const_host_device_scalarIT2_EEPKiS8_PKS5_SA_S6_PS5_21rocsparse_index_base_b, .Lfunc_end99-_ZN9rocsparseL19gebsrmvn_3xn_kernelILj128ELj7ELj4E21rocsparse_complex_numIfEEEvi20rocsparse_direction_NS_24const_host_device_scalarIT2_EEPKiS8_PKS5_SA_S6_PS5_21rocsparse_index_base_b
                                        ; -- End function
	.set _ZN9rocsparseL19gebsrmvn_3xn_kernelILj128ELj7ELj4E21rocsparse_complex_numIfEEEvi20rocsparse_direction_NS_24const_host_device_scalarIT2_EEPKiS8_PKS5_SA_S6_PS5_21rocsparse_index_base_b.num_vgpr, 73
	.set _ZN9rocsparseL19gebsrmvn_3xn_kernelILj128ELj7ELj4E21rocsparse_complex_numIfEEEvi20rocsparse_direction_NS_24const_host_device_scalarIT2_EEPKiS8_PKS5_SA_S6_PS5_21rocsparse_index_base_b.num_agpr, 0
	.set _ZN9rocsparseL19gebsrmvn_3xn_kernelILj128ELj7ELj4E21rocsparse_complex_numIfEEEvi20rocsparse_direction_NS_24const_host_device_scalarIT2_EEPKiS8_PKS5_SA_S6_PS5_21rocsparse_index_base_b.numbered_sgpr, 16
	.set _ZN9rocsparseL19gebsrmvn_3xn_kernelILj128ELj7ELj4E21rocsparse_complex_numIfEEEvi20rocsparse_direction_NS_24const_host_device_scalarIT2_EEPKiS8_PKS5_SA_S6_PS5_21rocsparse_index_base_b.num_named_barrier, 0
	.set _ZN9rocsparseL19gebsrmvn_3xn_kernelILj128ELj7ELj4E21rocsparse_complex_numIfEEEvi20rocsparse_direction_NS_24const_host_device_scalarIT2_EEPKiS8_PKS5_SA_S6_PS5_21rocsparse_index_base_b.private_seg_size, 0
	.set _ZN9rocsparseL19gebsrmvn_3xn_kernelILj128ELj7ELj4E21rocsparse_complex_numIfEEEvi20rocsparse_direction_NS_24const_host_device_scalarIT2_EEPKiS8_PKS5_SA_S6_PS5_21rocsparse_index_base_b.uses_vcc, 1
	.set _ZN9rocsparseL19gebsrmvn_3xn_kernelILj128ELj7ELj4E21rocsparse_complex_numIfEEEvi20rocsparse_direction_NS_24const_host_device_scalarIT2_EEPKiS8_PKS5_SA_S6_PS5_21rocsparse_index_base_b.uses_flat_scratch, 0
	.set _ZN9rocsparseL19gebsrmvn_3xn_kernelILj128ELj7ELj4E21rocsparse_complex_numIfEEEvi20rocsparse_direction_NS_24const_host_device_scalarIT2_EEPKiS8_PKS5_SA_S6_PS5_21rocsparse_index_base_b.has_dyn_sized_stack, 0
	.set _ZN9rocsparseL19gebsrmvn_3xn_kernelILj128ELj7ELj4E21rocsparse_complex_numIfEEEvi20rocsparse_direction_NS_24const_host_device_scalarIT2_EEPKiS8_PKS5_SA_S6_PS5_21rocsparse_index_base_b.has_recursion, 0
	.set _ZN9rocsparseL19gebsrmvn_3xn_kernelILj128ELj7ELj4E21rocsparse_complex_numIfEEEvi20rocsparse_direction_NS_24const_host_device_scalarIT2_EEPKiS8_PKS5_SA_S6_PS5_21rocsparse_index_base_b.has_indirect_call, 0
	.section	.AMDGPU.csdata,"",@progbits
; Kernel info:
; codeLenInByte = 4268
; TotalNumSgprs: 18
; NumVgprs: 73
; ScratchSize: 0
; MemoryBound: 0
; FloatMode: 240
; IeeeMode: 1
; LDSByteSize: 0 bytes/workgroup (compile time only)
; SGPRBlocks: 0
; VGPRBlocks: 9
; NumSGPRsForWavesPerEU: 18
; NumVGPRsForWavesPerEU: 73
; Occupancy: 12
; WaveLimiterHint : 1
; COMPUTE_PGM_RSRC2:SCRATCH_EN: 0
; COMPUTE_PGM_RSRC2:USER_SGPR: 6
; COMPUTE_PGM_RSRC2:TRAP_HANDLER: 0
; COMPUTE_PGM_RSRC2:TGID_X_EN: 1
; COMPUTE_PGM_RSRC2:TGID_Y_EN: 0
; COMPUTE_PGM_RSRC2:TGID_Z_EN: 0
; COMPUTE_PGM_RSRC2:TIDIG_COMP_CNT: 0
	.section	.text._ZN9rocsparseL19gebsrmvn_3xn_kernelILj128ELj7ELj8E21rocsparse_complex_numIfEEEvi20rocsparse_direction_NS_24const_host_device_scalarIT2_EEPKiS8_PKS5_SA_S6_PS5_21rocsparse_index_base_b,"axG",@progbits,_ZN9rocsparseL19gebsrmvn_3xn_kernelILj128ELj7ELj8E21rocsparse_complex_numIfEEEvi20rocsparse_direction_NS_24const_host_device_scalarIT2_EEPKiS8_PKS5_SA_S6_PS5_21rocsparse_index_base_b,comdat
	.globl	_ZN9rocsparseL19gebsrmvn_3xn_kernelILj128ELj7ELj8E21rocsparse_complex_numIfEEEvi20rocsparse_direction_NS_24const_host_device_scalarIT2_EEPKiS8_PKS5_SA_S6_PS5_21rocsparse_index_base_b ; -- Begin function _ZN9rocsparseL19gebsrmvn_3xn_kernelILj128ELj7ELj8E21rocsparse_complex_numIfEEEvi20rocsparse_direction_NS_24const_host_device_scalarIT2_EEPKiS8_PKS5_SA_S6_PS5_21rocsparse_index_base_b
	.p2align	8
	.type	_ZN9rocsparseL19gebsrmvn_3xn_kernelILj128ELj7ELj8E21rocsparse_complex_numIfEEEvi20rocsparse_direction_NS_24const_host_device_scalarIT2_EEPKiS8_PKS5_SA_S6_PS5_21rocsparse_index_base_b,@function
_ZN9rocsparseL19gebsrmvn_3xn_kernelILj128ELj7ELj8E21rocsparse_complex_numIfEEEvi20rocsparse_direction_NS_24const_host_device_scalarIT2_EEPKiS8_PKS5_SA_S6_PS5_21rocsparse_index_base_b: ; @_ZN9rocsparseL19gebsrmvn_3xn_kernelILj128ELj7ELj8E21rocsparse_complex_numIfEEEvi20rocsparse_direction_NS_24const_host_device_scalarIT2_EEPKiS8_PKS5_SA_S6_PS5_21rocsparse_index_base_b
; %bb.0:
	s_clause 0x2
	s_load_dwordx2 s[2:3], s[4:5], 0x40
	s_load_dwordx2 s[0:1], s[4:5], 0x8
	;; [unrolled: 1-line block ×3, first 2 shown]
	s_add_u32 s7, s4, 8
	s_addc_u32 s10, s5, 0
	s_add_u32 s11, s4, 48
	s_addc_u32 s12, s5, 0
	s_waitcnt lgkmcnt(0)
	s_bitcmp1_b32 s3, 0
	s_cselect_b32 s0, s7, s0
	s_cselect_b32 s1, s10, s1
	v_mov_b32_e32 v1, s0
	v_mov_b32_e32 v2, s1
	s_cselect_b32 s0, s11, s8
	s_cselect_b32 s1, s12, s9
	v_mov_b32_e32 v3, s0
	v_mov_b32_e32 v4, s1
	flat_load_dwordx2 v[1:2], v[1:2]
	flat_load_dwordx2 v[3:4], v[3:4]
	s_waitcnt vmcnt(1) lgkmcnt(1)
	v_cmp_eq_f32_e32 vcc_lo, 0, v1
	v_cmp_eq_f32_e64 s0, 0, v2
	s_and_b32 s3, vcc_lo, s0
	s_mov_b32 s0, -1
	s_and_saveexec_b32 s1, s3
	s_cbranch_execz .LBB100_2
; %bb.1:
	s_waitcnt vmcnt(0) lgkmcnt(0)
	v_cmp_neq_f32_e32 vcc_lo, 1.0, v3
	v_cmp_neq_f32_e64 s0, 0, v4
	s_or_b32 s0, vcc_lo, s0
	s_orn2_b32 s0, s0, exec_lo
.LBB100_2:
	s_or_b32 exec_lo, exec_lo, s1
	s_and_saveexec_b32 s1, s0
	s_cbranch_execz .LBB100_21
; %bb.3:
	s_load_dwordx2 s[0:1], s[4:5], 0x0
	v_lshrrev_b32_e32 v5, 3, v0
	v_lshl_or_b32 v5, s6, 4, v5
	s_waitcnt lgkmcnt(0)
	v_cmp_gt_i32_e32 vcc_lo, s0, v5
	s_and_b32 exec_lo, exec_lo, vcc_lo
	s_cbranch_execz .LBB100_21
; %bb.4:
	s_load_dwordx8 s[8:15], s[4:5], 0x10
	v_ashrrev_i32_e32 v6, 31, v5
	v_and_b32_e32 v0, 7, v0
	s_cmp_lg_u32 s1, 0
	v_lshlrev_b64 v[6:7], 2, v[5:6]
	s_waitcnt lgkmcnt(0)
	v_add_co_u32 v6, vcc_lo, s8, v6
	v_add_co_ci_u32_e64 v7, null, s9, v7, vcc_lo
	global_load_dwordx2 v[6:7], v[6:7], off
	s_waitcnt vmcnt(0)
	v_subrev_nc_u32_e32 v6, s2, v6
	v_subrev_nc_u32_e32 v17, s2, v7
	v_add_nc_u32_e32 v6, v6, v0
	v_cmp_lt_i32_e64 s0, v6, v17
	s_cbranch_scc0 .LBB100_10
; %bb.5:
	v_mov_b32_e32 v14, 0
	v_mov_b32_e32 v19, 0
	;; [unrolled: 1-line block ×6, first 2 shown]
	s_and_saveexec_b32 s1, s0
	s_cbranch_execz .LBB100_9
; %bb.6:
	v_mad_u64_u32 v[7:8], null, v6, 21, 20
	v_mov_b32_e32 v10, 0
	v_mov_b32_e32 v11, v6
	;; [unrolled: 1-line block ×8, first 2 shown]
	s_mov_b32 s3, 0
.LBB100_7:                              ; =>This Inner Loop Header: Depth=1
	v_ashrrev_i32_e32 v12, 31, v11
	v_mov_b32_e32 v13, v10
	v_lshlrev_b64 v[8:9], 2, v[11:12]
	v_add_nc_u32_e32 v11, 8, v11
	v_add_co_u32 v8, vcc_lo, s10, v8
	v_add_co_ci_u32_e64 v9, null, s11, v9, vcc_lo
	global_load_dword v12, v[8:9], off
	v_subrev_nc_u32_e32 v9, 20, v7
	v_mov_b32_e32 v8, v10
	v_lshlrev_b64 v[21:22], 3, v[9:10]
	v_subrev_nc_u32_e32 v9, 19, v7
	v_lshlrev_b64 v[23:24], 3, v[7:8]
	v_lshlrev_b64 v[25:26], 3, v[9:10]
	v_subrev_nc_u32_e32 v9, 18, v7
	v_add_co_u32 v21, vcc_lo, s12, v21
	v_add_co_ci_u32_e64 v22, null, s13, v22, vcc_lo
	v_lshlrev_b64 v[27:28], 3, v[9:10]
	v_subrev_nc_u32_e32 v9, 17, v7
	v_add_co_u32 v23, vcc_lo, s12, v23
	v_add_co_ci_u32_e64 v24, null, s13, v24, vcc_lo
	v_lshlrev_b64 v[8:9], 3, v[9:10]
	v_add_co_u32 v25, vcc_lo, s12, v25
	v_add_co_ci_u32_e64 v26, null, s13, v26, vcc_lo
	v_add_co_u32 v27, vcc_lo, s12, v27
	v_add_co_ci_u32_e64 v28, null, s13, v28, vcc_lo
	;; [unrolled: 2-line block ×3, first 2 shown]
	s_clause 0x3
	global_load_dwordx2 v[21:22], v[21:22], off
	global_load_dwordx2 v[25:26], v[25:26], off
	;; [unrolled: 1-line block ×4, first 2 shown]
	s_waitcnt vmcnt(4)
	v_subrev_nc_u32_e32 v8, s2, v12
	v_mul_lo_u32 v12, v8, 7
	v_add_nc_u32_e32 v9, 1, v12
	v_lshlrev_b64 v[31:32], 3, v[12:13]
	v_lshlrev_b64 v[33:34], 3, v[9:10]
	v_add_nc_u32_e32 v9, -16, v7
	v_add_co_u32 v31, vcc_lo, s14, v31
	v_add_co_ci_u32_e64 v32, null, s15, v32, vcc_lo
	v_lshlrev_b64 v[35:36], 3, v[9:10]
	v_add_nc_u32_e32 v9, -15, v7
	v_add_co_u32 v33, vcc_lo, s14, v33
	global_load_dwordx2 v[31:32], v[31:32], off
	v_add_co_ci_u32_e64 v34, null, s15, v34, vcc_lo
	v_lshlrev_b64 v[37:38], 3, v[9:10]
	v_add_nc_u32_e32 v9, -14, v7
	v_add_co_u32 v35, vcc_lo, s12, v35
	v_add_co_ci_u32_e64 v36, null, s13, v36, vcc_lo
	v_lshlrev_b64 v[39:40], 3, v[9:10]
	v_add_nc_u32_e32 v9, 2, v12
	v_add_co_u32 v37, vcc_lo, s12, v37
	v_add_co_ci_u32_e64 v38, null, s13, v38, vcc_lo
	v_lshlrev_b64 v[41:42], 3, v[9:10]
	v_add_nc_u32_e32 v9, -13, v7
	v_add_co_u32 v39, vcc_lo, s12, v39
	v_add_co_ci_u32_e64 v40, null, s13, v40, vcc_lo
	v_lshlrev_b64 v[43:44], 3, v[9:10]
	v_add_nc_u32_e32 v9, -12, v7
	v_add_co_u32 v41, vcc_lo, s14, v41
	global_load_dwordx2 v[33:34], v[33:34], off
	s_clause 0x2
	global_load_dwordx2 v[35:36], v[35:36], off
	global_load_dwordx2 v[37:38], v[37:38], off
	;; [unrolled: 1-line block ×3, first 2 shown]
	v_lshlrev_b64 v[45:46], 3, v[9:10]
	v_add_nc_u32_e32 v9, -11, v7
	v_add_co_ci_u32_e64 v42, null, s15, v42, vcc_lo
	v_add_co_u32 v43, vcc_lo, s12, v43
	v_lshlrev_b64 v[47:48], 3, v[9:10]
	v_add_nc_u32_e32 v9, 3, v12
	v_add_co_ci_u32_e64 v44, null, s13, v44, vcc_lo
	v_add_co_u32 v45, vcc_lo, s12, v45
	v_lshlrev_b64 v[49:50], 3, v[9:10]
	v_add_nc_u32_e32 v9, -10, v7
	v_add_co_ci_u32_e64 v46, null, s13, v46, vcc_lo
	v_add_co_u32 v47, vcc_lo, s12, v47
	v_lshlrev_b64 v[51:52], 3, v[9:10]
	v_add_nc_u32_e32 v9, -9, v7
	;; [unrolled: 4-line block ×3, first 2 shown]
	v_add_co_ci_u32_e64 v50, null, s15, v50, vcc_lo
	v_add_co_u32 v51, vcc_lo, s12, v51
	v_lshlrev_b64 v[55:56], 3, v[9:10]
	v_add_nc_u32_e32 v9, 4, v12
	global_load_dwordx2 v[41:42], v[41:42], off
	s_clause 0x2
	global_load_dwordx2 v[43:44], v[43:44], off
	global_load_dwordx2 v[45:46], v[45:46], off
	global_load_dwordx2 v[47:48], v[47:48], off
	v_lshlrev_b64 v[57:58], 3, v[9:10]
	v_add_nc_u32_e32 v9, -7, v7
	v_add_co_ci_u32_e64 v52, null, s13, v52, vcc_lo
	v_add_co_u32 v53, vcc_lo, s12, v53
	v_lshlrev_b64 v[59:60], 3, v[9:10]
	v_add_nc_u32_e32 v9, -6, v7
	v_add_co_ci_u32_e64 v54, null, s13, v54, vcc_lo
	v_add_co_u32 v55, vcc_lo, s12, v55
	v_lshlrev_b64 v[61:62], 3, v[9:10]
	v_add_nc_u32_e32 v9, -5, v7
	v_add_co_ci_u32_e64 v56, null, s13, v56, vcc_lo
	v_add_co_u32 v57, vcc_lo, s14, v57
	v_lshlrev_b64 v[63:64], 3, v[9:10]
	v_add_nc_u32_e32 v9, 5, v12
	v_add_co_ci_u32_e64 v58, null, s15, v58, vcc_lo
	v_add_co_u32 v59, vcc_lo, s12, v59
	v_lshlrev_b64 v[65:66], 3, v[9:10]
	v_add_nc_u32_e32 v9, -4, v7
	v_add_co_ci_u32_e64 v60, null, s13, v60, vcc_lo
	v_add_co_u32 v61, vcc_lo, s12, v61
	v_lshlrev_b64 v[67:68], 3, v[9:10]
	v_add_nc_u32_e32 v9, -3, v7
	global_load_dwordx2 v[49:50], v[49:50], off
	s_clause 0x2
	global_load_dwordx2 v[51:52], v[51:52], off
	global_load_dwordx2 v[53:54], v[53:54], off
	;; [unrolled: 1-line block ×3, first 2 shown]
	v_add_co_ci_u32_e64 v62, null, s13, v62, vcc_lo
	v_add_co_u32 v63, vcc_lo, s12, v63
	v_add_co_ci_u32_e64 v64, null, s13, v64, vcc_lo
	v_add_co_u32 v65, vcc_lo, s14, v65
	v_lshlrev_b64 v[69:70], 3, v[9:10]
	v_add_nc_u32_e32 v9, -2, v7
	v_add_co_ci_u32_e64 v66, null, s15, v66, vcc_lo
	v_add_co_u32 v67, vcc_lo, s12, v67
	v_add_co_ci_u32_e64 v68, null, s13, v68, vcc_lo
	v_lshlrev_b64 v[71:72], 3, v[9:10]
	v_add_nc_u32_e32 v9, 6, v12
	global_load_dwordx2 v[57:58], v[57:58], off
	s_clause 0x3
	global_load_dwordx2 v[59:60], v[59:60], off
	global_load_dwordx2 v[61:62], v[61:62], off
	;; [unrolled: 1-line block ×4, first 2 shown]
	v_add_co_u32 v67, vcc_lo, s12, v69
	v_add_co_ci_u32_e64 v68, null, s13, v70, vcc_lo
	v_lshlrev_b64 v[69:70], 3, v[9:10]
	v_add_nc_u32_e32 v9, -1, v7
	global_load_dwordx2 v[65:66], v[65:66], off
	v_add_co_u32 v71, vcc_lo, s12, v71
	global_load_dwordx2 v[67:68], v[67:68], off
	v_lshlrev_b64 v[8:9], 3, v[9:10]
	v_add_co_ci_u32_e64 v72, null, s13, v72, vcc_lo
	v_add_co_u32 v69, vcc_lo, s14, v69
	v_add_co_ci_u32_e64 v70, null, s15, v70, vcc_lo
	v_add_co_u32 v8, vcc_lo, s12, v8
	v_add_co_ci_u32_e64 v9, null, s13, v9, vcc_lo
	global_load_dwordx2 v[71:72], v[71:72], off
	global_load_dwordx2 v[69:70], v[69:70], off
	s_clause 0x1
	global_load_dwordx2 v[8:9], v[8:9], off
	global_load_dwordx2 v[23:24], v[23:24], off
	v_cmp_ge_i32_e32 vcc_lo, v11, v17
	v_add_nc_u32_e32 v7, 0xa8, v7
	s_or_b32 s3, vcc_lo, s3
	s_waitcnt vmcnt(23)
	v_fmac_f32_e32 v19, v21, v31
	v_fmac_f32_e32 v14, v22, v31
	v_fmac_f32_e32 v20, v25, v31
	v_fmac_f32_e32 v16, v26, v31
	v_fmac_f32_e32 v18, v27, v31
	v_fmac_f32_e32 v15, v28, v31
	v_fma_f32 v19, -v22, v32, v19
	v_fmac_f32_e32 v14, v21, v32
	v_fma_f32 v20, -v26, v32, v20
	v_fmac_f32_e32 v16, v25, v32
	v_fma_f32 v18, -v28, v32, v18
	v_fmac_f32_e32 v15, v27, v32
	s_waitcnt vmcnt(22)
	v_fmac_f32_e32 v19, v29, v33
	v_fmac_f32_e32 v14, v30, v33
	s_waitcnt vmcnt(21)
	v_fmac_f32_e32 v20, v35, v33
	v_fmac_f32_e32 v16, v36, v33
	s_waitcnt vmcnt(20)
	v_fmac_f32_e32 v18, v37, v33
	v_fmac_f32_e32 v15, v38, v33
	v_fma_f32 v19, -v30, v34, v19
	v_fmac_f32_e32 v14, v29, v34
	v_fma_f32 v20, -v36, v34, v20
	v_fmac_f32_e32 v16, v35, v34
	v_fma_f32 v18, -v38, v34, v18
	v_fmac_f32_e32 v15, v37, v34
	s_waitcnt vmcnt(18)
	v_fmac_f32_e32 v19, v39, v41
	v_fmac_f32_e32 v14, v40, v41
	s_waitcnt vmcnt(17)
	v_fmac_f32_e32 v20, v43, v41
	v_fmac_f32_e32 v16, v44, v41
	s_waitcnt vmcnt(16)
	v_fmac_f32_e32 v18, v45, v41
	v_fmac_f32_e32 v15, v46, v41
	;; [unrolled: 15-line block ×4, first 2 shown]
	v_fma_f32 v19, -v56, v58, v19
	v_fmac_f32_e32 v14, v55, v58
	v_fma_f32 v20, -v60, v58, v20
	v_fmac_f32_e32 v16, v59, v58
	;; [unrolled: 2-line block ×3, first 2 shown]
	s_waitcnt vmcnt(5)
	v_fmac_f32_e32 v19, v63, v65
	v_fmac_f32_e32 v14, v64, v65
	;; [unrolled: 1-line block ×4, first 2 shown]
	s_waitcnt vmcnt(4)
	v_fmac_f32_e32 v18, v67, v65
	v_fmac_f32_e32 v15, v68, v65
	v_fma_f32 v19, -v64, v66, v19
	v_fmac_f32_e32 v14, v63, v66
	v_fma_f32 v13, -v13, v66, v20
	;; [unrolled: 2-line block ×3, first 2 shown]
	v_fmac_f32_e32 v15, v67, v66
	s_waitcnt vmcnt(2)
	v_fmac_f32_e32 v19, v71, v69
	v_fmac_f32_e32 v14, v72, v69
	s_waitcnt vmcnt(1)
	v_fmac_f32_e32 v13, v8, v69
	;; [unrolled: 3-line block ×3, first 2 shown]
	v_fmac_f32_e32 v15, v24, v69
	v_fma_f32 v19, -v72, v70, v19
	v_fmac_f32_e32 v14, v71, v70
	v_fma_f32 v20, -v9, v70, v13
	;; [unrolled: 2-line block ×3, first 2 shown]
	v_fmac_f32_e32 v15, v23, v70
	s_andn2_b32 exec_lo, exec_lo, s3
	s_cbranch_execnz .LBB100_7
; %bb.8:
	s_or_b32 exec_lo, exec_lo, s3
.LBB100_9:
	s_or_b32 exec_lo, exec_lo, s1
	s_cbranch_execz .LBB100_11
	s_branch .LBB100_16
.LBB100_10:
                                        ; implicit-def: $vgpr14
                                        ; implicit-def: $vgpr19
                                        ; implicit-def: $vgpr18
                                        ; implicit-def: $vgpr15
                                        ; implicit-def: $vgpr20
                                        ; implicit-def: $vgpr16
.LBB100_11:
	v_mov_b32_e32 v14, 0
	v_mov_b32_e32 v19, 0
	;; [unrolled: 1-line block ×6, first 2 shown]
	s_and_saveexec_b32 s1, s0
	s_cbranch_execz .LBB100_15
; %bb.12:
	v_mad_u64_u32 v[8:9], null, v6, 21, 20
	v_mov_b32_e32 v11, 0
	v_mov_b32_e32 v14, 0
	;; [unrolled: 1-line block ×7, first 2 shown]
	s_mov_b32 s0, 0
.LBB100_13:                             ; =>This Inner Loop Header: Depth=1
	v_ashrrev_i32_e32 v7, 31, v6
	v_subrev_nc_u32_e32 v10, 20, v8
	v_add_nc_u32_e32 v21, -13, v8
	v_mov_b32_e32 v22, v11
	v_add_nc_u32_e32 v23, -6, v8
	v_lshlrev_b64 v[27:28], 2, v[6:7]
	v_mov_b32_e32 v24, v11
	v_lshlrev_b64 v[25:26], 3, v[10:11]
	v_mov_b32_e32 v9, v11
	v_lshlrev_b64 v[21:22], 3, v[21:22]
	v_subrev_nc_u32_e32 v10, 19, v8
	v_add_co_u32 v27, vcc_lo, s10, v27
	v_add_co_ci_u32_e64 v28, null, s11, v28, vcc_lo
	v_lshlrev_b64 v[23:24], 3, v[23:24]
	v_lshlrev_b64 v[29:30], 3, v[8:9]
	v_add_co_u32 v25, vcc_lo, s12, v25
	global_load_dword v7, v[27:28], off
	v_lshlrev_b64 v[9:10], 3, v[10:11]
	v_add_co_ci_u32_e64 v26, null, s13, v26, vcc_lo
	v_add_co_u32 v21, vcc_lo, s12, v21
	v_add_co_ci_u32_e64 v22, null, s13, v22, vcc_lo
	v_add_co_u32 v23, vcc_lo, s12, v23
	;; [unrolled: 2-line block ×4, first 2 shown]
	v_add_co_ci_u32_e64 v28, null, s13, v10, vcc_lo
	v_mov_b32_e32 v13, v11
	v_add_nc_u32_e32 v6, 8, v6
	s_waitcnt vmcnt(0)
	v_subrev_nc_u32_e32 v7, s2, v7
	v_mul_lo_u32 v12, v7, 7
	v_add_nc_u32_e32 v10, 1, v12
	v_lshlrev_b64 v[31:32], 3, v[12:13]
	v_lshlrev_b64 v[33:34], 3, v[10:11]
	v_add_nc_u32_e32 v10, -12, v8
	v_add_co_u32 v31, vcc_lo, s14, v31
	v_add_co_ci_u32_e64 v32, null, s15, v32, vcc_lo
	v_lshlrev_b64 v[35:36], 3, v[10:11]
	v_add_nc_u32_e32 v10, -5, v8
	v_add_co_u32 v33, vcc_lo, s14, v33
	v_add_co_ci_u32_e64 v34, null, s15, v34, vcc_lo
	v_lshlrev_b64 v[37:38], 3, v[10:11]
	v_subrev_nc_u32_e32 v10, 18, v8
	v_add_co_u32 v35, vcc_lo, s12, v35
	v_add_co_ci_u32_e64 v36, null, s13, v36, vcc_lo
	v_lshlrev_b64 v[39:40], 3, v[10:11]
	v_add_nc_u32_e32 v10, 2, v12
	v_add_co_u32 v37, vcc_lo, s12, v37
	v_add_co_ci_u32_e64 v38, null, s13, v38, vcc_lo
	v_lshlrev_b64 v[41:42], 3, v[10:11]
	v_add_nc_u32_e32 v10, -11, v8
	v_add_co_u32 v39, vcc_lo, s12, v39
	v_add_co_ci_u32_e64 v40, null, s13, v40, vcc_lo
	v_lshlrev_b64 v[43:44], 3, v[10:11]
	v_add_nc_u32_e32 v10, -4, v8
	v_add_co_u32 v41, vcc_lo, s14, v41
	v_add_co_ci_u32_e64 v42, null, s15, v42, vcc_lo
	v_lshlrev_b64 v[45:46], 3, v[10:11]
	v_subrev_nc_u32_e32 v10, 17, v8
	v_add_co_u32 v43, vcc_lo, s12, v43
	v_add_co_ci_u32_e64 v44, null, s13, v44, vcc_lo
	v_lshlrev_b64 v[47:48], 3, v[10:11]
	v_add_nc_u32_e32 v10, 3, v12
	v_add_co_u32 v45, vcc_lo, s12, v45
	v_add_co_ci_u32_e64 v46, null, s13, v46, vcc_lo
	v_lshlrev_b64 v[49:50], 3, v[10:11]
	v_add_nc_u32_e32 v10, -10, v8
	v_add_co_u32 v47, vcc_lo, s12, v47
	v_add_co_ci_u32_e64 v48, null, s13, v48, vcc_lo
	v_lshlrev_b64 v[51:52], 3, v[10:11]
	v_add_nc_u32_e32 v10, -3, v8
	;; [unrolled: 4-line block ×3, first 2 shown]
	v_add_co_u32 v51, vcc_lo, s12, v51
	v_add_co_ci_u32_e64 v52, null, s13, v52, vcc_lo
	v_lshlrev_b64 v[55:56], 3, v[10:11]
	v_add_nc_u32_e32 v10, 4, v12
	v_add_co_u32 v53, vcc_lo, s12, v53
	v_add_co_ci_u32_e64 v54, null, s13, v54, vcc_lo
	v_lshlrev_b64 v[57:58], 3, v[10:11]
	v_add_nc_u32_e32 v10, -9, v8
	v_add_co_u32 v55, vcc_lo, s12, v55
	v_add_co_ci_u32_e64 v56, null, s13, v56, vcc_lo
	v_lshlrev_b64 v[59:60], 3, v[10:11]
	v_add_nc_u32_e32 v10, -2, v8
	;; [unrolled: 4-line block ×3, first 2 shown]
	v_add_co_u32 v59, vcc_lo, s12, v59
	v_add_co_ci_u32_e64 v60, null, s13, v60, vcc_lo
	v_lshlrev_b64 v[9:10], 3, v[10:11]
	v_add_co_u32 v61, vcc_lo, s12, v61
	v_add_co_ci_u32_e64 v62, null, s13, v62, vcc_lo
	v_add_co_u32 v63, vcc_lo, s12, v9
	v_add_co_ci_u32_e64 v64, null, s13, v10, vcc_lo
	v_add_nc_u32_e32 v10, 5, v12
	v_lshlrev_b64 v[9:10], 3, v[10:11]
	v_add_co_u32 v65, vcc_lo, s14, v9
	v_add_co_ci_u32_e64 v66, null, s15, v10, vcc_lo
	global_load_dwordx2 v[9:10], v[25:26], off
	global_load_dwordx2 v[25:26], v[31:32], off
	s_clause 0x2
	global_load_dwordx2 v[21:22], v[21:22], off
	global_load_dwordx2 v[23:24], v[23:24], off
	;; [unrolled: 1-line block ×3, first 2 shown]
	s_waitcnt vmcnt(3)
	v_fmac_f32_e32 v19, v9, v25
	v_fmac_f32_e32 v14, v10, v25
	s_waitcnt vmcnt(2)
	v_fmac_f32_e32 v20, v21, v25
	v_fmac_f32_e32 v16, v22, v25
	s_waitcnt vmcnt(1)
	v_fmac_f32_e32 v18, v23, v25
	v_fma_f32 v7, -v10, v26, v19
	v_add_nc_u32_e32 v10, -8, v8
	v_fma_f32 v67, -v22, v26, v20
	v_fmac_f32_e32 v16, v21, v26
	v_fmac_f32_e32 v15, v24, v25
	v_fma_f32 v68, -v24, v26, v18
	v_lshlrev_b64 v[19:20], 3, v[10:11]
	v_add_nc_u32_e32 v10, -1, v8
	v_fmac_f32_e32 v14, v9, v26
	v_fmac_f32_e32 v15, v23, v26
	v_lshlrev_b64 v[21:22], 3, v[10:11]
	v_add_nc_u32_e32 v10, -14, v8
	v_add_co_u32 v18, vcc_lo, s12, v19
	v_add_co_ci_u32_e64 v19, null, s13, v20, vcc_lo
	v_lshlrev_b64 v[23:24], 3, v[10:11]
	v_add_nc_u32_e32 v10, 6, v12
	v_add_co_u32 v12, vcc_lo, s12, v21
	v_add_co_ci_u32_e64 v13, null, s13, v22, vcc_lo
	v_add_co_u32 v20, vcc_lo, s12, v23
	v_add_co_ci_u32_e64 v21, null, s13, v24, vcc_lo
	global_load_dwordx2 v[24:25], v[33:34], off
	v_lshlrev_b64 v[9:10], 3, v[10:11]
	v_add_co_u32 v22, vcc_lo, s14, v9
	v_add_co_ci_u32_e64 v23, null, s15, v10, vcc_lo
	v_add_nc_u32_e32 v10, -7, v8
	v_add_nc_u32_e32 v8, 0xa8, v8
	v_lshlrev_b64 v[9:10], 3, v[10:11]
	v_add_co_u32 v9, vcc_lo, s12, v9
	v_add_co_ci_u32_e64 v10, null, s13, v10, vcc_lo
	v_cmp_ge_i32_e32 vcc_lo, v6, v17
	s_or_b32 s0, vcc_lo, s0
	s_waitcnt vmcnt(0)
	v_fmac_f32_e32 v7, v27, v24
	v_fmac_f32_e32 v14, v28, v24
	v_fma_f32 v7, -v28, v25, v7
	v_fmac_f32_e32 v14, v27, v25
	s_clause 0x2
	global_load_dwordx2 v[26:27], v[35:36], off
	global_load_dwordx2 v[31:32], v[37:38], off
	global_load_dwordx2 v[33:34], v[39:40], off
	global_load_dwordx2 v[35:36], v[41:42], off
	s_clause 0x2
	global_load_dwordx2 v[37:38], v[43:44], off
	global_load_dwordx2 v[39:40], v[45:46], off
	global_load_dwordx2 v[41:42], v[47:48], off
	global_load_dwordx2 v[43:44], v[49:50], off
	;; [unrolled: 5-line block ×5, first 2 shown]
	global_load_dwordx2 v[22:23], v[22:23], off
	global_load_dwordx2 v[9:10], v[9:10], off
	s_waitcnt vmcnt(21)
	v_fmac_f32_e32 v67, v26, v24
	v_fmac_f32_e32 v16, v27, v24
	s_waitcnt vmcnt(20)
	v_fmac_f32_e32 v68, v31, v24
	v_fmac_f32_e32 v15, v32, v24
	s_waitcnt vmcnt(18)
	v_fmac_f32_e32 v7, v33, v35
	v_fma_f32 v24, -v27, v25, v67
	v_fmac_f32_e32 v16, v26, v25
	v_fma_f32 v26, -v32, v25, v68
	v_fmac_f32_e32 v15, v31, v25
	v_fmac_f32_e32 v14, v34, v35
	s_waitcnt vmcnt(17)
	v_fmac_f32_e32 v24, v37, v35
	v_fmac_f32_e32 v16, v38, v35
	s_waitcnt vmcnt(16)
	v_fmac_f32_e32 v26, v39, v35
	v_fmac_f32_e32 v15, v40, v35
	v_fma_f32 v7, -v34, v36, v7
	v_fmac_f32_e32 v14, v33, v36
	v_fma_f32 v24, -v38, v36, v24
	v_fmac_f32_e32 v16, v37, v36
	v_fma_f32 v25, -v40, v36, v26
	v_fmac_f32_e32 v15, v39, v36
	s_waitcnt vmcnt(14)
	v_fmac_f32_e32 v7, v41, v43
	v_fmac_f32_e32 v14, v42, v43
	s_waitcnt vmcnt(13)
	v_fmac_f32_e32 v24, v45, v43
	v_fmac_f32_e32 v16, v46, v43
	s_waitcnt vmcnt(12)
	v_fmac_f32_e32 v25, v47, v43
	v_fmac_f32_e32 v15, v48, v43
	v_fma_f32 v7, -v42, v44, v7
	v_fmac_f32_e32 v14, v41, v44
	v_fma_f32 v24, -v46, v44, v24
	v_fmac_f32_e32 v16, v45, v44
	v_fma_f32 v25, -v48, v44, v25
	v_fmac_f32_e32 v15, v47, v44
	s_waitcnt vmcnt(10)
	v_fmac_f32_e32 v7, v49, v51
	v_fmac_f32_e32 v14, v50, v51
	s_waitcnt vmcnt(9)
	v_fmac_f32_e32 v24, v53, v51
	v_fmac_f32_e32 v16, v54, v51
	s_waitcnt vmcnt(8)
	v_fmac_f32_e32 v25, v55, v51
	v_fmac_f32_e32 v15, v56, v51
	v_fma_f32 v7, -v50, v52, v7
	v_fmac_f32_e32 v14, v49, v52
	v_fma_f32 v24, -v54, v52, v24
	v_fmac_f32_e32 v16, v53, v52
	v_fma_f32 v25, -v56, v52, v25
	v_fmac_f32_e32 v15, v55, v52
	s_waitcnt vmcnt(6)
	v_fmac_f32_e32 v7, v57, v59
	v_fmac_f32_e32 v14, v58, v59
	s_waitcnt vmcnt(5)
	v_fmac_f32_e32 v24, v18, v59
	v_fmac_f32_e32 v16, v19, v59
	s_waitcnt vmcnt(4)
	v_fmac_f32_e32 v25, v12, v59
	v_fmac_f32_e32 v15, v13, v59
	v_fma_f32 v7, -v58, v60, v7
	v_fmac_f32_e32 v14, v57, v60
	v_fma_f32 v24, -v19, v60, v24
	v_fmac_f32_e32 v16, v18, v60
	v_fma_f32 v13, -v13, v60, v25
	v_fmac_f32_e32 v15, v12, v60
	s_waitcnt vmcnt(1)
	v_fmac_f32_e32 v7, v20, v22
	v_fmac_f32_e32 v14, v21, v22
	s_waitcnt vmcnt(0)
	v_fmac_f32_e32 v24, v9, v22
	v_fmac_f32_e32 v13, v28, v22
	;; [unrolled: 1-line block ×4, first 2 shown]
	v_fma_f32 v19, -v21, v23, v7
	v_fmac_f32_e32 v14, v20, v23
	v_fma_f32 v18, -v29, v23, v13
	v_fmac_f32_e32 v15, v28, v23
	;; [unrolled: 2-line block ×3, first 2 shown]
	s_andn2_b32 exec_lo, exec_lo, s0
	s_cbranch_execnz .LBB100_13
; %bb.14:
	s_or_b32 exec_lo, exec_lo, s0
.LBB100_15:
	s_or_b32 exec_lo, exec_lo, s1
.LBB100_16:
	v_mbcnt_lo_u32_b32 v6, -1, 0
	v_xor_b32_e32 v7, 4, v6
	v_xor_b32_e32 v13, 2, v6
	v_cmp_gt_i32_e32 vcc_lo, 32, v7
	v_cndmask_b32_e32 v7, v6, v7, vcc_lo
	v_cmp_gt_i32_e32 vcc_lo, 32, v13
	v_lshlrev_b32_e32 v7, 2, v7
	v_cndmask_b32_e32 v13, v6, v13, vcc_lo
	ds_bpermute_b32 v8, v7, v19
	ds_bpermute_b32 v9, v7, v14
	;; [unrolled: 1-line block ×6, first 2 shown]
	v_lshlrev_b32_e32 v13, 2, v13
	s_waitcnt lgkmcnt(5)
	v_add_f32_e32 v8, v19, v8
	s_waitcnt lgkmcnt(4)
	v_add_f32_e32 v9, v14, v9
	;; [unrolled: 2-line block ×6, first 2 shown]
	ds_bpermute_b32 v7, v13, v8
	ds_bpermute_b32 v11, v13, v9
	;; [unrolled: 1-line block ×6, first 2 shown]
	v_xor_b32_e32 v19, 1, v6
	v_cmp_gt_i32_e32 vcc_lo, 32, v19
	v_cndmask_b32_e32 v6, v6, v19, vcc_lo
	v_cmp_eq_u32_e32 vcc_lo, 7, v0
	v_lshlrev_b32_e32 v19, 2, v6
	s_waitcnt lgkmcnt(5)
	v_add_f32_e32 v6, v8, v7
	s_waitcnt lgkmcnt(4)
	v_add_f32_e32 v9, v9, v11
	;; [unrolled: 2-line block ×6, first 2 shown]
	ds_bpermute_b32 v10, v19, v6
	ds_bpermute_b32 v15, v19, v9
	;; [unrolled: 1-line block ×6, first 2 shown]
	s_and_b32 exec_lo, exec_lo, vcc_lo
	s_cbranch_execz .LBB100_21
; %bb.17:
	s_load_dwordx2 s[2:3], s[4:5], 0x38
	v_cmp_eq_f32_e32 vcc_lo, 0, v3
	v_cmp_eq_f32_e64 s0, 0, v4
	s_waitcnt lgkmcnt(0)
	v_add_f32_e32 v0, v6, v10
	v_add_f32_e32 v10, v9, v15
	;; [unrolled: 1-line block ×6, first 2 shown]
	s_and_b32 s0, vcc_lo, s0
	s_and_saveexec_b32 s1, s0
	s_xor_b32 s0, exec_lo, s1
	s_cbranch_execz .LBB100_19
; %bb.18:
	v_lshl_add_u32 v3, v5, 1, v5
	v_mul_f32_e64 v11, v10, -v2
	v_mul_f32_e32 v12, v1, v10
	v_mul_f32_e64 v13, v9, -v2
	v_mul_f32_e32 v14, v1, v9
	v_ashrrev_i32_e32 v4, 31, v3
	v_mul_f32_e64 v9, v8, -v2
	v_mul_f32_e32 v10, v1, v8
	v_fmac_f32_e32 v11, v1, v0
	v_fmac_f32_e32 v12, v2, v0
	v_lshlrev_b64 v[3:4], 3, v[3:4]
	v_fmac_f32_e32 v13, v1, v6
	v_fmac_f32_e32 v14, v2, v6
	;; [unrolled: 1-line block ×4, first 2 shown]
                                        ; implicit-def: $vgpr5
                                        ; implicit-def: $vgpr0
                                        ; implicit-def: $vgpr6
                                        ; implicit-def: $vgpr7
                                        ; implicit-def: $vgpr8
                                        ; implicit-def: $vgpr1_vgpr2
	v_add_co_u32 v3, vcc_lo, s2, v3
	v_add_co_ci_u32_e64 v4, null, s3, v4, vcc_lo
	global_store_dwordx4 v[3:4], v[11:14], off
	global_store_dwordx2 v[3:4], v[9:10], off offset:16
                                        ; implicit-def: $vgpr10
                                        ; implicit-def: $vgpr9
                                        ; implicit-def: $vgpr3_vgpr4
.LBB100_19:
	s_andn2_saveexec_b32 s0, s0
	s_cbranch_execz .LBB100_21
; %bb.20:
	v_lshl_add_u32 v11, v5, 1, v5
	v_mul_f32_e64 v15, v10, -v2
	v_mul_f32_e32 v16, v1, v10
	v_mul_f32_e64 v10, v9, -v2
	v_mul_f32_e32 v18, v1, v9
	v_ashrrev_i32_e32 v12, 31, v11
	v_mul_f32_e64 v9, v8, -v2
	v_mul_f32_e32 v5, v1, v8
	v_fmac_f32_e32 v15, v1, v0
	v_fmac_f32_e32 v16, v2, v0
	v_lshlrev_b64 v[11:12], 3, v[11:12]
	v_fmac_f32_e32 v10, v1, v6
	v_fmac_f32_e32 v18, v2, v6
	;; [unrolled: 1-line block ×4, first 2 shown]
	v_add_co_u32 v19, vcc_lo, s2, v11
	v_add_co_ci_u32_e64 v20, null, s3, v12, vcc_lo
	s_clause 0x1
	global_load_dwordx4 v[11:14], v[19:20], off
	global_load_dwordx2 v[21:22], v[19:20], off offset:16
	s_waitcnt vmcnt(1)
	v_fmac_f32_e32 v15, v3, v11
	v_fmac_f32_e32 v16, v4, v11
	;; [unrolled: 1-line block ×4, first 2 shown]
	s_waitcnt vmcnt(0)
	v_fmac_f32_e32 v9, v3, v21
	v_fmac_f32_e32 v5, v4, v21
	v_fma_f32 v15, -v4, v12, v15
	v_fmac_f32_e32 v16, v3, v12
	v_fma_f32 v17, -v4, v14, v10
	;; [unrolled: 2-line block ×3, first 2 shown]
	v_fmac_f32_e32 v5, v3, v22
	global_store_dwordx4 v[19:20], v[15:18], off
	global_store_dwordx2 v[19:20], v[4:5], off offset:16
.LBB100_21:
	s_endpgm
	.section	.rodata,"a",@progbits
	.p2align	6, 0x0
	.amdhsa_kernel _ZN9rocsparseL19gebsrmvn_3xn_kernelILj128ELj7ELj8E21rocsparse_complex_numIfEEEvi20rocsparse_direction_NS_24const_host_device_scalarIT2_EEPKiS8_PKS5_SA_S6_PS5_21rocsparse_index_base_b
		.amdhsa_group_segment_fixed_size 0
		.amdhsa_private_segment_fixed_size 0
		.amdhsa_kernarg_size 72
		.amdhsa_user_sgpr_count 6
		.amdhsa_user_sgpr_private_segment_buffer 1
		.amdhsa_user_sgpr_dispatch_ptr 0
		.amdhsa_user_sgpr_queue_ptr 0
		.amdhsa_user_sgpr_kernarg_segment_ptr 1
		.amdhsa_user_sgpr_dispatch_id 0
		.amdhsa_user_sgpr_flat_scratch_init 0
		.amdhsa_user_sgpr_private_segment_size 0
		.amdhsa_wavefront_size32 1
		.amdhsa_uses_dynamic_stack 0
		.amdhsa_system_sgpr_private_segment_wavefront_offset 0
		.amdhsa_system_sgpr_workgroup_id_x 1
		.amdhsa_system_sgpr_workgroup_id_y 0
		.amdhsa_system_sgpr_workgroup_id_z 0
		.amdhsa_system_sgpr_workgroup_info 0
		.amdhsa_system_vgpr_workitem_id 0
		.amdhsa_next_free_vgpr 73
		.amdhsa_next_free_sgpr 16
		.amdhsa_reserve_vcc 1
		.amdhsa_reserve_flat_scratch 0
		.amdhsa_float_round_mode_32 0
		.amdhsa_float_round_mode_16_64 0
		.amdhsa_float_denorm_mode_32 3
		.amdhsa_float_denorm_mode_16_64 3
		.amdhsa_dx10_clamp 1
		.amdhsa_ieee_mode 1
		.amdhsa_fp16_overflow 0
		.amdhsa_workgroup_processor_mode 1
		.amdhsa_memory_ordered 1
		.amdhsa_forward_progress 1
		.amdhsa_shared_vgpr_count 0
		.amdhsa_exception_fp_ieee_invalid_op 0
		.amdhsa_exception_fp_denorm_src 0
		.amdhsa_exception_fp_ieee_div_zero 0
		.amdhsa_exception_fp_ieee_overflow 0
		.amdhsa_exception_fp_ieee_underflow 0
		.amdhsa_exception_fp_ieee_inexact 0
		.amdhsa_exception_int_div_zero 0
	.end_amdhsa_kernel
	.section	.text._ZN9rocsparseL19gebsrmvn_3xn_kernelILj128ELj7ELj8E21rocsparse_complex_numIfEEEvi20rocsparse_direction_NS_24const_host_device_scalarIT2_EEPKiS8_PKS5_SA_S6_PS5_21rocsparse_index_base_b,"axG",@progbits,_ZN9rocsparseL19gebsrmvn_3xn_kernelILj128ELj7ELj8E21rocsparse_complex_numIfEEEvi20rocsparse_direction_NS_24const_host_device_scalarIT2_EEPKiS8_PKS5_SA_S6_PS5_21rocsparse_index_base_b,comdat
.Lfunc_end100:
	.size	_ZN9rocsparseL19gebsrmvn_3xn_kernelILj128ELj7ELj8E21rocsparse_complex_numIfEEEvi20rocsparse_direction_NS_24const_host_device_scalarIT2_EEPKiS8_PKS5_SA_S6_PS5_21rocsparse_index_base_b, .Lfunc_end100-_ZN9rocsparseL19gebsrmvn_3xn_kernelILj128ELj7ELj8E21rocsparse_complex_numIfEEEvi20rocsparse_direction_NS_24const_host_device_scalarIT2_EEPKiS8_PKS5_SA_S6_PS5_21rocsparse_index_base_b
                                        ; -- End function
	.set _ZN9rocsparseL19gebsrmvn_3xn_kernelILj128ELj7ELj8E21rocsparse_complex_numIfEEEvi20rocsparse_direction_NS_24const_host_device_scalarIT2_EEPKiS8_PKS5_SA_S6_PS5_21rocsparse_index_base_b.num_vgpr, 73
	.set _ZN9rocsparseL19gebsrmvn_3xn_kernelILj128ELj7ELj8E21rocsparse_complex_numIfEEEvi20rocsparse_direction_NS_24const_host_device_scalarIT2_EEPKiS8_PKS5_SA_S6_PS5_21rocsparse_index_base_b.num_agpr, 0
	.set _ZN9rocsparseL19gebsrmvn_3xn_kernelILj128ELj7ELj8E21rocsparse_complex_numIfEEEvi20rocsparse_direction_NS_24const_host_device_scalarIT2_EEPKiS8_PKS5_SA_S6_PS5_21rocsparse_index_base_b.numbered_sgpr, 16
	.set _ZN9rocsparseL19gebsrmvn_3xn_kernelILj128ELj7ELj8E21rocsparse_complex_numIfEEEvi20rocsparse_direction_NS_24const_host_device_scalarIT2_EEPKiS8_PKS5_SA_S6_PS5_21rocsparse_index_base_b.num_named_barrier, 0
	.set _ZN9rocsparseL19gebsrmvn_3xn_kernelILj128ELj7ELj8E21rocsparse_complex_numIfEEEvi20rocsparse_direction_NS_24const_host_device_scalarIT2_EEPKiS8_PKS5_SA_S6_PS5_21rocsparse_index_base_b.private_seg_size, 0
	.set _ZN9rocsparseL19gebsrmvn_3xn_kernelILj128ELj7ELj8E21rocsparse_complex_numIfEEEvi20rocsparse_direction_NS_24const_host_device_scalarIT2_EEPKiS8_PKS5_SA_S6_PS5_21rocsparse_index_base_b.uses_vcc, 1
	.set _ZN9rocsparseL19gebsrmvn_3xn_kernelILj128ELj7ELj8E21rocsparse_complex_numIfEEEvi20rocsparse_direction_NS_24const_host_device_scalarIT2_EEPKiS8_PKS5_SA_S6_PS5_21rocsparse_index_base_b.uses_flat_scratch, 0
	.set _ZN9rocsparseL19gebsrmvn_3xn_kernelILj128ELj7ELj8E21rocsparse_complex_numIfEEEvi20rocsparse_direction_NS_24const_host_device_scalarIT2_EEPKiS8_PKS5_SA_S6_PS5_21rocsparse_index_base_b.has_dyn_sized_stack, 0
	.set _ZN9rocsparseL19gebsrmvn_3xn_kernelILj128ELj7ELj8E21rocsparse_complex_numIfEEEvi20rocsparse_direction_NS_24const_host_device_scalarIT2_EEPKiS8_PKS5_SA_S6_PS5_21rocsparse_index_base_b.has_recursion, 0
	.set _ZN9rocsparseL19gebsrmvn_3xn_kernelILj128ELj7ELj8E21rocsparse_complex_numIfEEEvi20rocsparse_direction_NS_24const_host_device_scalarIT2_EEPKiS8_PKS5_SA_S6_PS5_21rocsparse_index_base_b.has_indirect_call, 0
	.section	.AMDGPU.csdata,"",@progbits
; Kernel info:
; codeLenInByte = 4380
; TotalNumSgprs: 18
; NumVgprs: 73
; ScratchSize: 0
; MemoryBound: 0
; FloatMode: 240
; IeeeMode: 1
; LDSByteSize: 0 bytes/workgroup (compile time only)
; SGPRBlocks: 0
; VGPRBlocks: 9
; NumSGPRsForWavesPerEU: 18
; NumVGPRsForWavesPerEU: 73
; Occupancy: 12
; WaveLimiterHint : 1
; COMPUTE_PGM_RSRC2:SCRATCH_EN: 0
; COMPUTE_PGM_RSRC2:USER_SGPR: 6
; COMPUTE_PGM_RSRC2:TRAP_HANDLER: 0
; COMPUTE_PGM_RSRC2:TGID_X_EN: 1
; COMPUTE_PGM_RSRC2:TGID_Y_EN: 0
; COMPUTE_PGM_RSRC2:TGID_Z_EN: 0
; COMPUTE_PGM_RSRC2:TIDIG_COMP_CNT: 0
	.section	.text._ZN9rocsparseL19gebsrmvn_3xn_kernelILj128ELj7ELj16E21rocsparse_complex_numIfEEEvi20rocsparse_direction_NS_24const_host_device_scalarIT2_EEPKiS8_PKS5_SA_S6_PS5_21rocsparse_index_base_b,"axG",@progbits,_ZN9rocsparseL19gebsrmvn_3xn_kernelILj128ELj7ELj16E21rocsparse_complex_numIfEEEvi20rocsparse_direction_NS_24const_host_device_scalarIT2_EEPKiS8_PKS5_SA_S6_PS5_21rocsparse_index_base_b,comdat
	.globl	_ZN9rocsparseL19gebsrmvn_3xn_kernelILj128ELj7ELj16E21rocsparse_complex_numIfEEEvi20rocsparse_direction_NS_24const_host_device_scalarIT2_EEPKiS8_PKS5_SA_S6_PS5_21rocsparse_index_base_b ; -- Begin function _ZN9rocsparseL19gebsrmvn_3xn_kernelILj128ELj7ELj16E21rocsparse_complex_numIfEEEvi20rocsparse_direction_NS_24const_host_device_scalarIT2_EEPKiS8_PKS5_SA_S6_PS5_21rocsparse_index_base_b
	.p2align	8
	.type	_ZN9rocsparseL19gebsrmvn_3xn_kernelILj128ELj7ELj16E21rocsparse_complex_numIfEEEvi20rocsparse_direction_NS_24const_host_device_scalarIT2_EEPKiS8_PKS5_SA_S6_PS5_21rocsparse_index_base_b,@function
_ZN9rocsparseL19gebsrmvn_3xn_kernelILj128ELj7ELj16E21rocsparse_complex_numIfEEEvi20rocsparse_direction_NS_24const_host_device_scalarIT2_EEPKiS8_PKS5_SA_S6_PS5_21rocsparse_index_base_b: ; @_ZN9rocsparseL19gebsrmvn_3xn_kernelILj128ELj7ELj16E21rocsparse_complex_numIfEEEvi20rocsparse_direction_NS_24const_host_device_scalarIT2_EEPKiS8_PKS5_SA_S6_PS5_21rocsparse_index_base_b
; %bb.0:
	s_clause 0x2
	s_load_dwordx2 s[2:3], s[4:5], 0x40
	s_load_dwordx2 s[0:1], s[4:5], 0x8
	s_load_dwordx2 s[8:9], s[4:5], 0x30
	s_add_u32 s7, s4, 8
	s_addc_u32 s10, s5, 0
	s_add_u32 s11, s4, 48
	s_addc_u32 s12, s5, 0
	s_waitcnt lgkmcnt(0)
	s_bitcmp1_b32 s3, 0
	s_cselect_b32 s0, s7, s0
	s_cselect_b32 s1, s10, s1
	v_mov_b32_e32 v1, s0
	v_mov_b32_e32 v2, s1
	s_cselect_b32 s0, s11, s8
	s_cselect_b32 s1, s12, s9
	v_mov_b32_e32 v3, s0
	v_mov_b32_e32 v4, s1
	flat_load_dwordx2 v[1:2], v[1:2]
	flat_load_dwordx2 v[3:4], v[3:4]
	s_waitcnt vmcnt(1) lgkmcnt(1)
	v_cmp_eq_f32_e32 vcc_lo, 0, v1
	v_cmp_eq_f32_e64 s0, 0, v2
	s_and_b32 s3, vcc_lo, s0
	s_mov_b32 s0, -1
	s_and_saveexec_b32 s1, s3
	s_cbranch_execz .LBB101_2
; %bb.1:
	s_waitcnt vmcnt(0) lgkmcnt(0)
	v_cmp_neq_f32_e32 vcc_lo, 1.0, v3
	v_cmp_neq_f32_e64 s0, 0, v4
	s_or_b32 s0, vcc_lo, s0
	s_orn2_b32 s0, s0, exec_lo
.LBB101_2:
	s_or_b32 exec_lo, exec_lo, s1
	s_and_saveexec_b32 s1, s0
	s_cbranch_execz .LBB101_21
; %bb.3:
	s_load_dwordx2 s[0:1], s[4:5], 0x0
	v_lshrrev_b32_e32 v5, 4, v0
	v_lshl_or_b32 v5, s6, 3, v5
	s_waitcnt lgkmcnt(0)
	v_cmp_gt_i32_e32 vcc_lo, s0, v5
	s_and_b32 exec_lo, exec_lo, vcc_lo
	s_cbranch_execz .LBB101_21
; %bb.4:
	s_load_dwordx8 s[8:15], s[4:5], 0x10
	v_ashrrev_i32_e32 v6, 31, v5
	v_and_b32_e32 v0, 15, v0
	s_cmp_lg_u32 s1, 0
	v_lshlrev_b64 v[6:7], 2, v[5:6]
	s_waitcnt lgkmcnt(0)
	v_add_co_u32 v6, vcc_lo, s8, v6
	v_add_co_ci_u32_e64 v7, null, s9, v7, vcc_lo
	global_load_dwordx2 v[6:7], v[6:7], off
	s_waitcnt vmcnt(0)
	v_subrev_nc_u32_e32 v6, s2, v6
	v_subrev_nc_u32_e32 v17, s2, v7
	v_add_nc_u32_e32 v6, v6, v0
	v_cmp_lt_i32_e64 s0, v6, v17
	s_cbranch_scc0 .LBB101_10
; %bb.5:
	v_mov_b32_e32 v14, 0
	v_mov_b32_e32 v19, 0
	;; [unrolled: 1-line block ×6, first 2 shown]
	s_and_saveexec_b32 s1, s0
	s_cbranch_execz .LBB101_9
; %bb.6:
	v_mad_u64_u32 v[7:8], null, v6, 21, 20
	v_mov_b32_e32 v10, 0
	v_mov_b32_e32 v11, v6
	;; [unrolled: 1-line block ×8, first 2 shown]
	s_mov_b32 s3, 0
.LBB101_7:                              ; =>This Inner Loop Header: Depth=1
	v_ashrrev_i32_e32 v12, 31, v11
	v_mov_b32_e32 v13, v10
	v_lshlrev_b64 v[8:9], 2, v[11:12]
	v_add_nc_u32_e32 v11, 16, v11
	v_add_co_u32 v8, vcc_lo, s10, v8
	v_add_co_ci_u32_e64 v9, null, s11, v9, vcc_lo
	global_load_dword v12, v[8:9], off
	v_subrev_nc_u32_e32 v9, 20, v7
	v_mov_b32_e32 v8, v10
	v_lshlrev_b64 v[21:22], 3, v[9:10]
	v_subrev_nc_u32_e32 v9, 19, v7
	v_lshlrev_b64 v[23:24], 3, v[7:8]
	v_lshlrev_b64 v[25:26], 3, v[9:10]
	v_subrev_nc_u32_e32 v9, 18, v7
	v_add_co_u32 v21, vcc_lo, s12, v21
	v_add_co_ci_u32_e64 v22, null, s13, v22, vcc_lo
	v_lshlrev_b64 v[27:28], 3, v[9:10]
	v_subrev_nc_u32_e32 v9, 17, v7
	v_add_co_u32 v23, vcc_lo, s12, v23
	v_add_co_ci_u32_e64 v24, null, s13, v24, vcc_lo
	v_lshlrev_b64 v[8:9], 3, v[9:10]
	v_add_co_u32 v25, vcc_lo, s12, v25
	v_add_co_ci_u32_e64 v26, null, s13, v26, vcc_lo
	v_add_co_u32 v27, vcc_lo, s12, v27
	v_add_co_ci_u32_e64 v28, null, s13, v28, vcc_lo
	;; [unrolled: 2-line block ×3, first 2 shown]
	s_clause 0x3
	global_load_dwordx2 v[21:22], v[21:22], off
	global_load_dwordx2 v[25:26], v[25:26], off
	;; [unrolled: 1-line block ×4, first 2 shown]
	s_waitcnt vmcnt(4)
	v_subrev_nc_u32_e32 v8, s2, v12
	v_mul_lo_u32 v12, v8, 7
	v_add_nc_u32_e32 v9, 1, v12
	v_lshlrev_b64 v[31:32], 3, v[12:13]
	v_lshlrev_b64 v[33:34], 3, v[9:10]
	v_add_nc_u32_e32 v9, -16, v7
	v_add_co_u32 v31, vcc_lo, s14, v31
	v_add_co_ci_u32_e64 v32, null, s15, v32, vcc_lo
	v_lshlrev_b64 v[35:36], 3, v[9:10]
	v_add_nc_u32_e32 v9, -15, v7
	v_add_co_u32 v33, vcc_lo, s14, v33
	global_load_dwordx2 v[31:32], v[31:32], off
	v_add_co_ci_u32_e64 v34, null, s15, v34, vcc_lo
	v_lshlrev_b64 v[37:38], 3, v[9:10]
	v_add_nc_u32_e32 v9, -14, v7
	v_add_co_u32 v35, vcc_lo, s12, v35
	v_add_co_ci_u32_e64 v36, null, s13, v36, vcc_lo
	v_lshlrev_b64 v[39:40], 3, v[9:10]
	v_add_nc_u32_e32 v9, 2, v12
	v_add_co_u32 v37, vcc_lo, s12, v37
	v_add_co_ci_u32_e64 v38, null, s13, v38, vcc_lo
	v_lshlrev_b64 v[41:42], 3, v[9:10]
	v_add_nc_u32_e32 v9, -13, v7
	v_add_co_u32 v39, vcc_lo, s12, v39
	v_add_co_ci_u32_e64 v40, null, s13, v40, vcc_lo
	v_lshlrev_b64 v[43:44], 3, v[9:10]
	v_add_nc_u32_e32 v9, -12, v7
	v_add_co_u32 v41, vcc_lo, s14, v41
	global_load_dwordx2 v[33:34], v[33:34], off
	s_clause 0x2
	global_load_dwordx2 v[35:36], v[35:36], off
	global_load_dwordx2 v[37:38], v[37:38], off
	;; [unrolled: 1-line block ×3, first 2 shown]
	v_lshlrev_b64 v[45:46], 3, v[9:10]
	v_add_nc_u32_e32 v9, -11, v7
	v_add_co_ci_u32_e64 v42, null, s15, v42, vcc_lo
	v_add_co_u32 v43, vcc_lo, s12, v43
	v_lshlrev_b64 v[47:48], 3, v[9:10]
	v_add_nc_u32_e32 v9, 3, v12
	v_add_co_ci_u32_e64 v44, null, s13, v44, vcc_lo
	v_add_co_u32 v45, vcc_lo, s12, v45
	v_lshlrev_b64 v[49:50], 3, v[9:10]
	v_add_nc_u32_e32 v9, -10, v7
	v_add_co_ci_u32_e64 v46, null, s13, v46, vcc_lo
	v_add_co_u32 v47, vcc_lo, s12, v47
	v_lshlrev_b64 v[51:52], 3, v[9:10]
	v_add_nc_u32_e32 v9, -9, v7
	;; [unrolled: 4-line block ×3, first 2 shown]
	v_add_co_ci_u32_e64 v50, null, s15, v50, vcc_lo
	v_add_co_u32 v51, vcc_lo, s12, v51
	v_lshlrev_b64 v[55:56], 3, v[9:10]
	v_add_nc_u32_e32 v9, 4, v12
	global_load_dwordx2 v[41:42], v[41:42], off
	s_clause 0x2
	global_load_dwordx2 v[43:44], v[43:44], off
	global_load_dwordx2 v[45:46], v[45:46], off
	;; [unrolled: 1-line block ×3, first 2 shown]
	v_lshlrev_b64 v[57:58], 3, v[9:10]
	v_add_nc_u32_e32 v9, -7, v7
	v_add_co_ci_u32_e64 v52, null, s13, v52, vcc_lo
	v_add_co_u32 v53, vcc_lo, s12, v53
	v_lshlrev_b64 v[59:60], 3, v[9:10]
	v_add_nc_u32_e32 v9, -6, v7
	v_add_co_ci_u32_e64 v54, null, s13, v54, vcc_lo
	v_add_co_u32 v55, vcc_lo, s12, v55
	;; [unrolled: 4-line block ×3, first 2 shown]
	v_lshlrev_b64 v[63:64], 3, v[9:10]
	v_add_nc_u32_e32 v9, 5, v12
	v_add_co_ci_u32_e64 v58, null, s15, v58, vcc_lo
	v_add_co_u32 v59, vcc_lo, s12, v59
	v_lshlrev_b64 v[65:66], 3, v[9:10]
	v_add_nc_u32_e32 v9, -4, v7
	v_add_co_ci_u32_e64 v60, null, s13, v60, vcc_lo
	v_add_co_u32 v61, vcc_lo, s12, v61
	v_lshlrev_b64 v[67:68], 3, v[9:10]
	v_add_nc_u32_e32 v9, -3, v7
	global_load_dwordx2 v[49:50], v[49:50], off
	s_clause 0x2
	global_load_dwordx2 v[51:52], v[51:52], off
	global_load_dwordx2 v[53:54], v[53:54], off
	;; [unrolled: 1-line block ×3, first 2 shown]
	v_add_co_ci_u32_e64 v62, null, s13, v62, vcc_lo
	v_add_co_u32 v63, vcc_lo, s12, v63
	v_add_co_ci_u32_e64 v64, null, s13, v64, vcc_lo
	v_add_co_u32 v65, vcc_lo, s14, v65
	v_lshlrev_b64 v[69:70], 3, v[9:10]
	v_add_nc_u32_e32 v9, -2, v7
	v_add_co_ci_u32_e64 v66, null, s15, v66, vcc_lo
	v_add_co_u32 v67, vcc_lo, s12, v67
	v_add_co_ci_u32_e64 v68, null, s13, v68, vcc_lo
	v_lshlrev_b64 v[71:72], 3, v[9:10]
	v_add_nc_u32_e32 v9, 6, v12
	global_load_dwordx2 v[57:58], v[57:58], off
	s_clause 0x3
	global_load_dwordx2 v[59:60], v[59:60], off
	global_load_dwordx2 v[61:62], v[61:62], off
	;; [unrolled: 1-line block ×4, first 2 shown]
	v_add_co_u32 v67, vcc_lo, s12, v69
	v_add_co_ci_u32_e64 v68, null, s13, v70, vcc_lo
	v_lshlrev_b64 v[69:70], 3, v[9:10]
	v_add_nc_u32_e32 v9, -1, v7
	global_load_dwordx2 v[65:66], v[65:66], off
	v_add_co_u32 v71, vcc_lo, s12, v71
	global_load_dwordx2 v[67:68], v[67:68], off
	v_lshlrev_b64 v[8:9], 3, v[9:10]
	v_add_co_ci_u32_e64 v72, null, s13, v72, vcc_lo
	v_add_co_u32 v69, vcc_lo, s14, v69
	v_add_co_ci_u32_e64 v70, null, s15, v70, vcc_lo
	v_add_co_u32 v8, vcc_lo, s12, v8
	v_add_co_ci_u32_e64 v9, null, s13, v9, vcc_lo
	global_load_dwordx2 v[71:72], v[71:72], off
	global_load_dwordx2 v[69:70], v[69:70], off
	s_clause 0x1
	global_load_dwordx2 v[8:9], v[8:9], off
	global_load_dwordx2 v[23:24], v[23:24], off
	v_cmp_ge_i32_e32 vcc_lo, v11, v17
	v_add_nc_u32_e32 v7, 0x150, v7
	s_or_b32 s3, vcc_lo, s3
	s_waitcnt vmcnt(23)
	v_fmac_f32_e32 v19, v21, v31
	v_fmac_f32_e32 v14, v22, v31
	v_fmac_f32_e32 v20, v25, v31
	v_fmac_f32_e32 v16, v26, v31
	v_fmac_f32_e32 v18, v27, v31
	v_fmac_f32_e32 v15, v28, v31
	v_fma_f32 v19, -v22, v32, v19
	v_fmac_f32_e32 v14, v21, v32
	v_fma_f32 v20, -v26, v32, v20
	v_fmac_f32_e32 v16, v25, v32
	v_fma_f32 v18, -v28, v32, v18
	v_fmac_f32_e32 v15, v27, v32
	s_waitcnt vmcnt(22)
	v_fmac_f32_e32 v19, v29, v33
	v_fmac_f32_e32 v14, v30, v33
	s_waitcnt vmcnt(21)
	v_fmac_f32_e32 v20, v35, v33
	v_fmac_f32_e32 v16, v36, v33
	s_waitcnt vmcnt(20)
	v_fmac_f32_e32 v18, v37, v33
	v_fmac_f32_e32 v15, v38, v33
	v_fma_f32 v19, -v30, v34, v19
	v_fmac_f32_e32 v14, v29, v34
	v_fma_f32 v20, -v36, v34, v20
	v_fmac_f32_e32 v16, v35, v34
	v_fma_f32 v18, -v38, v34, v18
	v_fmac_f32_e32 v15, v37, v34
	s_waitcnt vmcnt(18)
	v_fmac_f32_e32 v19, v39, v41
	v_fmac_f32_e32 v14, v40, v41
	s_waitcnt vmcnt(17)
	v_fmac_f32_e32 v20, v43, v41
	v_fmac_f32_e32 v16, v44, v41
	s_waitcnt vmcnt(16)
	v_fmac_f32_e32 v18, v45, v41
	v_fmac_f32_e32 v15, v46, v41
	;; [unrolled: 15-line block ×4, first 2 shown]
	v_fma_f32 v19, -v56, v58, v19
	v_fmac_f32_e32 v14, v55, v58
	v_fma_f32 v20, -v60, v58, v20
	v_fmac_f32_e32 v16, v59, v58
	;; [unrolled: 2-line block ×3, first 2 shown]
	s_waitcnt vmcnt(5)
	v_fmac_f32_e32 v19, v63, v65
	v_fmac_f32_e32 v14, v64, v65
	;; [unrolled: 1-line block ×4, first 2 shown]
	s_waitcnt vmcnt(4)
	v_fmac_f32_e32 v18, v67, v65
	v_fmac_f32_e32 v15, v68, v65
	v_fma_f32 v19, -v64, v66, v19
	v_fmac_f32_e32 v14, v63, v66
	v_fma_f32 v13, -v13, v66, v20
	;; [unrolled: 2-line block ×3, first 2 shown]
	v_fmac_f32_e32 v15, v67, v66
	s_waitcnt vmcnt(2)
	v_fmac_f32_e32 v19, v71, v69
	v_fmac_f32_e32 v14, v72, v69
	s_waitcnt vmcnt(1)
	v_fmac_f32_e32 v13, v8, v69
	;; [unrolled: 3-line block ×3, first 2 shown]
	v_fmac_f32_e32 v15, v24, v69
	v_fma_f32 v19, -v72, v70, v19
	v_fmac_f32_e32 v14, v71, v70
	v_fma_f32 v20, -v9, v70, v13
	;; [unrolled: 2-line block ×3, first 2 shown]
	v_fmac_f32_e32 v15, v23, v70
	s_andn2_b32 exec_lo, exec_lo, s3
	s_cbranch_execnz .LBB101_7
; %bb.8:
	s_or_b32 exec_lo, exec_lo, s3
.LBB101_9:
	s_or_b32 exec_lo, exec_lo, s1
	s_cbranch_execz .LBB101_11
	s_branch .LBB101_16
.LBB101_10:
                                        ; implicit-def: $vgpr14
                                        ; implicit-def: $vgpr19
                                        ; implicit-def: $vgpr18
                                        ; implicit-def: $vgpr15
                                        ; implicit-def: $vgpr20
                                        ; implicit-def: $vgpr16
.LBB101_11:
	v_mov_b32_e32 v14, 0
	v_mov_b32_e32 v19, 0
	v_mov_b32_e32 v18, 0
	v_mov_b32_e32 v15, 0
	v_mov_b32_e32 v20, 0
	v_mov_b32_e32 v16, 0
	s_and_saveexec_b32 s1, s0
	s_cbranch_execz .LBB101_15
; %bb.12:
	v_mad_u64_u32 v[8:9], null, v6, 21, 20
	v_mov_b32_e32 v11, 0
	v_mov_b32_e32 v14, 0
	;; [unrolled: 1-line block ×7, first 2 shown]
	s_mov_b32 s0, 0
.LBB101_13:                             ; =>This Inner Loop Header: Depth=1
	v_ashrrev_i32_e32 v7, 31, v6
	v_subrev_nc_u32_e32 v10, 20, v8
	v_add_nc_u32_e32 v21, -13, v8
	v_mov_b32_e32 v22, v11
	v_add_nc_u32_e32 v23, -6, v8
	v_lshlrev_b64 v[27:28], 2, v[6:7]
	v_mov_b32_e32 v24, v11
	v_lshlrev_b64 v[25:26], 3, v[10:11]
	v_mov_b32_e32 v9, v11
	v_lshlrev_b64 v[21:22], 3, v[21:22]
	v_subrev_nc_u32_e32 v10, 19, v8
	v_add_co_u32 v27, vcc_lo, s10, v27
	v_add_co_ci_u32_e64 v28, null, s11, v28, vcc_lo
	v_lshlrev_b64 v[23:24], 3, v[23:24]
	v_lshlrev_b64 v[29:30], 3, v[8:9]
	v_add_co_u32 v25, vcc_lo, s12, v25
	global_load_dword v7, v[27:28], off
	v_lshlrev_b64 v[9:10], 3, v[10:11]
	v_add_co_ci_u32_e64 v26, null, s13, v26, vcc_lo
	v_add_co_u32 v21, vcc_lo, s12, v21
	v_add_co_ci_u32_e64 v22, null, s13, v22, vcc_lo
	v_add_co_u32 v23, vcc_lo, s12, v23
	v_add_co_ci_u32_e64 v24, null, s13, v24, vcc_lo
	v_add_co_u32 v29, vcc_lo, s12, v29
	v_add_co_ci_u32_e64 v30, null, s13, v30, vcc_lo
	v_add_co_u32 v27, vcc_lo, s12, v9
	v_add_co_ci_u32_e64 v28, null, s13, v10, vcc_lo
	v_mov_b32_e32 v13, v11
	v_add_nc_u32_e32 v6, 16, v6
	s_waitcnt vmcnt(0)
	v_subrev_nc_u32_e32 v7, s2, v7
	v_mul_lo_u32 v12, v7, 7
	v_add_nc_u32_e32 v10, 1, v12
	v_lshlrev_b64 v[31:32], 3, v[12:13]
	v_lshlrev_b64 v[33:34], 3, v[10:11]
	v_add_nc_u32_e32 v10, -12, v8
	v_add_co_u32 v31, vcc_lo, s14, v31
	v_add_co_ci_u32_e64 v32, null, s15, v32, vcc_lo
	v_lshlrev_b64 v[35:36], 3, v[10:11]
	v_add_nc_u32_e32 v10, -5, v8
	v_add_co_u32 v33, vcc_lo, s14, v33
	v_add_co_ci_u32_e64 v34, null, s15, v34, vcc_lo
	v_lshlrev_b64 v[37:38], 3, v[10:11]
	v_subrev_nc_u32_e32 v10, 18, v8
	v_add_co_u32 v35, vcc_lo, s12, v35
	v_add_co_ci_u32_e64 v36, null, s13, v36, vcc_lo
	v_lshlrev_b64 v[39:40], 3, v[10:11]
	v_add_nc_u32_e32 v10, 2, v12
	v_add_co_u32 v37, vcc_lo, s12, v37
	v_add_co_ci_u32_e64 v38, null, s13, v38, vcc_lo
	v_lshlrev_b64 v[41:42], 3, v[10:11]
	v_add_nc_u32_e32 v10, -11, v8
	v_add_co_u32 v39, vcc_lo, s12, v39
	v_add_co_ci_u32_e64 v40, null, s13, v40, vcc_lo
	v_lshlrev_b64 v[43:44], 3, v[10:11]
	v_add_nc_u32_e32 v10, -4, v8
	v_add_co_u32 v41, vcc_lo, s14, v41
	v_add_co_ci_u32_e64 v42, null, s15, v42, vcc_lo
	v_lshlrev_b64 v[45:46], 3, v[10:11]
	v_subrev_nc_u32_e32 v10, 17, v8
	v_add_co_u32 v43, vcc_lo, s12, v43
	v_add_co_ci_u32_e64 v44, null, s13, v44, vcc_lo
	v_lshlrev_b64 v[47:48], 3, v[10:11]
	v_add_nc_u32_e32 v10, 3, v12
	v_add_co_u32 v45, vcc_lo, s12, v45
	v_add_co_ci_u32_e64 v46, null, s13, v46, vcc_lo
	v_lshlrev_b64 v[49:50], 3, v[10:11]
	v_add_nc_u32_e32 v10, -10, v8
	v_add_co_u32 v47, vcc_lo, s12, v47
	v_add_co_ci_u32_e64 v48, null, s13, v48, vcc_lo
	v_lshlrev_b64 v[51:52], 3, v[10:11]
	v_add_nc_u32_e32 v10, -3, v8
	;; [unrolled: 4-line block ×3, first 2 shown]
	v_add_co_u32 v51, vcc_lo, s12, v51
	v_add_co_ci_u32_e64 v52, null, s13, v52, vcc_lo
	v_lshlrev_b64 v[55:56], 3, v[10:11]
	v_add_nc_u32_e32 v10, 4, v12
	v_add_co_u32 v53, vcc_lo, s12, v53
	v_add_co_ci_u32_e64 v54, null, s13, v54, vcc_lo
	v_lshlrev_b64 v[57:58], 3, v[10:11]
	v_add_nc_u32_e32 v10, -9, v8
	v_add_co_u32 v55, vcc_lo, s12, v55
	v_add_co_ci_u32_e64 v56, null, s13, v56, vcc_lo
	v_lshlrev_b64 v[59:60], 3, v[10:11]
	v_add_nc_u32_e32 v10, -2, v8
	v_add_co_u32 v57, vcc_lo, s14, v57
	v_add_co_ci_u32_e64 v58, null, s15, v58, vcc_lo
	v_lshlrev_b64 v[61:62], 3, v[10:11]
	v_add_nc_u32_e32 v10, -15, v8
	v_add_co_u32 v59, vcc_lo, s12, v59
	v_add_co_ci_u32_e64 v60, null, s13, v60, vcc_lo
	v_lshlrev_b64 v[9:10], 3, v[10:11]
	v_add_co_u32 v61, vcc_lo, s12, v61
	v_add_co_ci_u32_e64 v62, null, s13, v62, vcc_lo
	v_add_co_u32 v63, vcc_lo, s12, v9
	v_add_co_ci_u32_e64 v64, null, s13, v10, vcc_lo
	v_add_nc_u32_e32 v10, 5, v12
	v_lshlrev_b64 v[9:10], 3, v[10:11]
	v_add_co_u32 v65, vcc_lo, s14, v9
	v_add_co_ci_u32_e64 v66, null, s15, v10, vcc_lo
	global_load_dwordx2 v[9:10], v[25:26], off
	global_load_dwordx2 v[25:26], v[31:32], off
	s_clause 0x2
	global_load_dwordx2 v[21:22], v[21:22], off
	global_load_dwordx2 v[23:24], v[23:24], off
	;; [unrolled: 1-line block ×3, first 2 shown]
	s_waitcnt vmcnt(3)
	v_fmac_f32_e32 v19, v9, v25
	v_fmac_f32_e32 v14, v10, v25
	s_waitcnt vmcnt(2)
	v_fmac_f32_e32 v20, v21, v25
	v_fmac_f32_e32 v16, v22, v25
	s_waitcnt vmcnt(1)
	v_fmac_f32_e32 v18, v23, v25
	v_fma_f32 v7, -v10, v26, v19
	v_add_nc_u32_e32 v10, -8, v8
	v_fma_f32 v67, -v22, v26, v20
	v_fmac_f32_e32 v16, v21, v26
	v_fmac_f32_e32 v15, v24, v25
	v_fma_f32 v68, -v24, v26, v18
	v_lshlrev_b64 v[19:20], 3, v[10:11]
	v_add_nc_u32_e32 v10, -1, v8
	v_fmac_f32_e32 v14, v9, v26
	v_fmac_f32_e32 v15, v23, v26
	v_lshlrev_b64 v[21:22], 3, v[10:11]
	v_add_nc_u32_e32 v10, -14, v8
	v_add_co_u32 v18, vcc_lo, s12, v19
	v_add_co_ci_u32_e64 v19, null, s13, v20, vcc_lo
	v_lshlrev_b64 v[23:24], 3, v[10:11]
	v_add_nc_u32_e32 v10, 6, v12
	v_add_co_u32 v12, vcc_lo, s12, v21
	v_add_co_ci_u32_e64 v13, null, s13, v22, vcc_lo
	v_add_co_u32 v20, vcc_lo, s12, v23
	v_add_co_ci_u32_e64 v21, null, s13, v24, vcc_lo
	global_load_dwordx2 v[24:25], v[33:34], off
	v_lshlrev_b64 v[9:10], 3, v[10:11]
	v_add_co_u32 v22, vcc_lo, s14, v9
	v_add_co_ci_u32_e64 v23, null, s15, v10, vcc_lo
	v_add_nc_u32_e32 v10, -7, v8
	v_add_nc_u32_e32 v8, 0x150, v8
	v_lshlrev_b64 v[9:10], 3, v[10:11]
	v_add_co_u32 v9, vcc_lo, s12, v9
	v_add_co_ci_u32_e64 v10, null, s13, v10, vcc_lo
	v_cmp_ge_i32_e32 vcc_lo, v6, v17
	s_or_b32 s0, vcc_lo, s0
	s_waitcnt vmcnt(0)
	v_fmac_f32_e32 v7, v27, v24
	v_fmac_f32_e32 v14, v28, v24
	v_fma_f32 v7, -v28, v25, v7
	v_fmac_f32_e32 v14, v27, v25
	s_clause 0x2
	global_load_dwordx2 v[26:27], v[35:36], off
	global_load_dwordx2 v[31:32], v[37:38], off
	global_load_dwordx2 v[33:34], v[39:40], off
	global_load_dwordx2 v[35:36], v[41:42], off
	s_clause 0x2
	global_load_dwordx2 v[37:38], v[43:44], off
	global_load_dwordx2 v[39:40], v[45:46], off
	global_load_dwordx2 v[41:42], v[47:48], off
	global_load_dwordx2 v[43:44], v[49:50], off
	;; [unrolled: 5-line block ×5, first 2 shown]
	global_load_dwordx2 v[22:23], v[22:23], off
	global_load_dwordx2 v[9:10], v[9:10], off
	s_waitcnt vmcnt(21)
	v_fmac_f32_e32 v67, v26, v24
	v_fmac_f32_e32 v16, v27, v24
	s_waitcnt vmcnt(20)
	v_fmac_f32_e32 v68, v31, v24
	v_fmac_f32_e32 v15, v32, v24
	s_waitcnt vmcnt(18)
	v_fmac_f32_e32 v7, v33, v35
	v_fma_f32 v24, -v27, v25, v67
	v_fmac_f32_e32 v16, v26, v25
	v_fma_f32 v26, -v32, v25, v68
	v_fmac_f32_e32 v15, v31, v25
	v_fmac_f32_e32 v14, v34, v35
	s_waitcnt vmcnt(17)
	v_fmac_f32_e32 v24, v37, v35
	v_fmac_f32_e32 v16, v38, v35
	s_waitcnt vmcnt(16)
	v_fmac_f32_e32 v26, v39, v35
	v_fmac_f32_e32 v15, v40, v35
	v_fma_f32 v7, -v34, v36, v7
	v_fmac_f32_e32 v14, v33, v36
	v_fma_f32 v24, -v38, v36, v24
	v_fmac_f32_e32 v16, v37, v36
	v_fma_f32 v25, -v40, v36, v26
	v_fmac_f32_e32 v15, v39, v36
	s_waitcnt vmcnt(14)
	v_fmac_f32_e32 v7, v41, v43
	v_fmac_f32_e32 v14, v42, v43
	s_waitcnt vmcnt(13)
	v_fmac_f32_e32 v24, v45, v43
	v_fmac_f32_e32 v16, v46, v43
	s_waitcnt vmcnt(12)
	v_fmac_f32_e32 v25, v47, v43
	v_fmac_f32_e32 v15, v48, v43
	v_fma_f32 v7, -v42, v44, v7
	v_fmac_f32_e32 v14, v41, v44
	v_fma_f32 v24, -v46, v44, v24
	v_fmac_f32_e32 v16, v45, v44
	v_fma_f32 v25, -v48, v44, v25
	v_fmac_f32_e32 v15, v47, v44
	s_waitcnt vmcnt(10)
	;; [unrolled: 15-line block ×4, first 2 shown]
	v_fmac_f32_e32 v7, v20, v22
	v_fmac_f32_e32 v14, v21, v22
	s_waitcnt vmcnt(0)
	v_fmac_f32_e32 v24, v9, v22
	v_fmac_f32_e32 v13, v28, v22
	;; [unrolled: 1-line block ×4, first 2 shown]
	v_fma_f32 v19, -v21, v23, v7
	v_fmac_f32_e32 v14, v20, v23
	v_fma_f32 v18, -v29, v23, v13
	v_fmac_f32_e32 v15, v28, v23
	v_fma_f32 v20, -v10, v23, v24
	v_fmac_f32_e32 v16, v9, v23
	s_andn2_b32 exec_lo, exec_lo, s0
	s_cbranch_execnz .LBB101_13
; %bb.14:
	s_or_b32 exec_lo, exec_lo, s0
.LBB101_15:
	s_or_b32 exec_lo, exec_lo, s1
.LBB101_16:
	v_mbcnt_lo_u32_b32 v6, -1, 0
	v_xor_b32_e32 v7, 8, v6
	v_xor_b32_e32 v13, 4, v6
	v_cmp_gt_i32_e32 vcc_lo, 32, v7
	v_cndmask_b32_e32 v7, v6, v7, vcc_lo
	v_cmp_gt_i32_e32 vcc_lo, 32, v13
	v_lshlrev_b32_e32 v7, 2, v7
	v_cndmask_b32_e32 v13, v6, v13, vcc_lo
	ds_bpermute_b32 v8, v7, v19
	ds_bpermute_b32 v9, v7, v14
	ds_bpermute_b32 v10, v7, v20
	ds_bpermute_b32 v11, v7, v16
	ds_bpermute_b32 v12, v7, v18
	ds_bpermute_b32 v7, v7, v15
	v_lshlrev_b32_e32 v13, 2, v13
	s_waitcnt lgkmcnt(5)
	v_add_f32_e32 v8, v19, v8
	s_waitcnt lgkmcnt(4)
	v_add_f32_e32 v9, v14, v9
	;; [unrolled: 2-line block ×6, first 2 shown]
	ds_bpermute_b32 v14, v13, v8
	ds_bpermute_b32 v15, v13, v9
	;; [unrolled: 1-line block ×6, first 2 shown]
	v_xor_b32_e32 v19, 2, v6
	v_cmp_gt_i32_e32 vcc_lo, 32, v19
	v_cndmask_b32_e32 v19, v6, v19, vcc_lo
	s_waitcnt lgkmcnt(5)
	v_add_f32_e32 v8, v8, v14
	v_lshlrev_b32_e32 v19, 2, v19
	s_waitcnt lgkmcnt(4)
	v_add_f32_e32 v9, v9, v15
	s_waitcnt lgkmcnt(3)
	v_add_f32_e32 v10, v10, v16
	;; [unrolled: 2-line block ×5, first 2 shown]
	ds_bpermute_b32 v7, v19, v8
	ds_bpermute_b32 v11, v19, v9
	;; [unrolled: 1-line block ×6, first 2 shown]
	v_xor_b32_e32 v19, 1, v6
	v_cmp_gt_i32_e32 vcc_lo, 32, v19
	v_cndmask_b32_e32 v6, v6, v19, vcc_lo
	v_cmp_eq_u32_e32 vcc_lo, 15, v0
	v_lshlrev_b32_e32 v19, 2, v6
	s_waitcnt lgkmcnt(5)
	v_add_f32_e32 v6, v8, v7
	s_waitcnt lgkmcnt(4)
	v_add_f32_e32 v9, v9, v11
	;; [unrolled: 2-line block ×6, first 2 shown]
	ds_bpermute_b32 v10, v19, v6
	ds_bpermute_b32 v15, v19, v9
	;; [unrolled: 1-line block ×6, first 2 shown]
	s_and_b32 exec_lo, exec_lo, vcc_lo
	s_cbranch_execz .LBB101_21
; %bb.17:
	s_load_dwordx2 s[2:3], s[4:5], 0x38
	v_cmp_eq_f32_e32 vcc_lo, 0, v3
	v_cmp_eq_f32_e64 s0, 0, v4
	s_waitcnt lgkmcnt(0)
	v_add_f32_e32 v0, v6, v10
	v_add_f32_e32 v10, v9, v15
	;; [unrolled: 1-line block ×6, first 2 shown]
	s_and_b32 s0, vcc_lo, s0
	s_and_saveexec_b32 s1, s0
	s_xor_b32 s0, exec_lo, s1
	s_cbranch_execz .LBB101_19
; %bb.18:
	v_lshl_add_u32 v3, v5, 1, v5
	v_mul_f32_e64 v11, v10, -v2
	v_mul_f32_e32 v12, v1, v10
	v_mul_f32_e64 v13, v9, -v2
	v_mul_f32_e32 v14, v1, v9
	v_ashrrev_i32_e32 v4, 31, v3
	v_mul_f32_e64 v9, v8, -v2
	v_mul_f32_e32 v10, v1, v8
	v_fmac_f32_e32 v11, v1, v0
	v_fmac_f32_e32 v12, v2, v0
	v_lshlrev_b64 v[3:4], 3, v[3:4]
	v_fmac_f32_e32 v13, v1, v6
	v_fmac_f32_e32 v14, v2, v6
	;; [unrolled: 1-line block ×4, first 2 shown]
                                        ; implicit-def: $vgpr5
                                        ; implicit-def: $vgpr0
                                        ; implicit-def: $vgpr6
                                        ; implicit-def: $vgpr7
                                        ; implicit-def: $vgpr8
                                        ; implicit-def: $vgpr1_vgpr2
	v_add_co_u32 v3, vcc_lo, s2, v3
	v_add_co_ci_u32_e64 v4, null, s3, v4, vcc_lo
	global_store_dwordx4 v[3:4], v[11:14], off
	global_store_dwordx2 v[3:4], v[9:10], off offset:16
                                        ; implicit-def: $vgpr10
                                        ; implicit-def: $vgpr9
                                        ; implicit-def: $vgpr3_vgpr4
.LBB101_19:
	s_andn2_saveexec_b32 s0, s0
	s_cbranch_execz .LBB101_21
; %bb.20:
	v_lshl_add_u32 v11, v5, 1, v5
	v_mul_f32_e64 v15, v10, -v2
	v_mul_f32_e32 v16, v1, v10
	v_mul_f32_e64 v10, v9, -v2
	v_mul_f32_e32 v18, v1, v9
	v_ashrrev_i32_e32 v12, 31, v11
	v_mul_f32_e64 v9, v8, -v2
	v_mul_f32_e32 v5, v1, v8
	v_fmac_f32_e32 v15, v1, v0
	v_fmac_f32_e32 v16, v2, v0
	v_lshlrev_b64 v[11:12], 3, v[11:12]
	v_fmac_f32_e32 v10, v1, v6
	v_fmac_f32_e32 v18, v2, v6
	;; [unrolled: 1-line block ×4, first 2 shown]
	v_add_co_u32 v19, vcc_lo, s2, v11
	v_add_co_ci_u32_e64 v20, null, s3, v12, vcc_lo
	s_clause 0x1
	global_load_dwordx4 v[11:14], v[19:20], off
	global_load_dwordx2 v[21:22], v[19:20], off offset:16
	s_waitcnt vmcnt(1)
	v_fmac_f32_e32 v15, v3, v11
	v_fmac_f32_e32 v16, v4, v11
	;; [unrolled: 1-line block ×4, first 2 shown]
	s_waitcnt vmcnt(0)
	v_fmac_f32_e32 v9, v3, v21
	v_fmac_f32_e32 v5, v4, v21
	v_fma_f32 v15, -v4, v12, v15
	v_fmac_f32_e32 v16, v3, v12
	v_fma_f32 v17, -v4, v14, v10
	;; [unrolled: 2-line block ×3, first 2 shown]
	v_fmac_f32_e32 v5, v3, v22
	global_store_dwordx4 v[19:20], v[15:18], off
	global_store_dwordx2 v[19:20], v[4:5], off offset:16
.LBB101_21:
	s_endpgm
	.section	.rodata,"a",@progbits
	.p2align	6, 0x0
	.amdhsa_kernel _ZN9rocsparseL19gebsrmvn_3xn_kernelILj128ELj7ELj16E21rocsparse_complex_numIfEEEvi20rocsparse_direction_NS_24const_host_device_scalarIT2_EEPKiS8_PKS5_SA_S6_PS5_21rocsparse_index_base_b
		.amdhsa_group_segment_fixed_size 0
		.amdhsa_private_segment_fixed_size 0
		.amdhsa_kernarg_size 72
		.amdhsa_user_sgpr_count 6
		.amdhsa_user_sgpr_private_segment_buffer 1
		.amdhsa_user_sgpr_dispatch_ptr 0
		.amdhsa_user_sgpr_queue_ptr 0
		.amdhsa_user_sgpr_kernarg_segment_ptr 1
		.amdhsa_user_sgpr_dispatch_id 0
		.amdhsa_user_sgpr_flat_scratch_init 0
		.amdhsa_user_sgpr_private_segment_size 0
		.amdhsa_wavefront_size32 1
		.amdhsa_uses_dynamic_stack 0
		.amdhsa_system_sgpr_private_segment_wavefront_offset 0
		.amdhsa_system_sgpr_workgroup_id_x 1
		.amdhsa_system_sgpr_workgroup_id_y 0
		.amdhsa_system_sgpr_workgroup_id_z 0
		.amdhsa_system_sgpr_workgroup_info 0
		.amdhsa_system_vgpr_workitem_id 0
		.amdhsa_next_free_vgpr 73
		.amdhsa_next_free_sgpr 16
		.amdhsa_reserve_vcc 1
		.amdhsa_reserve_flat_scratch 0
		.amdhsa_float_round_mode_32 0
		.amdhsa_float_round_mode_16_64 0
		.amdhsa_float_denorm_mode_32 3
		.amdhsa_float_denorm_mode_16_64 3
		.amdhsa_dx10_clamp 1
		.amdhsa_ieee_mode 1
		.amdhsa_fp16_overflow 0
		.amdhsa_workgroup_processor_mode 1
		.amdhsa_memory_ordered 1
		.amdhsa_forward_progress 1
		.amdhsa_shared_vgpr_count 0
		.amdhsa_exception_fp_ieee_invalid_op 0
		.amdhsa_exception_fp_denorm_src 0
		.amdhsa_exception_fp_ieee_div_zero 0
		.amdhsa_exception_fp_ieee_overflow 0
		.amdhsa_exception_fp_ieee_underflow 0
		.amdhsa_exception_fp_ieee_inexact 0
		.amdhsa_exception_int_div_zero 0
	.end_amdhsa_kernel
	.section	.text._ZN9rocsparseL19gebsrmvn_3xn_kernelILj128ELj7ELj16E21rocsparse_complex_numIfEEEvi20rocsparse_direction_NS_24const_host_device_scalarIT2_EEPKiS8_PKS5_SA_S6_PS5_21rocsparse_index_base_b,"axG",@progbits,_ZN9rocsparseL19gebsrmvn_3xn_kernelILj128ELj7ELj16E21rocsparse_complex_numIfEEEvi20rocsparse_direction_NS_24const_host_device_scalarIT2_EEPKiS8_PKS5_SA_S6_PS5_21rocsparse_index_base_b,comdat
.Lfunc_end101:
	.size	_ZN9rocsparseL19gebsrmvn_3xn_kernelILj128ELj7ELj16E21rocsparse_complex_numIfEEEvi20rocsparse_direction_NS_24const_host_device_scalarIT2_EEPKiS8_PKS5_SA_S6_PS5_21rocsparse_index_base_b, .Lfunc_end101-_ZN9rocsparseL19gebsrmvn_3xn_kernelILj128ELj7ELj16E21rocsparse_complex_numIfEEEvi20rocsparse_direction_NS_24const_host_device_scalarIT2_EEPKiS8_PKS5_SA_S6_PS5_21rocsparse_index_base_b
                                        ; -- End function
	.set _ZN9rocsparseL19gebsrmvn_3xn_kernelILj128ELj7ELj16E21rocsparse_complex_numIfEEEvi20rocsparse_direction_NS_24const_host_device_scalarIT2_EEPKiS8_PKS5_SA_S6_PS5_21rocsparse_index_base_b.num_vgpr, 73
	.set _ZN9rocsparseL19gebsrmvn_3xn_kernelILj128ELj7ELj16E21rocsparse_complex_numIfEEEvi20rocsparse_direction_NS_24const_host_device_scalarIT2_EEPKiS8_PKS5_SA_S6_PS5_21rocsparse_index_base_b.num_agpr, 0
	.set _ZN9rocsparseL19gebsrmvn_3xn_kernelILj128ELj7ELj16E21rocsparse_complex_numIfEEEvi20rocsparse_direction_NS_24const_host_device_scalarIT2_EEPKiS8_PKS5_SA_S6_PS5_21rocsparse_index_base_b.numbered_sgpr, 16
	.set _ZN9rocsparseL19gebsrmvn_3xn_kernelILj128ELj7ELj16E21rocsparse_complex_numIfEEEvi20rocsparse_direction_NS_24const_host_device_scalarIT2_EEPKiS8_PKS5_SA_S6_PS5_21rocsparse_index_base_b.num_named_barrier, 0
	.set _ZN9rocsparseL19gebsrmvn_3xn_kernelILj128ELj7ELj16E21rocsparse_complex_numIfEEEvi20rocsparse_direction_NS_24const_host_device_scalarIT2_EEPKiS8_PKS5_SA_S6_PS5_21rocsparse_index_base_b.private_seg_size, 0
	.set _ZN9rocsparseL19gebsrmvn_3xn_kernelILj128ELj7ELj16E21rocsparse_complex_numIfEEEvi20rocsparse_direction_NS_24const_host_device_scalarIT2_EEPKiS8_PKS5_SA_S6_PS5_21rocsparse_index_base_b.uses_vcc, 1
	.set _ZN9rocsparseL19gebsrmvn_3xn_kernelILj128ELj7ELj16E21rocsparse_complex_numIfEEEvi20rocsparse_direction_NS_24const_host_device_scalarIT2_EEPKiS8_PKS5_SA_S6_PS5_21rocsparse_index_base_b.uses_flat_scratch, 0
	.set _ZN9rocsparseL19gebsrmvn_3xn_kernelILj128ELj7ELj16E21rocsparse_complex_numIfEEEvi20rocsparse_direction_NS_24const_host_device_scalarIT2_EEPKiS8_PKS5_SA_S6_PS5_21rocsparse_index_base_b.has_dyn_sized_stack, 0
	.set _ZN9rocsparseL19gebsrmvn_3xn_kernelILj128ELj7ELj16E21rocsparse_complex_numIfEEEvi20rocsparse_direction_NS_24const_host_device_scalarIT2_EEPKiS8_PKS5_SA_S6_PS5_21rocsparse_index_base_b.has_recursion, 0
	.set _ZN9rocsparseL19gebsrmvn_3xn_kernelILj128ELj7ELj16E21rocsparse_complex_numIfEEEvi20rocsparse_direction_NS_24const_host_device_scalarIT2_EEPKiS8_PKS5_SA_S6_PS5_21rocsparse_index_base_b.has_indirect_call, 0
	.section	.AMDGPU.csdata,"",@progbits
; Kernel info:
; codeLenInByte = 4492
; TotalNumSgprs: 18
; NumVgprs: 73
; ScratchSize: 0
; MemoryBound: 0
; FloatMode: 240
; IeeeMode: 1
; LDSByteSize: 0 bytes/workgroup (compile time only)
; SGPRBlocks: 0
; VGPRBlocks: 9
; NumSGPRsForWavesPerEU: 18
; NumVGPRsForWavesPerEU: 73
; Occupancy: 12
; WaveLimiterHint : 1
; COMPUTE_PGM_RSRC2:SCRATCH_EN: 0
; COMPUTE_PGM_RSRC2:USER_SGPR: 6
; COMPUTE_PGM_RSRC2:TRAP_HANDLER: 0
; COMPUTE_PGM_RSRC2:TGID_X_EN: 1
; COMPUTE_PGM_RSRC2:TGID_Y_EN: 0
; COMPUTE_PGM_RSRC2:TGID_Z_EN: 0
; COMPUTE_PGM_RSRC2:TIDIG_COMP_CNT: 0
	.section	.text._ZN9rocsparseL19gebsrmvn_3xn_kernelILj128ELj7ELj32E21rocsparse_complex_numIfEEEvi20rocsparse_direction_NS_24const_host_device_scalarIT2_EEPKiS8_PKS5_SA_S6_PS5_21rocsparse_index_base_b,"axG",@progbits,_ZN9rocsparseL19gebsrmvn_3xn_kernelILj128ELj7ELj32E21rocsparse_complex_numIfEEEvi20rocsparse_direction_NS_24const_host_device_scalarIT2_EEPKiS8_PKS5_SA_S6_PS5_21rocsparse_index_base_b,comdat
	.globl	_ZN9rocsparseL19gebsrmvn_3xn_kernelILj128ELj7ELj32E21rocsparse_complex_numIfEEEvi20rocsparse_direction_NS_24const_host_device_scalarIT2_EEPKiS8_PKS5_SA_S6_PS5_21rocsparse_index_base_b ; -- Begin function _ZN9rocsparseL19gebsrmvn_3xn_kernelILj128ELj7ELj32E21rocsparse_complex_numIfEEEvi20rocsparse_direction_NS_24const_host_device_scalarIT2_EEPKiS8_PKS5_SA_S6_PS5_21rocsparse_index_base_b
	.p2align	8
	.type	_ZN9rocsparseL19gebsrmvn_3xn_kernelILj128ELj7ELj32E21rocsparse_complex_numIfEEEvi20rocsparse_direction_NS_24const_host_device_scalarIT2_EEPKiS8_PKS5_SA_S6_PS5_21rocsparse_index_base_b,@function
_ZN9rocsparseL19gebsrmvn_3xn_kernelILj128ELj7ELj32E21rocsparse_complex_numIfEEEvi20rocsparse_direction_NS_24const_host_device_scalarIT2_EEPKiS8_PKS5_SA_S6_PS5_21rocsparse_index_base_b: ; @_ZN9rocsparseL19gebsrmvn_3xn_kernelILj128ELj7ELj32E21rocsparse_complex_numIfEEEvi20rocsparse_direction_NS_24const_host_device_scalarIT2_EEPKiS8_PKS5_SA_S6_PS5_21rocsparse_index_base_b
; %bb.0:
	s_clause 0x2
	s_load_dwordx2 s[2:3], s[4:5], 0x40
	s_load_dwordx2 s[0:1], s[4:5], 0x8
	;; [unrolled: 1-line block ×3, first 2 shown]
	s_add_u32 s7, s4, 8
	s_addc_u32 s10, s5, 0
	s_add_u32 s11, s4, 48
	s_addc_u32 s12, s5, 0
	s_waitcnt lgkmcnt(0)
	s_bitcmp1_b32 s3, 0
	s_cselect_b32 s0, s7, s0
	s_cselect_b32 s1, s10, s1
	v_mov_b32_e32 v1, s0
	v_mov_b32_e32 v2, s1
	s_cselect_b32 s0, s11, s8
	s_cselect_b32 s1, s12, s9
	v_mov_b32_e32 v3, s0
	v_mov_b32_e32 v4, s1
	flat_load_dwordx2 v[1:2], v[1:2]
	flat_load_dwordx2 v[3:4], v[3:4]
	s_waitcnt vmcnt(1) lgkmcnt(1)
	v_cmp_eq_f32_e32 vcc_lo, 0, v1
	v_cmp_eq_f32_e64 s0, 0, v2
	s_and_b32 s3, vcc_lo, s0
	s_mov_b32 s0, -1
	s_and_saveexec_b32 s1, s3
	s_cbranch_execz .LBB102_2
; %bb.1:
	s_waitcnt vmcnt(0) lgkmcnt(0)
	v_cmp_neq_f32_e32 vcc_lo, 1.0, v3
	v_cmp_neq_f32_e64 s0, 0, v4
	s_or_b32 s0, vcc_lo, s0
	s_orn2_b32 s0, s0, exec_lo
.LBB102_2:
	s_or_b32 exec_lo, exec_lo, s1
	s_and_saveexec_b32 s1, s0
	s_cbranch_execz .LBB102_21
; %bb.3:
	s_load_dwordx2 s[0:1], s[4:5], 0x0
	v_lshrrev_b32_e32 v5, 5, v0
	v_lshl_or_b32 v5, s6, 2, v5
	s_waitcnt lgkmcnt(0)
	v_cmp_gt_i32_e32 vcc_lo, s0, v5
	s_and_b32 exec_lo, exec_lo, vcc_lo
	s_cbranch_execz .LBB102_21
; %bb.4:
	s_load_dwordx8 s[8:15], s[4:5], 0x10
	v_ashrrev_i32_e32 v6, 31, v5
	v_and_b32_e32 v0, 31, v0
	s_cmp_lg_u32 s1, 0
	v_lshlrev_b64 v[6:7], 2, v[5:6]
	s_waitcnt lgkmcnt(0)
	v_add_co_u32 v6, vcc_lo, s8, v6
	v_add_co_ci_u32_e64 v7, null, s9, v7, vcc_lo
	global_load_dwordx2 v[6:7], v[6:7], off
	s_waitcnt vmcnt(0)
	v_subrev_nc_u32_e32 v6, s2, v6
	v_subrev_nc_u32_e32 v17, s2, v7
	v_add_nc_u32_e32 v6, v6, v0
	v_cmp_lt_i32_e64 s0, v6, v17
	s_cbranch_scc0 .LBB102_10
; %bb.5:
	v_mov_b32_e32 v14, 0
	v_mov_b32_e32 v19, 0
	;; [unrolled: 1-line block ×6, first 2 shown]
	s_and_saveexec_b32 s1, s0
	s_cbranch_execz .LBB102_9
; %bb.6:
	v_mad_u64_u32 v[7:8], null, v6, 21, 20
	v_mov_b32_e32 v10, 0
	v_mov_b32_e32 v11, v6
	;; [unrolled: 1-line block ×8, first 2 shown]
	s_mov_b32 s3, 0
.LBB102_7:                              ; =>This Inner Loop Header: Depth=1
	v_ashrrev_i32_e32 v12, 31, v11
	v_mov_b32_e32 v13, v10
	v_lshlrev_b64 v[8:9], 2, v[11:12]
	v_add_nc_u32_e32 v11, 32, v11
	v_add_co_u32 v8, vcc_lo, s10, v8
	v_add_co_ci_u32_e64 v9, null, s11, v9, vcc_lo
	global_load_dword v12, v[8:9], off
	v_subrev_nc_u32_e32 v9, 20, v7
	v_mov_b32_e32 v8, v10
	v_lshlrev_b64 v[21:22], 3, v[9:10]
	v_subrev_nc_u32_e32 v9, 19, v7
	v_lshlrev_b64 v[23:24], 3, v[7:8]
	v_lshlrev_b64 v[25:26], 3, v[9:10]
	v_subrev_nc_u32_e32 v9, 18, v7
	v_add_co_u32 v21, vcc_lo, s12, v21
	v_add_co_ci_u32_e64 v22, null, s13, v22, vcc_lo
	v_lshlrev_b64 v[27:28], 3, v[9:10]
	v_subrev_nc_u32_e32 v9, 17, v7
	v_add_co_u32 v23, vcc_lo, s12, v23
	v_add_co_ci_u32_e64 v24, null, s13, v24, vcc_lo
	v_lshlrev_b64 v[8:9], 3, v[9:10]
	v_add_co_u32 v25, vcc_lo, s12, v25
	v_add_co_ci_u32_e64 v26, null, s13, v26, vcc_lo
	v_add_co_u32 v27, vcc_lo, s12, v27
	v_add_co_ci_u32_e64 v28, null, s13, v28, vcc_lo
	v_add_co_u32 v8, vcc_lo, s12, v8
	v_add_co_ci_u32_e64 v9, null, s13, v9, vcc_lo
	s_clause 0x3
	global_load_dwordx2 v[21:22], v[21:22], off
	global_load_dwordx2 v[25:26], v[25:26], off
	;; [unrolled: 1-line block ×4, first 2 shown]
	s_waitcnt vmcnt(4)
	v_subrev_nc_u32_e32 v8, s2, v12
	v_mul_lo_u32 v12, v8, 7
	v_add_nc_u32_e32 v9, 1, v12
	v_lshlrev_b64 v[31:32], 3, v[12:13]
	v_lshlrev_b64 v[33:34], 3, v[9:10]
	v_add_nc_u32_e32 v9, -16, v7
	v_add_co_u32 v31, vcc_lo, s14, v31
	v_add_co_ci_u32_e64 v32, null, s15, v32, vcc_lo
	v_lshlrev_b64 v[35:36], 3, v[9:10]
	v_add_nc_u32_e32 v9, -15, v7
	v_add_co_u32 v33, vcc_lo, s14, v33
	global_load_dwordx2 v[31:32], v[31:32], off
	v_add_co_ci_u32_e64 v34, null, s15, v34, vcc_lo
	v_lshlrev_b64 v[37:38], 3, v[9:10]
	v_add_nc_u32_e32 v9, -14, v7
	v_add_co_u32 v35, vcc_lo, s12, v35
	v_add_co_ci_u32_e64 v36, null, s13, v36, vcc_lo
	v_lshlrev_b64 v[39:40], 3, v[9:10]
	v_add_nc_u32_e32 v9, 2, v12
	v_add_co_u32 v37, vcc_lo, s12, v37
	v_add_co_ci_u32_e64 v38, null, s13, v38, vcc_lo
	v_lshlrev_b64 v[41:42], 3, v[9:10]
	v_add_nc_u32_e32 v9, -13, v7
	v_add_co_u32 v39, vcc_lo, s12, v39
	v_add_co_ci_u32_e64 v40, null, s13, v40, vcc_lo
	v_lshlrev_b64 v[43:44], 3, v[9:10]
	v_add_nc_u32_e32 v9, -12, v7
	v_add_co_u32 v41, vcc_lo, s14, v41
	global_load_dwordx2 v[33:34], v[33:34], off
	s_clause 0x2
	global_load_dwordx2 v[35:36], v[35:36], off
	global_load_dwordx2 v[37:38], v[37:38], off
	;; [unrolled: 1-line block ×3, first 2 shown]
	v_lshlrev_b64 v[45:46], 3, v[9:10]
	v_add_nc_u32_e32 v9, -11, v7
	v_add_co_ci_u32_e64 v42, null, s15, v42, vcc_lo
	v_add_co_u32 v43, vcc_lo, s12, v43
	v_lshlrev_b64 v[47:48], 3, v[9:10]
	v_add_nc_u32_e32 v9, 3, v12
	v_add_co_ci_u32_e64 v44, null, s13, v44, vcc_lo
	v_add_co_u32 v45, vcc_lo, s12, v45
	v_lshlrev_b64 v[49:50], 3, v[9:10]
	v_add_nc_u32_e32 v9, -10, v7
	v_add_co_ci_u32_e64 v46, null, s13, v46, vcc_lo
	v_add_co_u32 v47, vcc_lo, s12, v47
	v_lshlrev_b64 v[51:52], 3, v[9:10]
	v_add_nc_u32_e32 v9, -9, v7
	;; [unrolled: 4-line block ×3, first 2 shown]
	v_add_co_ci_u32_e64 v50, null, s15, v50, vcc_lo
	v_add_co_u32 v51, vcc_lo, s12, v51
	v_lshlrev_b64 v[55:56], 3, v[9:10]
	v_add_nc_u32_e32 v9, 4, v12
	global_load_dwordx2 v[41:42], v[41:42], off
	s_clause 0x2
	global_load_dwordx2 v[43:44], v[43:44], off
	global_load_dwordx2 v[45:46], v[45:46], off
	;; [unrolled: 1-line block ×3, first 2 shown]
	v_lshlrev_b64 v[57:58], 3, v[9:10]
	v_add_nc_u32_e32 v9, -7, v7
	v_add_co_ci_u32_e64 v52, null, s13, v52, vcc_lo
	v_add_co_u32 v53, vcc_lo, s12, v53
	v_lshlrev_b64 v[59:60], 3, v[9:10]
	v_add_nc_u32_e32 v9, -6, v7
	v_add_co_ci_u32_e64 v54, null, s13, v54, vcc_lo
	v_add_co_u32 v55, vcc_lo, s12, v55
	;; [unrolled: 4-line block ×3, first 2 shown]
	v_lshlrev_b64 v[63:64], 3, v[9:10]
	v_add_nc_u32_e32 v9, 5, v12
	v_add_co_ci_u32_e64 v58, null, s15, v58, vcc_lo
	v_add_co_u32 v59, vcc_lo, s12, v59
	v_lshlrev_b64 v[65:66], 3, v[9:10]
	v_add_nc_u32_e32 v9, -4, v7
	v_add_co_ci_u32_e64 v60, null, s13, v60, vcc_lo
	v_add_co_u32 v61, vcc_lo, s12, v61
	v_lshlrev_b64 v[67:68], 3, v[9:10]
	v_add_nc_u32_e32 v9, -3, v7
	global_load_dwordx2 v[49:50], v[49:50], off
	s_clause 0x2
	global_load_dwordx2 v[51:52], v[51:52], off
	global_load_dwordx2 v[53:54], v[53:54], off
	;; [unrolled: 1-line block ×3, first 2 shown]
	v_add_co_ci_u32_e64 v62, null, s13, v62, vcc_lo
	v_add_co_u32 v63, vcc_lo, s12, v63
	v_add_co_ci_u32_e64 v64, null, s13, v64, vcc_lo
	v_add_co_u32 v65, vcc_lo, s14, v65
	v_lshlrev_b64 v[69:70], 3, v[9:10]
	v_add_nc_u32_e32 v9, -2, v7
	v_add_co_ci_u32_e64 v66, null, s15, v66, vcc_lo
	v_add_co_u32 v67, vcc_lo, s12, v67
	v_add_co_ci_u32_e64 v68, null, s13, v68, vcc_lo
	v_lshlrev_b64 v[71:72], 3, v[9:10]
	v_add_nc_u32_e32 v9, 6, v12
	global_load_dwordx2 v[57:58], v[57:58], off
	s_clause 0x3
	global_load_dwordx2 v[59:60], v[59:60], off
	global_load_dwordx2 v[61:62], v[61:62], off
	;; [unrolled: 1-line block ×4, first 2 shown]
	v_add_co_u32 v67, vcc_lo, s12, v69
	v_add_co_ci_u32_e64 v68, null, s13, v70, vcc_lo
	v_lshlrev_b64 v[69:70], 3, v[9:10]
	v_add_nc_u32_e32 v9, -1, v7
	global_load_dwordx2 v[65:66], v[65:66], off
	v_add_co_u32 v71, vcc_lo, s12, v71
	global_load_dwordx2 v[67:68], v[67:68], off
	v_lshlrev_b64 v[8:9], 3, v[9:10]
	v_add_co_ci_u32_e64 v72, null, s13, v72, vcc_lo
	v_add_co_u32 v69, vcc_lo, s14, v69
	v_add_co_ci_u32_e64 v70, null, s15, v70, vcc_lo
	v_add_co_u32 v8, vcc_lo, s12, v8
	v_add_co_ci_u32_e64 v9, null, s13, v9, vcc_lo
	global_load_dwordx2 v[71:72], v[71:72], off
	global_load_dwordx2 v[69:70], v[69:70], off
	s_clause 0x1
	global_load_dwordx2 v[8:9], v[8:9], off
	global_load_dwordx2 v[23:24], v[23:24], off
	v_cmp_ge_i32_e32 vcc_lo, v11, v17
	v_add_nc_u32_e32 v7, 0x2a0, v7
	s_or_b32 s3, vcc_lo, s3
	s_waitcnt vmcnt(23)
	v_fmac_f32_e32 v19, v21, v31
	v_fmac_f32_e32 v14, v22, v31
	;; [unrolled: 1-line block ×6, first 2 shown]
	v_fma_f32 v19, -v22, v32, v19
	v_fmac_f32_e32 v14, v21, v32
	v_fma_f32 v20, -v26, v32, v20
	v_fmac_f32_e32 v16, v25, v32
	v_fma_f32 v18, -v28, v32, v18
	v_fmac_f32_e32 v15, v27, v32
	s_waitcnt vmcnt(22)
	v_fmac_f32_e32 v19, v29, v33
	v_fmac_f32_e32 v14, v30, v33
	s_waitcnt vmcnt(21)
	v_fmac_f32_e32 v20, v35, v33
	v_fmac_f32_e32 v16, v36, v33
	s_waitcnt vmcnt(20)
	v_fmac_f32_e32 v18, v37, v33
	v_fmac_f32_e32 v15, v38, v33
	v_fma_f32 v19, -v30, v34, v19
	v_fmac_f32_e32 v14, v29, v34
	v_fma_f32 v20, -v36, v34, v20
	v_fmac_f32_e32 v16, v35, v34
	v_fma_f32 v18, -v38, v34, v18
	v_fmac_f32_e32 v15, v37, v34
	s_waitcnt vmcnt(18)
	v_fmac_f32_e32 v19, v39, v41
	v_fmac_f32_e32 v14, v40, v41
	s_waitcnt vmcnt(17)
	v_fmac_f32_e32 v20, v43, v41
	v_fmac_f32_e32 v16, v44, v41
	s_waitcnt vmcnt(16)
	v_fmac_f32_e32 v18, v45, v41
	v_fmac_f32_e32 v15, v46, v41
	;; [unrolled: 15-line block ×4, first 2 shown]
	v_fma_f32 v19, -v56, v58, v19
	v_fmac_f32_e32 v14, v55, v58
	v_fma_f32 v20, -v60, v58, v20
	v_fmac_f32_e32 v16, v59, v58
	;; [unrolled: 2-line block ×3, first 2 shown]
	s_waitcnt vmcnt(5)
	v_fmac_f32_e32 v19, v63, v65
	v_fmac_f32_e32 v14, v64, v65
	;; [unrolled: 1-line block ×4, first 2 shown]
	s_waitcnt vmcnt(4)
	v_fmac_f32_e32 v18, v67, v65
	v_fmac_f32_e32 v15, v68, v65
	v_fma_f32 v19, -v64, v66, v19
	v_fmac_f32_e32 v14, v63, v66
	v_fma_f32 v13, -v13, v66, v20
	;; [unrolled: 2-line block ×3, first 2 shown]
	v_fmac_f32_e32 v15, v67, v66
	s_waitcnt vmcnt(2)
	v_fmac_f32_e32 v19, v71, v69
	v_fmac_f32_e32 v14, v72, v69
	s_waitcnt vmcnt(1)
	v_fmac_f32_e32 v13, v8, v69
	;; [unrolled: 3-line block ×3, first 2 shown]
	v_fmac_f32_e32 v15, v24, v69
	v_fma_f32 v19, -v72, v70, v19
	v_fmac_f32_e32 v14, v71, v70
	v_fma_f32 v20, -v9, v70, v13
	;; [unrolled: 2-line block ×3, first 2 shown]
	v_fmac_f32_e32 v15, v23, v70
	s_andn2_b32 exec_lo, exec_lo, s3
	s_cbranch_execnz .LBB102_7
; %bb.8:
	s_or_b32 exec_lo, exec_lo, s3
.LBB102_9:
	s_or_b32 exec_lo, exec_lo, s1
	s_cbranch_execz .LBB102_11
	s_branch .LBB102_16
.LBB102_10:
                                        ; implicit-def: $vgpr14
                                        ; implicit-def: $vgpr19
                                        ; implicit-def: $vgpr18
                                        ; implicit-def: $vgpr15
                                        ; implicit-def: $vgpr20
                                        ; implicit-def: $vgpr16
.LBB102_11:
	v_mov_b32_e32 v14, 0
	v_mov_b32_e32 v19, 0
	;; [unrolled: 1-line block ×6, first 2 shown]
	s_and_saveexec_b32 s1, s0
	s_cbranch_execz .LBB102_15
; %bb.12:
	v_mad_u64_u32 v[8:9], null, v6, 21, 20
	v_mov_b32_e32 v11, 0
	v_mov_b32_e32 v14, 0
	;; [unrolled: 1-line block ×7, first 2 shown]
	s_mov_b32 s0, 0
.LBB102_13:                             ; =>This Inner Loop Header: Depth=1
	v_ashrrev_i32_e32 v7, 31, v6
	v_subrev_nc_u32_e32 v10, 20, v8
	v_add_nc_u32_e32 v21, -13, v8
	v_mov_b32_e32 v22, v11
	v_add_nc_u32_e32 v23, -6, v8
	v_lshlrev_b64 v[27:28], 2, v[6:7]
	v_mov_b32_e32 v24, v11
	v_lshlrev_b64 v[25:26], 3, v[10:11]
	v_mov_b32_e32 v9, v11
	v_lshlrev_b64 v[21:22], 3, v[21:22]
	v_subrev_nc_u32_e32 v10, 19, v8
	v_add_co_u32 v27, vcc_lo, s10, v27
	v_add_co_ci_u32_e64 v28, null, s11, v28, vcc_lo
	v_lshlrev_b64 v[23:24], 3, v[23:24]
	v_lshlrev_b64 v[29:30], 3, v[8:9]
	v_add_co_u32 v25, vcc_lo, s12, v25
	global_load_dword v7, v[27:28], off
	v_lshlrev_b64 v[9:10], 3, v[10:11]
	v_add_co_ci_u32_e64 v26, null, s13, v26, vcc_lo
	v_add_co_u32 v21, vcc_lo, s12, v21
	v_add_co_ci_u32_e64 v22, null, s13, v22, vcc_lo
	v_add_co_u32 v23, vcc_lo, s12, v23
	;; [unrolled: 2-line block ×4, first 2 shown]
	v_add_co_ci_u32_e64 v28, null, s13, v10, vcc_lo
	v_mov_b32_e32 v13, v11
	v_add_nc_u32_e32 v6, 32, v6
	s_waitcnt vmcnt(0)
	v_subrev_nc_u32_e32 v7, s2, v7
	v_mul_lo_u32 v12, v7, 7
	v_add_nc_u32_e32 v10, 1, v12
	v_lshlrev_b64 v[31:32], 3, v[12:13]
	v_lshlrev_b64 v[33:34], 3, v[10:11]
	v_add_nc_u32_e32 v10, -12, v8
	v_add_co_u32 v31, vcc_lo, s14, v31
	v_add_co_ci_u32_e64 v32, null, s15, v32, vcc_lo
	v_lshlrev_b64 v[35:36], 3, v[10:11]
	v_add_nc_u32_e32 v10, -5, v8
	v_add_co_u32 v33, vcc_lo, s14, v33
	v_add_co_ci_u32_e64 v34, null, s15, v34, vcc_lo
	v_lshlrev_b64 v[37:38], 3, v[10:11]
	v_subrev_nc_u32_e32 v10, 18, v8
	v_add_co_u32 v35, vcc_lo, s12, v35
	v_add_co_ci_u32_e64 v36, null, s13, v36, vcc_lo
	v_lshlrev_b64 v[39:40], 3, v[10:11]
	v_add_nc_u32_e32 v10, 2, v12
	v_add_co_u32 v37, vcc_lo, s12, v37
	v_add_co_ci_u32_e64 v38, null, s13, v38, vcc_lo
	v_lshlrev_b64 v[41:42], 3, v[10:11]
	v_add_nc_u32_e32 v10, -11, v8
	v_add_co_u32 v39, vcc_lo, s12, v39
	v_add_co_ci_u32_e64 v40, null, s13, v40, vcc_lo
	v_lshlrev_b64 v[43:44], 3, v[10:11]
	v_add_nc_u32_e32 v10, -4, v8
	v_add_co_u32 v41, vcc_lo, s14, v41
	v_add_co_ci_u32_e64 v42, null, s15, v42, vcc_lo
	v_lshlrev_b64 v[45:46], 3, v[10:11]
	v_subrev_nc_u32_e32 v10, 17, v8
	v_add_co_u32 v43, vcc_lo, s12, v43
	v_add_co_ci_u32_e64 v44, null, s13, v44, vcc_lo
	v_lshlrev_b64 v[47:48], 3, v[10:11]
	v_add_nc_u32_e32 v10, 3, v12
	v_add_co_u32 v45, vcc_lo, s12, v45
	v_add_co_ci_u32_e64 v46, null, s13, v46, vcc_lo
	v_lshlrev_b64 v[49:50], 3, v[10:11]
	v_add_nc_u32_e32 v10, -10, v8
	v_add_co_u32 v47, vcc_lo, s12, v47
	v_add_co_ci_u32_e64 v48, null, s13, v48, vcc_lo
	v_lshlrev_b64 v[51:52], 3, v[10:11]
	v_add_nc_u32_e32 v10, -3, v8
	;; [unrolled: 4-line block ×3, first 2 shown]
	v_add_co_u32 v51, vcc_lo, s12, v51
	v_add_co_ci_u32_e64 v52, null, s13, v52, vcc_lo
	v_lshlrev_b64 v[55:56], 3, v[10:11]
	v_add_nc_u32_e32 v10, 4, v12
	v_add_co_u32 v53, vcc_lo, s12, v53
	v_add_co_ci_u32_e64 v54, null, s13, v54, vcc_lo
	v_lshlrev_b64 v[57:58], 3, v[10:11]
	v_add_nc_u32_e32 v10, -9, v8
	v_add_co_u32 v55, vcc_lo, s12, v55
	v_add_co_ci_u32_e64 v56, null, s13, v56, vcc_lo
	v_lshlrev_b64 v[59:60], 3, v[10:11]
	v_add_nc_u32_e32 v10, -2, v8
	;; [unrolled: 4-line block ×3, first 2 shown]
	v_add_co_u32 v59, vcc_lo, s12, v59
	v_add_co_ci_u32_e64 v60, null, s13, v60, vcc_lo
	v_lshlrev_b64 v[9:10], 3, v[10:11]
	v_add_co_u32 v61, vcc_lo, s12, v61
	v_add_co_ci_u32_e64 v62, null, s13, v62, vcc_lo
	v_add_co_u32 v63, vcc_lo, s12, v9
	v_add_co_ci_u32_e64 v64, null, s13, v10, vcc_lo
	v_add_nc_u32_e32 v10, 5, v12
	v_lshlrev_b64 v[9:10], 3, v[10:11]
	v_add_co_u32 v65, vcc_lo, s14, v9
	v_add_co_ci_u32_e64 v66, null, s15, v10, vcc_lo
	global_load_dwordx2 v[9:10], v[25:26], off
	global_load_dwordx2 v[25:26], v[31:32], off
	s_clause 0x2
	global_load_dwordx2 v[21:22], v[21:22], off
	global_load_dwordx2 v[23:24], v[23:24], off
	;; [unrolled: 1-line block ×3, first 2 shown]
	s_waitcnt vmcnt(3)
	v_fmac_f32_e32 v19, v9, v25
	v_fmac_f32_e32 v14, v10, v25
	s_waitcnt vmcnt(2)
	v_fmac_f32_e32 v20, v21, v25
	v_fmac_f32_e32 v16, v22, v25
	s_waitcnt vmcnt(1)
	v_fmac_f32_e32 v18, v23, v25
	v_fma_f32 v7, -v10, v26, v19
	v_add_nc_u32_e32 v10, -8, v8
	v_fma_f32 v67, -v22, v26, v20
	v_fmac_f32_e32 v16, v21, v26
	v_fmac_f32_e32 v15, v24, v25
	v_fma_f32 v68, -v24, v26, v18
	v_lshlrev_b64 v[19:20], 3, v[10:11]
	v_add_nc_u32_e32 v10, -1, v8
	v_fmac_f32_e32 v14, v9, v26
	v_fmac_f32_e32 v15, v23, v26
	v_lshlrev_b64 v[21:22], 3, v[10:11]
	v_add_nc_u32_e32 v10, -14, v8
	v_add_co_u32 v18, vcc_lo, s12, v19
	v_add_co_ci_u32_e64 v19, null, s13, v20, vcc_lo
	v_lshlrev_b64 v[23:24], 3, v[10:11]
	v_add_nc_u32_e32 v10, 6, v12
	v_add_co_u32 v12, vcc_lo, s12, v21
	v_add_co_ci_u32_e64 v13, null, s13, v22, vcc_lo
	v_add_co_u32 v20, vcc_lo, s12, v23
	v_add_co_ci_u32_e64 v21, null, s13, v24, vcc_lo
	global_load_dwordx2 v[24:25], v[33:34], off
	v_lshlrev_b64 v[9:10], 3, v[10:11]
	v_add_co_u32 v22, vcc_lo, s14, v9
	v_add_co_ci_u32_e64 v23, null, s15, v10, vcc_lo
	v_add_nc_u32_e32 v10, -7, v8
	v_add_nc_u32_e32 v8, 0x2a0, v8
	v_lshlrev_b64 v[9:10], 3, v[10:11]
	v_add_co_u32 v9, vcc_lo, s12, v9
	v_add_co_ci_u32_e64 v10, null, s13, v10, vcc_lo
	v_cmp_ge_i32_e32 vcc_lo, v6, v17
	s_or_b32 s0, vcc_lo, s0
	s_waitcnt vmcnt(0)
	v_fmac_f32_e32 v7, v27, v24
	v_fmac_f32_e32 v14, v28, v24
	v_fma_f32 v7, -v28, v25, v7
	v_fmac_f32_e32 v14, v27, v25
	s_clause 0x2
	global_load_dwordx2 v[26:27], v[35:36], off
	global_load_dwordx2 v[31:32], v[37:38], off
	global_load_dwordx2 v[33:34], v[39:40], off
	global_load_dwordx2 v[35:36], v[41:42], off
	s_clause 0x2
	global_load_dwordx2 v[37:38], v[43:44], off
	global_load_dwordx2 v[39:40], v[45:46], off
	global_load_dwordx2 v[41:42], v[47:48], off
	global_load_dwordx2 v[43:44], v[49:50], off
	;; [unrolled: 5-line block ×5, first 2 shown]
	global_load_dwordx2 v[22:23], v[22:23], off
	global_load_dwordx2 v[9:10], v[9:10], off
	s_waitcnt vmcnt(21)
	v_fmac_f32_e32 v67, v26, v24
	v_fmac_f32_e32 v16, v27, v24
	s_waitcnt vmcnt(20)
	v_fmac_f32_e32 v68, v31, v24
	v_fmac_f32_e32 v15, v32, v24
	s_waitcnt vmcnt(18)
	v_fmac_f32_e32 v7, v33, v35
	v_fma_f32 v24, -v27, v25, v67
	v_fmac_f32_e32 v16, v26, v25
	v_fma_f32 v26, -v32, v25, v68
	v_fmac_f32_e32 v15, v31, v25
	v_fmac_f32_e32 v14, v34, v35
	s_waitcnt vmcnt(17)
	v_fmac_f32_e32 v24, v37, v35
	v_fmac_f32_e32 v16, v38, v35
	s_waitcnt vmcnt(16)
	v_fmac_f32_e32 v26, v39, v35
	v_fmac_f32_e32 v15, v40, v35
	v_fma_f32 v7, -v34, v36, v7
	v_fmac_f32_e32 v14, v33, v36
	v_fma_f32 v24, -v38, v36, v24
	v_fmac_f32_e32 v16, v37, v36
	v_fma_f32 v25, -v40, v36, v26
	v_fmac_f32_e32 v15, v39, v36
	s_waitcnt vmcnt(14)
	v_fmac_f32_e32 v7, v41, v43
	v_fmac_f32_e32 v14, v42, v43
	s_waitcnt vmcnt(13)
	v_fmac_f32_e32 v24, v45, v43
	v_fmac_f32_e32 v16, v46, v43
	s_waitcnt vmcnt(12)
	v_fmac_f32_e32 v25, v47, v43
	v_fmac_f32_e32 v15, v48, v43
	v_fma_f32 v7, -v42, v44, v7
	v_fmac_f32_e32 v14, v41, v44
	v_fma_f32 v24, -v46, v44, v24
	v_fmac_f32_e32 v16, v45, v44
	v_fma_f32 v25, -v48, v44, v25
	v_fmac_f32_e32 v15, v47, v44
	s_waitcnt vmcnt(10)
	;; [unrolled: 15-line block ×4, first 2 shown]
	v_fmac_f32_e32 v7, v20, v22
	v_fmac_f32_e32 v14, v21, v22
	s_waitcnt vmcnt(0)
	v_fmac_f32_e32 v24, v9, v22
	v_fmac_f32_e32 v13, v28, v22
	;; [unrolled: 1-line block ×4, first 2 shown]
	v_fma_f32 v19, -v21, v23, v7
	v_fmac_f32_e32 v14, v20, v23
	v_fma_f32 v18, -v29, v23, v13
	v_fmac_f32_e32 v15, v28, v23
	;; [unrolled: 2-line block ×3, first 2 shown]
	s_andn2_b32 exec_lo, exec_lo, s0
	s_cbranch_execnz .LBB102_13
; %bb.14:
	s_or_b32 exec_lo, exec_lo, s0
.LBB102_15:
	s_or_b32 exec_lo, exec_lo, s1
.LBB102_16:
	v_mbcnt_lo_u32_b32 v6, -1, 0
	v_xor_b32_e32 v7, 16, v6
	v_xor_b32_e32 v13, 8, v6
	v_cmp_gt_i32_e32 vcc_lo, 32, v7
	v_cndmask_b32_e32 v7, v6, v7, vcc_lo
	v_cmp_gt_i32_e32 vcc_lo, 32, v13
	v_lshlrev_b32_e32 v7, 2, v7
	v_cndmask_b32_e32 v13, v6, v13, vcc_lo
	ds_bpermute_b32 v8, v7, v19
	ds_bpermute_b32 v9, v7, v14
	;; [unrolled: 1-line block ×6, first 2 shown]
	v_lshlrev_b32_e32 v13, 2, v13
	s_waitcnt lgkmcnt(5)
	v_add_f32_e32 v8, v19, v8
	s_waitcnt lgkmcnt(4)
	v_add_f32_e32 v9, v14, v9
	;; [unrolled: 2-line block ×6, first 2 shown]
	ds_bpermute_b32 v14, v13, v8
	ds_bpermute_b32 v15, v13, v9
	ds_bpermute_b32 v16, v13, v10
	ds_bpermute_b32 v17, v13, v11
	ds_bpermute_b32 v18, v13, v12
	ds_bpermute_b32 v13, v13, v7
	v_xor_b32_e32 v19, 4, v6
	v_cmp_gt_i32_e32 vcc_lo, 32, v19
	v_cndmask_b32_e32 v19, v6, v19, vcc_lo
	s_waitcnt lgkmcnt(5)
	v_add_f32_e32 v8, v8, v14
	v_lshlrev_b32_e32 v19, 2, v19
	s_waitcnt lgkmcnt(4)
	v_add_f32_e32 v9, v9, v15
	s_waitcnt lgkmcnt(3)
	v_add_f32_e32 v10, v10, v16
	;; [unrolled: 2-line block ×5, first 2 shown]
	ds_bpermute_b32 v13, v19, v8
	ds_bpermute_b32 v14, v19, v9
	;; [unrolled: 1-line block ×6, first 2 shown]
	v_xor_b32_e32 v19, 2, v6
	v_cmp_gt_i32_e32 vcc_lo, 32, v19
	v_cndmask_b32_e32 v19, v6, v19, vcc_lo
	s_waitcnt lgkmcnt(5)
	v_add_f32_e32 v8, v8, v13
	v_lshlrev_b32_e32 v19, 2, v19
	s_waitcnt lgkmcnt(4)
	v_add_f32_e32 v9, v9, v14
	s_waitcnt lgkmcnt(3)
	v_add_f32_e32 v10, v10, v15
	;; [unrolled: 2-line block ×5, first 2 shown]
	ds_bpermute_b32 v7, v19, v8
	ds_bpermute_b32 v11, v19, v9
	;; [unrolled: 1-line block ×6, first 2 shown]
	v_xor_b32_e32 v19, 1, v6
	v_cmp_gt_i32_e32 vcc_lo, 32, v19
	v_cndmask_b32_e32 v6, v6, v19, vcc_lo
	v_cmp_eq_u32_e32 vcc_lo, 31, v0
	v_lshlrev_b32_e32 v19, 2, v6
	s_waitcnt lgkmcnt(5)
	v_add_f32_e32 v6, v8, v7
	s_waitcnt lgkmcnt(4)
	v_add_f32_e32 v9, v9, v11
	;; [unrolled: 2-line block ×6, first 2 shown]
	ds_bpermute_b32 v10, v19, v6
	ds_bpermute_b32 v15, v19, v9
	ds_bpermute_b32 v16, v19, v11
	ds_bpermute_b32 v17, v19, v12
	ds_bpermute_b32 v13, v19, v7
	ds_bpermute_b32 v14, v19, v8
	s_and_b32 exec_lo, exec_lo, vcc_lo
	s_cbranch_execz .LBB102_21
; %bb.17:
	s_load_dwordx2 s[2:3], s[4:5], 0x38
	v_cmp_eq_f32_e32 vcc_lo, 0, v3
	v_cmp_eq_f32_e64 s0, 0, v4
	s_waitcnt lgkmcnt(0)
	v_add_f32_e32 v0, v6, v10
	v_add_f32_e32 v10, v9, v15
	;; [unrolled: 1-line block ×6, first 2 shown]
	s_and_b32 s0, vcc_lo, s0
	s_and_saveexec_b32 s1, s0
	s_xor_b32 s0, exec_lo, s1
	s_cbranch_execz .LBB102_19
; %bb.18:
	v_lshl_add_u32 v3, v5, 1, v5
	v_mul_f32_e64 v11, v10, -v2
	v_mul_f32_e32 v12, v1, v10
	v_mul_f32_e64 v13, v9, -v2
	v_mul_f32_e32 v14, v1, v9
	v_ashrrev_i32_e32 v4, 31, v3
	v_mul_f32_e64 v9, v8, -v2
	v_mul_f32_e32 v10, v1, v8
	v_fmac_f32_e32 v11, v1, v0
	v_fmac_f32_e32 v12, v2, v0
	v_lshlrev_b64 v[3:4], 3, v[3:4]
	v_fmac_f32_e32 v13, v1, v6
	v_fmac_f32_e32 v14, v2, v6
	;; [unrolled: 1-line block ×4, first 2 shown]
                                        ; implicit-def: $vgpr5
                                        ; implicit-def: $vgpr0
                                        ; implicit-def: $vgpr6
                                        ; implicit-def: $vgpr7
                                        ; implicit-def: $vgpr8
                                        ; implicit-def: $vgpr1_vgpr2
	v_add_co_u32 v3, vcc_lo, s2, v3
	v_add_co_ci_u32_e64 v4, null, s3, v4, vcc_lo
	global_store_dwordx4 v[3:4], v[11:14], off
	global_store_dwordx2 v[3:4], v[9:10], off offset:16
                                        ; implicit-def: $vgpr10
                                        ; implicit-def: $vgpr9
                                        ; implicit-def: $vgpr3_vgpr4
.LBB102_19:
	s_andn2_saveexec_b32 s0, s0
	s_cbranch_execz .LBB102_21
; %bb.20:
	v_lshl_add_u32 v11, v5, 1, v5
	v_mul_f32_e64 v15, v10, -v2
	v_mul_f32_e32 v16, v1, v10
	v_mul_f32_e64 v10, v9, -v2
	v_mul_f32_e32 v18, v1, v9
	v_ashrrev_i32_e32 v12, 31, v11
	v_mul_f32_e64 v9, v8, -v2
	v_mul_f32_e32 v5, v1, v8
	v_fmac_f32_e32 v15, v1, v0
	v_fmac_f32_e32 v16, v2, v0
	v_lshlrev_b64 v[11:12], 3, v[11:12]
	v_fmac_f32_e32 v10, v1, v6
	v_fmac_f32_e32 v18, v2, v6
	;; [unrolled: 1-line block ×4, first 2 shown]
	v_add_co_u32 v19, vcc_lo, s2, v11
	v_add_co_ci_u32_e64 v20, null, s3, v12, vcc_lo
	s_clause 0x1
	global_load_dwordx4 v[11:14], v[19:20], off
	global_load_dwordx2 v[21:22], v[19:20], off offset:16
	s_waitcnt vmcnt(1)
	v_fmac_f32_e32 v15, v3, v11
	v_fmac_f32_e32 v16, v4, v11
	;; [unrolled: 1-line block ×4, first 2 shown]
	s_waitcnt vmcnt(0)
	v_fmac_f32_e32 v9, v3, v21
	v_fmac_f32_e32 v5, v4, v21
	v_fma_f32 v15, -v4, v12, v15
	v_fmac_f32_e32 v16, v3, v12
	v_fma_f32 v17, -v4, v14, v10
	;; [unrolled: 2-line block ×3, first 2 shown]
	v_fmac_f32_e32 v5, v3, v22
	global_store_dwordx4 v[19:20], v[15:18], off
	global_store_dwordx2 v[19:20], v[4:5], off offset:16
.LBB102_21:
	s_endpgm
	.section	.rodata,"a",@progbits
	.p2align	6, 0x0
	.amdhsa_kernel _ZN9rocsparseL19gebsrmvn_3xn_kernelILj128ELj7ELj32E21rocsparse_complex_numIfEEEvi20rocsparse_direction_NS_24const_host_device_scalarIT2_EEPKiS8_PKS5_SA_S6_PS5_21rocsparse_index_base_b
		.amdhsa_group_segment_fixed_size 0
		.amdhsa_private_segment_fixed_size 0
		.amdhsa_kernarg_size 72
		.amdhsa_user_sgpr_count 6
		.amdhsa_user_sgpr_private_segment_buffer 1
		.amdhsa_user_sgpr_dispatch_ptr 0
		.amdhsa_user_sgpr_queue_ptr 0
		.amdhsa_user_sgpr_kernarg_segment_ptr 1
		.amdhsa_user_sgpr_dispatch_id 0
		.amdhsa_user_sgpr_flat_scratch_init 0
		.amdhsa_user_sgpr_private_segment_size 0
		.amdhsa_wavefront_size32 1
		.amdhsa_uses_dynamic_stack 0
		.amdhsa_system_sgpr_private_segment_wavefront_offset 0
		.amdhsa_system_sgpr_workgroup_id_x 1
		.amdhsa_system_sgpr_workgroup_id_y 0
		.amdhsa_system_sgpr_workgroup_id_z 0
		.amdhsa_system_sgpr_workgroup_info 0
		.amdhsa_system_vgpr_workitem_id 0
		.amdhsa_next_free_vgpr 73
		.amdhsa_next_free_sgpr 16
		.amdhsa_reserve_vcc 1
		.amdhsa_reserve_flat_scratch 0
		.amdhsa_float_round_mode_32 0
		.amdhsa_float_round_mode_16_64 0
		.amdhsa_float_denorm_mode_32 3
		.amdhsa_float_denorm_mode_16_64 3
		.amdhsa_dx10_clamp 1
		.amdhsa_ieee_mode 1
		.amdhsa_fp16_overflow 0
		.amdhsa_workgroup_processor_mode 1
		.amdhsa_memory_ordered 1
		.amdhsa_forward_progress 1
		.amdhsa_shared_vgpr_count 0
		.amdhsa_exception_fp_ieee_invalid_op 0
		.amdhsa_exception_fp_denorm_src 0
		.amdhsa_exception_fp_ieee_div_zero 0
		.amdhsa_exception_fp_ieee_overflow 0
		.amdhsa_exception_fp_ieee_underflow 0
		.amdhsa_exception_fp_ieee_inexact 0
		.amdhsa_exception_int_div_zero 0
	.end_amdhsa_kernel
	.section	.text._ZN9rocsparseL19gebsrmvn_3xn_kernelILj128ELj7ELj32E21rocsparse_complex_numIfEEEvi20rocsparse_direction_NS_24const_host_device_scalarIT2_EEPKiS8_PKS5_SA_S6_PS5_21rocsparse_index_base_b,"axG",@progbits,_ZN9rocsparseL19gebsrmvn_3xn_kernelILj128ELj7ELj32E21rocsparse_complex_numIfEEEvi20rocsparse_direction_NS_24const_host_device_scalarIT2_EEPKiS8_PKS5_SA_S6_PS5_21rocsparse_index_base_b,comdat
.Lfunc_end102:
	.size	_ZN9rocsparseL19gebsrmvn_3xn_kernelILj128ELj7ELj32E21rocsparse_complex_numIfEEEvi20rocsparse_direction_NS_24const_host_device_scalarIT2_EEPKiS8_PKS5_SA_S6_PS5_21rocsparse_index_base_b, .Lfunc_end102-_ZN9rocsparseL19gebsrmvn_3xn_kernelILj128ELj7ELj32E21rocsparse_complex_numIfEEEvi20rocsparse_direction_NS_24const_host_device_scalarIT2_EEPKiS8_PKS5_SA_S6_PS5_21rocsparse_index_base_b
                                        ; -- End function
	.set _ZN9rocsparseL19gebsrmvn_3xn_kernelILj128ELj7ELj32E21rocsparse_complex_numIfEEEvi20rocsparse_direction_NS_24const_host_device_scalarIT2_EEPKiS8_PKS5_SA_S6_PS5_21rocsparse_index_base_b.num_vgpr, 73
	.set _ZN9rocsparseL19gebsrmvn_3xn_kernelILj128ELj7ELj32E21rocsparse_complex_numIfEEEvi20rocsparse_direction_NS_24const_host_device_scalarIT2_EEPKiS8_PKS5_SA_S6_PS5_21rocsparse_index_base_b.num_agpr, 0
	.set _ZN9rocsparseL19gebsrmvn_3xn_kernelILj128ELj7ELj32E21rocsparse_complex_numIfEEEvi20rocsparse_direction_NS_24const_host_device_scalarIT2_EEPKiS8_PKS5_SA_S6_PS5_21rocsparse_index_base_b.numbered_sgpr, 16
	.set _ZN9rocsparseL19gebsrmvn_3xn_kernelILj128ELj7ELj32E21rocsparse_complex_numIfEEEvi20rocsparse_direction_NS_24const_host_device_scalarIT2_EEPKiS8_PKS5_SA_S6_PS5_21rocsparse_index_base_b.num_named_barrier, 0
	.set _ZN9rocsparseL19gebsrmvn_3xn_kernelILj128ELj7ELj32E21rocsparse_complex_numIfEEEvi20rocsparse_direction_NS_24const_host_device_scalarIT2_EEPKiS8_PKS5_SA_S6_PS5_21rocsparse_index_base_b.private_seg_size, 0
	.set _ZN9rocsparseL19gebsrmvn_3xn_kernelILj128ELj7ELj32E21rocsparse_complex_numIfEEEvi20rocsparse_direction_NS_24const_host_device_scalarIT2_EEPKiS8_PKS5_SA_S6_PS5_21rocsparse_index_base_b.uses_vcc, 1
	.set _ZN9rocsparseL19gebsrmvn_3xn_kernelILj128ELj7ELj32E21rocsparse_complex_numIfEEEvi20rocsparse_direction_NS_24const_host_device_scalarIT2_EEPKiS8_PKS5_SA_S6_PS5_21rocsparse_index_base_b.uses_flat_scratch, 0
	.set _ZN9rocsparseL19gebsrmvn_3xn_kernelILj128ELj7ELj32E21rocsparse_complex_numIfEEEvi20rocsparse_direction_NS_24const_host_device_scalarIT2_EEPKiS8_PKS5_SA_S6_PS5_21rocsparse_index_base_b.has_dyn_sized_stack, 0
	.set _ZN9rocsparseL19gebsrmvn_3xn_kernelILj128ELj7ELj32E21rocsparse_complex_numIfEEEvi20rocsparse_direction_NS_24const_host_device_scalarIT2_EEPKiS8_PKS5_SA_S6_PS5_21rocsparse_index_base_b.has_recursion, 0
	.set _ZN9rocsparseL19gebsrmvn_3xn_kernelILj128ELj7ELj32E21rocsparse_complex_numIfEEEvi20rocsparse_direction_NS_24const_host_device_scalarIT2_EEPKiS8_PKS5_SA_S6_PS5_21rocsparse_index_base_b.has_indirect_call, 0
	.section	.AMDGPU.csdata,"",@progbits
; Kernel info:
; codeLenInByte = 4604
; TotalNumSgprs: 18
; NumVgprs: 73
; ScratchSize: 0
; MemoryBound: 0
; FloatMode: 240
; IeeeMode: 1
; LDSByteSize: 0 bytes/workgroup (compile time only)
; SGPRBlocks: 0
; VGPRBlocks: 9
; NumSGPRsForWavesPerEU: 18
; NumVGPRsForWavesPerEU: 73
; Occupancy: 12
; WaveLimiterHint : 1
; COMPUTE_PGM_RSRC2:SCRATCH_EN: 0
; COMPUTE_PGM_RSRC2:USER_SGPR: 6
; COMPUTE_PGM_RSRC2:TRAP_HANDLER: 0
; COMPUTE_PGM_RSRC2:TGID_X_EN: 1
; COMPUTE_PGM_RSRC2:TGID_Y_EN: 0
; COMPUTE_PGM_RSRC2:TGID_Z_EN: 0
; COMPUTE_PGM_RSRC2:TIDIG_COMP_CNT: 0
	.section	.text._ZN9rocsparseL19gebsrmvn_3xn_kernelILj128ELj7ELj64E21rocsparse_complex_numIfEEEvi20rocsparse_direction_NS_24const_host_device_scalarIT2_EEPKiS8_PKS5_SA_S6_PS5_21rocsparse_index_base_b,"axG",@progbits,_ZN9rocsparseL19gebsrmvn_3xn_kernelILj128ELj7ELj64E21rocsparse_complex_numIfEEEvi20rocsparse_direction_NS_24const_host_device_scalarIT2_EEPKiS8_PKS5_SA_S6_PS5_21rocsparse_index_base_b,comdat
	.globl	_ZN9rocsparseL19gebsrmvn_3xn_kernelILj128ELj7ELj64E21rocsparse_complex_numIfEEEvi20rocsparse_direction_NS_24const_host_device_scalarIT2_EEPKiS8_PKS5_SA_S6_PS5_21rocsparse_index_base_b ; -- Begin function _ZN9rocsparseL19gebsrmvn_3xn_kernelILj128ELj7ELj64E21rocsparse_complex_numIfEEEvi20rocsparse_direction_NS_24const_host_device_scalarIT2_EEPKiS8_PKS5_SA_S6_PS5_21rocsparse_index_base_b
	.p2align	8
	.type	_ZN9rocsparseL19gebsrmvn_3xn_kernelILj128ELj7ELj64E21rocsparse_complex_numIfEEEvi20rocsparse_direction_NS_24const_host_device_scalarIT2_EEPKiS8_PKS5_SA_S6_PS5_21rocsparse_index_base_b,@function
_ZN9rocsparseL19gebsrmvn_3xn_kernelILj128ELj7ELj64E21rocsparse_complex_numIfEEEvi20rocsparse_direction_NS_24const_host_device_scalarIT2_EEPKiS8_PKS5_SA_S6_PS5_21rocsparse_index_base_b: ; @_ZN9rocsparseL19gebsrmvn_3xn_kernelILj128ELj7ELj64E21rocsparse_complex_numIfEEEvi20rocsparse_direction_NS_24const_host_device_scalarIT2_EEPKiS8_PKS5_SA_S6_PS5_21rocsparse_index_base_b
; %bb.0:
	s_clause 0x2
	s_load_dwordx2 s[2:3], s[4:5], 0x40
	s_load_dwordx2 s[0:1], s[4:5], 0x8
	;; [unrolled: 1-line block ×3, first 2 shown]
	s_add_u32 s7, s4, 8
	s_addc_u32 s10, s5, 0
	s_add_u32 s11, s4, 48
	s_addc_u32 s12, s5, 0
	s_waitcnt lgkmcnt(0)
	s_bitcmp1_b32 s3, 0
	s_cselect_b32 s0, s7, s0
	s_cselect_b32 s1, s10, s1
	v_mov_b32_e32 v1, s0
	v_mov_b32_e32 v2, s1
	s_cselect_b32 s0, s11, s8
	s_cselect_b32 s1, s12, s9
	v_mov_b32_e32 v3, s0
	v_mov_b32_e32 v4, s1
	flat_load_dwordx2 v[1:2], v[1:2]
	flat_load_dwordx2 v[3:4], v[3:4]
	s_waitcnt vmcnt(1) lgkmcnt(1)
	v_cmp_eq_f32_e32 vcc_lo, 0, v1
	v_cmp_eq_f32_e64 s0, 0, v2
	s_and_b32 s3, vcc_lo, s0
	s_mov_b32 s0, -1
	s_and_saveexec_b32 s1, s3
	s_cbranch_execz .LBB103_2
; %bb.1:
	s_waitcnt vmcnt(0) lgkmcnt(0)
	v_cmp_neq_f32_e32 vcc_lo, 1.0, v3
	v_cmp_neq_f32_e64 s0, 0, v4
	s_or_b32 s0, vcc_lo, s0
	s_orn2_b32 s0, s0, exec_lo
.LBB103_2:
	s_or_b32 exec_lo, exec_lo, s1
	s_and_saveexec_b32 s1, s0
	s_cbranch_execz .LBB103_21
; %bb.3:
	s_load_dwordx2 s[0:1], s[4:5], 0x0
	v_lshrrev_b32_e32 v5, 6, v0
	v_lshl_or_b32 v5, s6, 1, v5
	s_waitcnt lgkmcnt(0)
	v_cmp_gt_i32_e32 vcc_lo, s0, v5
	s_and_b32 exec_lo, exec_lo, vcc_lo
	s_cbranch_execz .LBB103_21
; %bb.4:
	s_load_dwordx8 s[8:15], s[4:5], 0x10
	v_ashrrev_i32_e32 v6, 31, v5
	v_and_b32_e32 v0, 63, v0
	s_cmp_lg_u32 s1, 0
	v_lshlrev_b64 v[6:7], 2, v[5:6]
	s_waitcnt lgkmcnt(0)
	v_add_co_u32 v6, vcc_lo, s8, v6
	v_add_co_ci_u32_e64 v7, null, s9, v7, vcc_lo
	global_load_dwordx2 v[6:7], v[6:7], off
	s_waitcnt vmcnt(0)
	v_subrev_nc_u32_e32 v6, s2, v6
	v_subrev_nc_u32_e32 v17, s2, v7
	v_add_nc_u32_e32 v6, v6, v0
	v_cmp_lt_i32_e64 s0, v6, v17
	s_cbranch_scc0 .LBB103_10
; %bb.5:
	v_mov_b32_e32 v14, 0
	v_mov_b32_e32 v19, 0
	;; [unrolled: 1-line block ×6, first 2 shown]
	s_and_saveexec_b32 s1, s0
	s_cbranch_execz .LBB103_9
; %bb.6:
	v_mad_u64_u32 v[7:8], null, v6, 21, 20
	v_mov_b32_e32 v10, 0
	v_mov_b32_e32 v11, v6
	;; [unrolled: 1-line block ×8, first 2 shown]
	s_mov_b32 s3, 0
.LBB103_7:                              ; =>This Inner Loop Header: Depth=1
	v_ashrrev_i32_e32 v12, 31, v11
	v_mov_b32_e32 v13, v10
	v_lshlrev_b64 v[8:9], 2, v[11:12]
	v_add_nc_u32_e32 v11, 64, v11
	v_add_co_u32 v8, vcc_lo, s10, v8
	v_add_co_ci_u32_e64 v9, null, s11, v9, vcc_lo
	global_load_dword v12, v[8:9], off
	v_subrev_nc_u32_e32 v9, 20, v7
	v_mov_b32_e32 v8, v10
	v_lshlrev_b64 v[21:22], 3, v[9:10]
	v_subrev_nc_u32_e32 v9, 19, v7
	v_lshlrev_b64 v[23:24], 3, v[7:8]
	v_lshlrev_b64 v[25:26], 3, v[9:10]
	v_subrev_nc_u32_e32 v9, 18, v7
	v_add_co_u32 v21, vcc_lo, s12, v21
	v_add_co_ci_u32_e64 v22, null, s13, v22, vcc_lo
	v_lshlrev_b64 v[27:28], 3, v[9:10]
	v_subrev_nc_u32_e32 v9, 17, v7
	v_add_co_u32 v23, vcc_lo, s12, v23
	v_add_co_ci_u32_e64 v24, null, s13, v24, vcc_lo
	v_lshlrev_b64 v[8:9], 3, v[9:10]
	v_add_co_u32 v25, vcc_lo, s12, v25
	v_add_co_ci_u32_e64 v26, null, s13, v26, vcc_lo
	v_add_co_u32 v27, vcc_lo, s12, v27
	v_add_co_ci_u32_e64 v28, null, s13, v28, vcc_lo
	;; [unrolled: 2-line block ×3, first 2 shown]
	s_clause 0x3
	global_load_dwordx2 v[21:22], v[21:22], off
	global_load_dwordx2 v[25:26], v[25:26], off
	;; [unrolled: 1-line block ×4, first 2 shown]
	s_waitcnt vmcnt(4)
	v_subrev_nc_u32_e32 v8, s2, v12
	v_mul_lo_u32 v12, v8, 7
	v_add_nc_u32_e32 v9, 1, v12
	v_lshlrev_b64 v[31:32], 3, v[12:13]
	v_lshlrev_b64 v[33:34], 3, v[9:10]
	v_add_nc_u32_e32 v9, -16, v7
	v_add_co_u32 v31, vcc_lo, s14, v31
	v_add_co_ci_u32_e64 v32, null, s15, v32, vcc_lo
	v_lshlrev_b64 v[35:36], 3, v[9:10]
	v_add_nc_u32_e32 v9, -15, v7
	v_add_co_u32 v33, vcc_lo, s14, v33
	global_load_dwordx2 v[31:32], v[31:32], off
	v_add_co_ci_u32_e64 v34, null, s15, v34, vcc_lo
	v_lshlrev_b64 v[37:38], 3, v[9:10]
	v_add_nc_u32_e32 v9, -14, v7
	v_add_co_u32 v35, vcc_lo, s12, v35
	v_add_co_ci_u32_e64 v36, null, s13, v36, vcc_lo
	v_lshlrev_b64 v[39:40], 3, v[9:10]
	v_add_nc_u32_e32 v9, 2, v12
	v_add_co_u32 v37, vcc_lo, s12, v37
	v_add_co_ci_u32_e64 v38, null, s13, v38, vcc_lo
	v_lshlrev_b64 v[41:42], 3, v[9:10]
	v_add_nc_u32_e32 v9, -13, v7
	v_add_co_u32 v39, vcc_lo, s12, v39
	v_add_co_ci_u32_e64 v40, null, s13, v40, vcc_lo
	v_lshlrev_b64 v[43:44], 3, v[9:10]
	v_add_nc_u32_e32 v9, -12, v7
	v_add_co_u32 v41, vcc_lo, s14, v41
	global_load_dwordx2 v[33:34], v[33:34], off
	s_clause 0x2
	global_load_dwordx2 v[35:36], v[35:36], off
	global_load_dwordx2 v[37:38], v[37:38], off
	global_load_dwordx2 v[39:40], v[39:40], off
	v_lshlrev_b64 v[45:46], 3, v[9:10]
	v_add_nc_u32_e32 v9, -11, v7
	v_add_co_ci_u32_e64 v42, null, s15, v42, vcc_lo
	v_add_co_u32 v43, vcc_lo, s12, v43
	v_lshlrev_b64 v[47:48], 3, v[9:10]
	v_add_nc_u32_e32 v9, 3, v12
	v_add_co_ci_u32_e64 v44, null, s13, v44, vcc_lo
	v_add_co_u32 v45, vcc_lo, s12, v45
	v_lshlrev_b64 v[49:50], 3, v[9:10]
	v_add_nc_u32_e32 v9, -10, v7
	v_add_co_ci_u32_e64 v46, null, s13, v46, vcc_lo
	v_add_co_u32 v47, vcc_lo, s12, v47
	v_lshlrev_b64 v[51:52], 3, v[9:10]
	v_add_nc_u32_e32 v9, -9, v7
	;; [unrolled: 4-line block ×3, first 2 shown]
	v_add_co_ci_u32_e64 v50, null, s15, v50, vcc_lo
	v_add_co_u32 v51, vcc_lo, s12, v51
	v_lshlrev_b64 v[55:56], 3, v[9:10]
	v_add_nc_u32_e32 v9, 4, v12
	global_load_dwordx2 v[41:42], v[41:42], off
	s_clause 0x2
	global_load_dwordx2 v[43:44], v[43:44], off
	global_load_dwordx2 v[45:46], v[45:46], off
	;; [unrolled: 1-line block ×3, first 2 shown]
	v_lshlrev_b64 v[57:58], 3, v[9:10]
	v_add_nc_u32_e32 v9, -7, v7
	v_add_co_ci_u32_e64 v52, null, s13, v52, vcc_lo
	v_add_co_u32 v53, vcc_lo, s12, v53
	v_lshlrev_b64 v[59:60], 3, v[9:10]
	v_add_nc_u32_e32 v9, -6, v7
	v_add_co_ci_u32_e64 v54, null, s13, v54, vcc_lo
	v_add_co_u32 v55, vcc_lo, s12, v55
	;; [unrolled: 4-line block ×3, first 2 shown]
	v_lshlrev_b64 v[63:64], 3, v[9:10]
	v_add_nc_u32_e32 v9, 5, v12
	v_add_co_ci_u32_e64 v58, null, s15, v58, vcc_lo
	v_add_co_u32 v59, vcc_lo, s12, v59
	v_lshlrev_b64 v[65:66], 3, v[9:10]
	v_add_nc_u32_e32 v9, -4, v7
	v_add_co_ci_u32_e64 v60, null, s13, v60, vcc_lo
	v_add_co_u32 v61, vcc_lo, s12, v61
	v_lshlrev_b64 v[67:68], 3, v[9:10]
	v_add_nc_u32_e32 v9, -3, v7
	global_load_dwordx2 v[49:50], v[49:50], off
	s_clause 0x2
	global_load_dwordx2 v[51:52], v[51:52], off
	global_load_dwordx2 v[53:54], v[53:54], off
	;; [unrolled: 1-line block ×3, first 2 shown]
	v_add_co_ci_u32_e64 v62, null, s13, v62, vcc_lo
	v_add_co_u32 v63, vcc_lo, s12, v63
	v_add_co_ci_u32_e64 v64, null, s13, v64, vcc_lo
	v_add_co_u32 v65, vcc_lo, s14, v65
	v_lshlrev_b64 v[69:70], 3, v[9:10]
	v_add_nc_u32_e32 v9, -2, v7
	v_add_co_ci_u32_e64 v66, null, s15, v66, vcc_lo
	v_add_co_u32 v67, vcc_lo, s12, v67
	v_add_co_ci_u32_e64 v68, null, s13, v68, vcc_lo
	v_lshlrev_b64 v[71:72], 3, v[9:10]
	v_add_nc_u32_e32 v9, 6, v12
	global_load_dwordx2 v[57:58], v[57:58], off
	s_clause 0x3
	global_load_dwordx2 v[59:60], v[59:60], off
	global_load_dwordx2 v[61:62], v[61:62], off
	;; [unrolled: 1-line block ×4, first 2 shown]
	v_add_co_u32 v67, vcc_lo, s12, v69
	v_add_co_ci_u32_e64 v68, null, s13, v70, vcc_lo
	v_lshlrev_b64 v[69:70], 3, v[9:10]
	v_add_nc_u32_e32 v9, -1, v7
	global_load_dwordx2 v[65:66], v[65:66], off
	v_add_co_u32 v71, vcc_lo, s12, v71
	global_load_dwordx2 v[67:68], v[67:68], off
	v_lshlrev_b64 v[8:9], 3, v[9:10]
	v_add_co_ci_u32_e64 v72, null, s13, v72, vcc_lo
	v_add_co_u32 v69, vcc_lo, s14, v69
	v_add_co_ci_u32_e64 v70, null, s15, v70, vcc_lo
	v_add_co_u32 v8, vcc_lo, s12, v8
	v_add_co_ci_u32_e64 v9, null, s13, v9, vcc_lo
	global_load_dwordx2 v[71:72], v[71:72], off
	global_load_dwordx2 v[69:70], v[69:70], off
	s_clause 0x1
	global_load_dwordx2 v[8:9], v[8:9], off
	global_load_dwordx2 v[23:24], v[23:24], off
	v_cmp_ge_i32_e32 vcc_lo, v11, v17
	v_add_nc_u32_e32 v7, 0x540, v7
	s_or_b32 s3, vcc_lo, s3
	s_waitcnt vmcnt(23)
	v_fmac_f32_e32 v19, v21, v31
	v_fmac_f32_e32 v14, v22, v31
	;; [unrolled: 1-line block ×6, first 2 shown]
	v_fma_f32 v19, -v22, v32, v19
	v_fmac_f32_e32 v14, v21, v32
	v_fma_f32 v20, -v26, v32, v20
	v_fmac_f32_e32 v16, v25, v32
	v_fma_f32 v18, -v28, v32, v18
	v_fmac_f32_e32 v15, v27, v32
	s_waitcnt vmcnt(22)
	v_fmac_f32_e32 v19, v29, v33
	v_fmac_f32_e32 v14, v30, v33
	s_waitcnt vmcnt(21)
	v_fmac_f32_e32 v20, v35, v33
	v_fmac_f32_e32 v16, v36, v33
	s_waitcnt vmcnt(20)
	v_fmac_f32_e32 v18, v37, v33
	v_fmac_f32_e32 v15, v38, v33
	v_fma_f32 v19, -v30, v34, v19
	v_fmac_f32_e32 v14, v29, v34
	v_fma_f32 v20, -v36, v34, v20
	v_fmac_f32_e32 v16, v35, v34
	v_fma_f32 v18, -v38, v34, v18
	v_fmac_f32_e32 v15, v37, v34
	s_waitcnt vmcnt(18)
	v_fmac_f32_e32 v19, v39, v41
	v_fmac_f32_e32 v14, v40, v41
	s_waitcnt vmcnt(17)
	v_fmac_f32_e32 v20, v43, v41
	v_fmac_f32_e32 v16, v44, v41
	s_waitcnt vmcnt(16)
	v_fmac_f32_e32 v18, v45, v41
	v_fmac_f32_e32 v15, v46, v41
	;; [unrolled: 15-line block ×4, first 2 shown]
	v_fma_f32 v19, -v56, v58, v19
	v_fmac_f32_e32 v14, v55, v58
	v_fma_f32 v20, -v60, v58, v20
	v_fmac_f32_e32 v16, v59, v58
	;; [unrolled: 2-line block ×3, first 2 shown]
	s_waitcnt vmcnt(5)
	v_fmac_f32_e32 v19, v63, v65
	v_fmac_f32_e32 v14, v64, v65
	;; [unrolled: 1-line block ×4, first 2 shown]
	s_waitcnt vmcnt(4)
	v_fmac_f32_e32 v18, v67, v65
	v_fmac_f32_e32 v15, v68, v65
	v_fma_f32 v19, -v64, v66, v19
	v_fmac_f32_e32 v14, v63, v66
	v_fma_f32 v13, -v13, v66, v20
	;; [unrolled: 2-line block ×3, first 2 shown]
	v_fmac_f32_e32 v15, v67, v66
	s_waitcnt vmcnt(2)
	v_fmac_f32_e32 v19, v71, v69
	v_fmac_f32_e32 v14, v72, v69
	s_waitcnt vmcnt(1)
	v_fmac_f32_e32 v13, v8, v69
	;; [unrolled: 3-line block ×3, first 2 shown]
	v_fmac_f32_e32 v15, v24, v69
	v_fma_f32 v19, -v72, v70, v19
	v_fmac_f32_e32 v14, v71, v70
	v_fma_f32 v20, -v9, v70, v13
	;; [unrolled: 2-line block ×3, first 2 shown]
	v_fmac_f32_e32 v15, v23, v70
	s_andn2_b32 exec_lo, exec_lo, s3
	s_cbranch_execnz .LBB103_7
; %bb.8:
	s_or_b32 exec_lo, exec_lo, s3
.LBB103_9:
	s_or_b32 exec_lo, exec_lo, s1
	s_cbranch_execz .LBB103_11
	s_branch .LBB103_16
.LBB103_10:
                                        ; implicit-def: $vgpr14
                                        ; implicit-def: $vgpr19
                                        ; implicit-def: $vgpr18
                                        ; implicit-def: $vgpr15
                                        ; implicit-def: $vgpr20
                                        ; implicit-def: $vgpr16
.LBB103_11:
	v_mov_b32_e32 v14, 0
	v_mov_b32_e32 v19, 0
	;; [unrolled: 1-line block ×6, first 2 shown]
	s_and_saveexec_b32 s1, s0
	s_cbranch_execz .LBB103_15
; %bb.12:
	v_mad_u64_u32 v[8:9], null, v6, 21, 20
	v_mov_b32_e32 v11, 0
	v_mov_b32_e32 v14, 0
	;; [unrolled: 1-line block ×7, first 2 shown]
	s_mov_b32 s0, 0
.LBB103_13:                             ; =>This Inner Loop Header: Depth=1
	v_ashrrev_i32_e32 v7, 31, v6
	v_subrev_nc_u32_e32 v10, 20, v8
	v_add_nc_u32_e32 v21, -13, v8
	v_mov_b32_e32 v22, v11
	v_add_nc_u32_e32 v23, -6, v8
	v_lshlrev_b64 v[27:28], 2, v[6:7]
	v_mov_b32_e32 v24, v11
	v_lshlrev_b64 v[25:26], 3, v[10:11]
	v_mov_b32_e32 v9, v11
	v_lshlrev_b64 v[21:22], 3, v[21:22]
	v_subrev_nc_u32_e32 v10, 19, v8
	v_add_co_u32 v27, vcc_lo, s10, v27
	v_add_co_ci_u32_e64 v28, null, s11, v28, vcc_lo
	v_lshlrev_b64 v[23:24], 3, v[23:24]
	v_lshlrev_b64 v[29:30], 3, v[8:9]
	v_add_co_u32 v25, vcc_lo, s12, v25
	global_load_dword v7, v[27:28], off
	v_lshlrev_b64 v[9:10], 3, v[10:11]
	v_add_co_ci_u32_e64 v26, null, s13, v26, vcc_lo
	v_add_co_u32 v21, vcc_lo, s12, v21
	v_add_co_ci_u32_e64 v22, null, s13, v22, vcc_lo
	v_add_co_u32 v23, vcc_lo, s12, v23
	;; [unrolled: 2-line block ×4, first 2 shown]
	v_add_co_ci_u32_e64 v28, null, s13, v10, vcc_lo
	v_mov_b32_e32 v13, v11
	v_add_nc_u32_e32 v6, 64, v6
	s_waitcnt vmcnt(0)
	v_subrev_nc_u32_e32 v7, s2, v7
	v_mul_lo_u32 v12, v7, 7
	v_add_nc_u32_e32 v10, 1, v12
	v_lshlrev_b64 v[31:32], 3, v[12:13]
	v_lshlrev_b64 v[33:34], 3, v[10:11]
	v_add_nc_u32_e32 v10, -12, v8
	v_add_co_u32 v31, vcc_lo, s14, v31
	v_add_co_ci_u32_e64 v32, null, s15, v32, vcc_lo
	v_lshlrev_b64 v[35:36], 3, v[10:11]
	v_add_nc_u32_e32 v10, -5, v8
	v_add_co_u32 v33, vcc_lo, s14, v33
	v_add_co_ci_u32_e64 v34, null, s15, v34, vcc_lo
	v_lshlrev_b64 v[37:38], 3, v[10:11]
	v_subrev_nc_u32_e32 v10, 18, v8
	v_add_co_u32 v35, vcc_lo, s12, v35
	v_add_co_ci_u32_e64 v36, null, s13, v36, vcc_lo
	v_lshlrev_b64 v[39:40], 3, v[10:11]
	v_add_nc_u32_e32 v10, 2, v12
	v_add_co_u32 v37, vcc_lo, s12, v37
	v_add_co_ci_u32_e64 v38, null, s13, v38, vcc_lo
	v_lshlrev_b64 v[41:42], 3, v[10:11]
	v_add_nc_u32_e32 v10, -11, v8
	v_add_co_u32 v39, vcc_lo, s12, v39
	v_add_co_ci_u32_e64 v40, null, s13, v40, vcc_lo
	v_lshlrev_b64 v[43:44], 3, v[10:11]
	v_add_nc_u32_e32 v10, -4, v8
	v_add_co_u32 v41, vcc_lo, s14, v41
	v_add_co_ci_u32_e64 v42, null, s15, v42, vcc_lo
	v_lshlrev_b64 v[45:46], 3, v[10:11]
	v_subrev_nc_u32_e32 v10, 17, v8
	v_add_co_u32 v43, vcc_lo, s12, v43
	v_add_co_ci_u32_e64 v44, null, s13, v44, vcc_lo
	v_lshlrev_b64 v[47:48], 3, v[10:11]
	v_add_nc_u32_e32 v10, 3, v12
	v_add_co_u32 v45, vcc_lo, s12, v45
	v_add_co_ci_u32_e64 v46, null, s13, v46, vcc_lo
	v_lshlrev_b64 v[49:50], 3, v[10:11]
	v_add_nc_u32_e32 v10, -10, v8
	v_add_co_u32 v47, vcc_lo, s12, v47
	v_add_co_ci_u32_e64 v48, null, s13, v48, vcc_lo
	v_lshlrev_b64 v[51:52], 3, v[10:11]
	v_add_nc_u32_e32 v10, -3, v8
	;; [unrolled: 4-line block ×3, first 2 shown]
	v_add_co_u32 v51, vcc_lo, s12, v51
	v_add_co_ci_u32_e64 v52, null, s13, v52, vcc_lo
	v_lshlrev_b64 v[55:56], 3, v[10:11]
	v_add_nc_u32_e32 v10, 4, v12
	v_add_co_u32 v53, vcc_lo, s12, v53
	v_add_co_ci_u32_e64 v54, null, s13, v54, vcc_lo
	v_lshlrev_b64 v[57:58], 3, v[10:11]
	v_add_nc_u32_e32 v10, -9, v8
	v_add_co_u32 v55, vcc_lo, s12, v55
	v_add_co_ci_u32_e64 v56, null, s13, v56, vcc_lo
	v_lshlrev_b64 v[59:60], 3, v[10:11]
	v_add_nc_u32_e32 v10, -2, v8
	;; [unrolled: 4-line block ×3, first 2 shown]
	v_add_co_u32 v59, vcc_lo, s12, v59
	v_add_co_ci_u32_e64 v60, null, s13, v60, vcc_lo
	v_lshlrev_b64 v[9:10], 3, v[10:11]
	v_add_co_u32 v61, vcc_lo, s12, v61
	v_add_co_ci_u32_e64 v62, null, s13, v62, vcc_lo
	v_add_co_u32 v63, vcc_lo, s12, v9
	v_add_co_ci_u32_e64 v64, null, s13, v10, vcc_lo
	v_add_nc_u32_e32 v10, 5, v12
	v_lshlrev_b64 v[9:10], 3, v[10:11]
	v_add_co_u32 v65, vcc_lo, s14, v9
	v_add_co_ci_u32_e64 v66, null, s15, v10, vcc_lo
	global_load_dwordx2 v[9:10], v[25:26], off
	global_load_dwordx2 v[25:26], v[31:32], off
	s_clause 0x2
	global_load_dwordx2 v[21:22], v[21:22], off
	global_load_dwordx2 v[23:24], v[23:24], off
	;; [unrolled: 1-line block ×3, first 2 shown]
	s_waitcnt vmcnt(3)
	v_fmac_f32_e32 v19, v9, v25
	v_fmac_f32_e32 v14, v10, v25
	s_waitcnt vmcnt(2)
	v_fmac_f32_e32 v20, v21, v25
	v_fmac_f32_e32 v16, v22, v25
	s_waitcnt vmcnt(1)
	v_fmac_f32_e32 v18, v23, v25
	v_fma_f32 v7, -v10, v26, v19
	v_add_nc_u32_e32 v10, -8, v8
	v_fma_f32 v67, -v22, v26, v20
	v_fmac_f32_e32 v16, v21, v26
	v_fmac_f32_e32 v15, v24, v25
	v_fma_f32 v68, -v24, v26, v18
	v_lshlrev_b64 v[19:20], 3, v[10:11]
	v_add_nc_u32_e32 v10, -1, v8
	v_fmac_f32_e32 v14, v9, v26
	v_fmac_f32_e32 v15, v23, v26
	v_lshlrev_b64 v[21:22], 3, v[10:11]
	v_add_nc_u32_e32 v10, -14, v8
	v_add_co_u32 v18, vcc_lo, s12, v19
	v_add_co_ci_u32_e64 v19, null, s13, v20, vcc_lo
	v_lshlrev_b64 v[23:24], 3, v[10:11]
	v_add_nc_u32_e32 v10, 6, v12
	v_add_co_u32 v12, vcc_lo, s12, v21
	v_add_co_ci_u32_e64 v13, null, s13, v22, vcc_lo
	v_add_co_u32 v20, vcc_lo, s12, v23
	v_add_co_ci_u32_e64 v21, null, s13, v24, vcc_lo
	global_load_dwordx2 v[24:25], v[33:34], off
	v_lshlrev_b64 v[9:10], 3, v[10:11]
	v_add_co_u32 v22, vcc_lo, s14, v9
	v_add_co_ci_u32_e64 v23, null, s15, v10, vcc_lo
	v_add_nc_u32_e32 v10, -7, v8
	v_add_nc_u32_e32 v8, 0x540, v8
	v_lshlrev_b64 v[9:10], 3, v[10:11]
	v_add_co_u32 v9, vcc_lo, s12, v9
	v_add_co_ci_u32_e64 v10, null, s13, v10, vcc_lo
	v_cmp_ge_i32_e32 vcc_lo, v6, v17
	s_or_b32 s0, vcc_lo, s0
	s_waitcnt vmcnt(0)
	v_fmac_f32_e32 v7, v27, v24
	v_fmac_f32_e32 v14, v28, v24
	v_fma_f32 v7, -v28, v25, v7
	v_fmac_f32_e32 v14, v27, v25
	s_clause 0x2
	global_load_dwordx2 v[26:27], v[35:36], off
	global_load_dwordx2 v[31:32], v[37:38], off
	global_load_dwordx2 v[33:34], v[39:40], off
	global_load_dwordx2 v[35:36], v[41:42], off
	s_clause 0x2
	global_load_dwordx2 v[37:38], v[43:44], off
	global_load_dwordx2 v[39:40], v[45:46], off
	global_load_dwordx2 v[41:42], v[47:48], off
	global_load_dwordx2 v[43:44], v[49:50], off
	;; [unrolled: 5-line block ×5, first 2 shown]
	global_load_dwordx2 v[22:23], v[22:23], off
	global_load_dwordx2 v[9:10], v[9:10], off
	s_waitcnt vmcnt(21)
	v_fmac_f32_e32 v67, v26, v24
	v_fmac_f32_e32 v16, v27, v24
	s_waitcnt vmcnt(20)
	v_fmac_f32_e32 v68, v31, v24
	v_fmac_f32_e32 v15, v32, v24
	s_waitcnt vmcnt(18)
	v_fmac_f32_e32 v7, v33, v35
	v_fma_f32 v24, -v27, v25, v67
	v_fmac_f32_e32 v16, v26, v25
	v_fma_f32 v26, -v32, v25, v68
	v_fmac_f32_e32 v15, v31, v25
	v_fmac_f32_e32 v14, v34, v35
	s_waitcnt vmcnt(17)
	v_fmac_f32_e32 v24, v37, v35
	v_fmac_f32_e32 v16, v38, v35
	s_waitcnt vmcnt(16)
	v_fmac_f32_e32 v26, v39, v35
	v_fmac_f32_e32 v15, v40, v35
	v_fma_f32 v7, -v34, v36, v7
	v_fmac_f32_e32 v14, v33, v36
	v_fma_f32 v24, -v38, v36, v24
	v_fmac_f32_e32 v16, v37, v36
	v_fma_f32 v25, -v40, v36, v26
	v_fmac_f32_e32 v15, v39, v36
	s_waitcnt vmcnt(14)
	v_fmac_f32_e32 v7, v41, v43
	v_fmac_f32_e32 v14, v42, v43
	s_waitcnt vmcnt(13)
	v_fmac_f32_e32 v24, v45, v43
	v_fmac_f32_e32 v16, v46, v43
	s_waitcnt vmcnt(12)
	v_fmac_f32_e32 v25, v47, v43
	v_fmac_f32_e32 v15, v48, v43
	v_fma_f32 v7, -v42, v44, v7
	v_fmac_f32_e32 v14, v41, v44
	v_fma_f32 v24, -v46, v44, v24
	v_fmac_f32_e32 v16, v45, v44
	v_fma_f32 v25, -v48, v44, v25
	v_fmac_f32_e32 v15, v47, v44
	s_waitcnt vmcnt(10)
	;; [unrolled: 15-line block ×4, first 2 shown]
	v_fmac_f32_e32 v7, v20, v22
	v_fmac_f32_e32 v14, v21, v22
	s_waitcnt vmcnt(0)
	v_fmac_f32_e32 v24, v9, v22
	v_fmac_f32_e32 v13, v28, v22
	;; [unrolled: 1-line block ×4, first 2 shown]
	v_fma_f32 v19, -v21, v23, v7
	v_fmac_f32_e32 v14, v20, v23
	v_fma_f32 v18, -v29, v23, v13
	v_fmac_f32_e32 v15, v28, v23
	;; [unrolled: 2-line block ×3, first 2 shown]
	s_andn2_b32 exec_lo, exec_lo, s0
	s_cbranch_execnz .LBB103_13
; %bb.14:
	s_or_b32 exec_lo, exec_lo, s0
.LBB103_15:
	s_or_b32 exec_lo, exec_lo, s1
.LBB103_16:
	v_mbcnt_lo_u32_b32 v6, -1, 0
	v_or_b32_e32 v7, 32, v6
	v_xor_b32_e32 v13, 16, v6
	v_cmp_gt_i32_e32 vcc_lo, 32, v7
	v_cndmask_b32_e32 v7, v6, v7, vcc_lo
	v_cmp_gt_i32_e32 vcc_lo, 32, v13
	v_lshlrev_b32_e32 v7, 2, v7
	v_cndmask_b32_e32 v13, v6, v13, vcc_lo
	ds_bpermute_b32 v8, v7, v19
	ds_bpermute_b32 v9, v7, v14
	;; [unrolled: 1-line block ×6, first 2 shown]
	v_lshlrev_b32_e32 v13, 2, v13
	s_waitcnt lgkmcnt(5)
	v_add_f32_e32 v8, v19, v8
	s_waitcnt lgkmcnt(4)
	v_add_f32_e32 v9, v14, v9
	;; [unrolled: 2-line block ×6, first 2 shown]
	ds_bpermute_b32 v14, v13, v8
	ds_bpermute_b32 v15, v13, v9
	ds_bpermute_b32 v16, v13, v10
	ds_bpermute_b32 v17, v13, v11
	ds_bpermute_b32 v18, v13, v12
	ds_bpermute_b32 v13, v13, v7
	v_xor_b32_e32 v19, 8, v6
	v_cmp_gt_i32_e32 vcc_lo, 32, v19
	v_cndmask_b32_e32 v19, v6, v19, vcc_lo
	s_waitcnt lgkmcnt(5)
	v_add_f32_e32 v8, v8, v14
	v_lshlrev_b32_e32 v19, 2, v19
	s_waitcnt lgkmcnt(4)
	v_add_f32_e32 v9, v9, v15
	s_waitcnt lgkmcnt(3)
	v_add_f32_e32 v10, v10, v16
	s_waitcnt lgkmcnt(2)
	v_add_f32_e32 v11, v11, v17
	s_waitcnt lgkmcnt(1)
	v_add_f32_e32 v12, v12, v18
	s_waitcnt lgkmcnt(0)
	v_add_f32_e32 v7, v7, v13
	ds_bpermute_b32 v13, v19, v8
	ds_bpermute_b32 v14, v19, v9
	ds_bpermute_b32 v15, v19, v10
	ds_bpermute_b32 v16, v19, v11
	ds_bpermute_b32 v17, v19, v12
	ds_bpermute_b32 v18, v19, v7
	v_xor_b32_e32 v19, 4, v6
	v_cmp_gt_i32_e32 vcc_lo, 32, v19
	v_cndmask_b32_e32 v19, v6, v19, vcc_lo
	s_waitcnt lgkmcnt(5)
	v_add_f32_e32 v8, v8, v13
	v_lshlrev_b32_e32 v19, 2, v19
	s_waitcnt lgkmcnt(4)
	v_add_f32_e32 v9, v9, v14
	s_waitcnt lgkmcnt(3)
	v_add_f32_e32 v10, v10, v15
	s_waitcnt lgkmcnt(2)
	v_add_f32_e32 v11, v11, v16
	s_waitcnt lgkmcnt(1)
	v_add_f32_e32 v12, v12, v17
	s_waitcnt lgkmcnt(0)
	v_add_f32_e32 v7, v7, v18
	ds_bpermute_b32 v13, v19, v8
	ds_bpermute_b32 v14, v19, v9
	ds_bpermute_b32 v15, v19, v10
	ds_bpermute_b32 v16, v19, v11
	ds_bpermute_b32 v17, v19, v12
	ds_bpermute_b32 v18, v19, v7
	v_xor_b32_e32 v19, 2, v6
	v_cmp_gt_i32_e32 vcc_lo, 32, v19
	v_cndmask_b32_e32 v19, v6, v19, vcc_lo
	s_waitcnt lgkmcnt(5)
	v_add_f32_e32 v8, v8, v13
	v_lshlrev_b32_e32 v19, 2, v19
	s_waitcnt lgkmcnt(4)
	v_add_f32_e32 v9, v9, v14
	s_waitcnt lgkmcnt(3)
	v_add_f32_e32 v10, v10, v15
	s_waitcnt lgkmcnt(2)
	v_add_f32_e32 v13, v11, v16
	s_waitcnt lgkmcnt(1)
	v_add_f32_e32 v14, v12, v17
	s_waitcnt lgkmcnt(0)
	v_add_f32_e32 v15, v7, v18
	ds_bpermute_b32 v7, v19, v8
	ds_bpermute_b32 v11, v19, v9
	;; [unrolled: 1-line block ×6, first 2 shown]
	v_xor_b32_e32 v19, 1, v6
	v_cmp_gt_i32_e32 vcc_lo, 32, v19
	v_cndmask_b32_e32 v6, v6, v19, vcc_lo
	v_cmp_eq_u32_e32 vcc_lo, 63, v0
	v_lshlrev_b32_e32 v19, 2, v6
	s_waitcnt lgkmcnt(5)
	v_add_f32_e32 v6, v8, v7
	s_waitcnt lgkmcnt(4)
	v_add_f32_e32 v9, v9, v11
	s_waitcnt lgkmcnt(3)
	v_add_f32_e32 v11, v10, v12
	s_waitcnt lgkmcnt(2)
	v_add_f32_e32 v12, v13, v16
	s_waitcnt lgkmcnt(1)
	v_add_f32_e32 v7, v14, v17
	s_waitcnt lgkmcnt(0)
	v_add_f32_e32 v8, v15, v18
	ds_bpermute_b32 v10, v19, v6
	ds_bpermute_b32 v15, v19, v9
	;; [unrolled: 1-line block ×6, first 2 shown]
	s_and_b32 exec_lo, exec_lo, vcc_lo
	s_cbranch_execz .LBB103_21
; %bb.17:
	s_load_dwordx2 s[2:3], s[4:5], 0x38
	v_cmp_eq_f32_e32 vcc_lo, 0, v3
	v_cmp_eq_f32_e64 s0, 0, v4
	s_waitcnt lgkmcnt(0)
	v_add_f32_e32 v0, v6, v10
	v_add_f32_e32 v10, v9, v15
	;; [unrolled: 1-line block ×6, first 2 shown]
	s_and_b32 s0, vcc_lo, s0
	s_and_saveexec_b32 s1, s0
	s_xor_b32 s0, exec_lo, s1
	s_cbranch_execz .LBB103_19
; %bb.18:
	v_lshl_add_u32 v3, v5, 1, v5
	v_mul_f32_e64 v11, v10, -v2
	v_mul_f32_e32 v12, v1, v10
	v_mul_f32_e64 v13, v9, -v2
	v_mul_f32_e32 v14, v1, v9
	v_ashrrev_i32_e32 v4, 31, v3
	v_mul_f32_e64 v9, v8, -v2
	v_mul_f32_e32 v10, v1, v8
	v_fmac_f32_e32 v11, v1, v0
	v_fmac_f32_e32 v12, v2, v0
	v_lshlrev_b64 v[3:4], 3, v[3:4]
	v_fmac_f32_e32 v13, v1, v6
	v_fmac_f32_e32 v14, v2, v6
	;; [unrolled: 1-line block ×4, first 2 shown]
                                        ; implicit-def: $vgpr5
                                        ; implicit-def: $vgpr0
                                        ; implicit-def: $vgpr6
                                        ; implicit-def: $vgpr7
                                        ; implicit-def: $vgpr8
                                        ; implicit-def: $vgpr1_vgpr2
	v_add_co_u32 v3, vcc_lo, s2, v3
	v_add_co_ci_u32_e64 v4, null, s3, v4, vcc_lo
	global_store_dwordx4 v[3:4], v[11:14], off
	global_store_dwordx2 v[3:4], v[9:10], off offset:16
                                        ; implicit-def: $vgpr10
                                        ; implicit-def: $vgpr9
                                        ; implicit-def: $vgpr3_vgpr4
.LBB103_19:
	s_andn2_saveexec_b32 s0, s0
	s_cbranch_execz .LBB103_21
; %bb.20:
	v_lshl_add_u32 v11, v5, 1, v5
	v_mul_f32_e64 v15, v10, -v2
	v_mul_f32_e32 v16, v1, v10
	v_mul_f32_e64 v10, v9, -v2
	v_mul_f32_e32 v18, v1, v9
	v_ashrrev_i32_e32 v12, 31, v11
	v_mul_f32_e64 v9, v8, -v2
	v_mul_f32_e32 v5, v1, v8
	v_fmac_f32_e32 v15, v1, v0
	v_fmac_f32_e32 v16, v2, v0
	v_lshlrev_b64 v[11:12], 3, v[11:12]
	v_fmac_f32_e32 v10, v1, v6
	v_fmac_f32_e32 v18, v2, v6
	;; [unrolled: 1-line block ×4, first 2 shown]
	v_add_co_u32 v19, vcc_lo, s2, v11
	v_add_co_ci_u32_e64 v20, null, s3, v12, vcc_lo
	s_clause 0x1
	global_load_dwordx4 v[11:14], v[19:20], off
	global_load_dwordx2 v[21:22], v[19:20], off offset:16
	s_waitcnt vmcnt(1)
	v_fmac_f32_e32 v15, v3, v11
	v_fmac_f32_e32 v16, v4, v11
	;; [unrolled: 1-line block ×4, first 2 shown]
	s_waitcnt vmcnt(0)
	v_fmac_f32_e32 v9, v3, v21
	v_fmac_f32_e32 v5, v4, v21
	v_fma_f32 v15, -v4, v12, v15
	v_fmac_f32_e32 v16, v3, v12
	v_fma_f32 v17, -v4, v14, v10
	;; [unrolled: 2-line block ×3, first 2 shown]
	v_fmac_f32_e32 v5, v3, v22
	global_store_dwordx4 v[19:20], v[15:18], off
	global_store_dwordx2 v[19:20], v[4:5], off offset:16
.LBB103_21:
	s_endpgm
	.section	.rodata,"a",@progbits
	.p2align	6, 0x0
	.amdhsa_kernel _ZN9rocsparseL19gebsrmvn_3xn_kernelILj128ELj7ELj64E21rocsparse_complex_numIfEEEvi20rocsparse_direction_NS_24const_host_device_scalarIT2_EEPKiS8_PKS5_SA_S6_PS5_21rocsparse_index_base_b
		.amdhsa_group_segment_fixed_size 0
		.amdhsa_private_segment_fixed_size 0
		.amdhsa_kernarg_size 72
		.amdhsa_user_sgpr_count 6
		.amdhsa_user_sgpr_private_segment_buffer 1
		.amdhsa_user_sgpr_dispatch_ptr 0
		.amdhsa_user_sgpr_queue_ptr 0
		.amdhsa_user_sgpr_kernarg_segment_ptr 1
		.amdhsa_user_sgpr_dispatch_id 0
		.amdhsa_user_sgpr_flat_scratch_init 0
		.amdhsa_user_sgpr_private_segment_size 0
		.amdhsa_wavefront_size32 1
		.amdhsa_uses_dynamic_stack 0
		.amdhsa_system_sgpr_private_segment_wavefront_offset 0
		.amdhsa_system_sgpr_workgroup_id_x 1
		.amdhsa_system_sgpr_workgroup_id_y 0
		.amdhsa_system_sgpr_workgroup_id_z 0
		.amdhsa_system_sgpr_workgroup_info 0
		.amdhsa_system_vgpr_workitem_id 0
		.amdhsa_next_free_vgpr 73
		.amdhsa_next_free_sgpr 16
		.amdhsa_reserve_vcc 1
		.amdhsa_reserve_flat_scratch 0
		.amdhsa_float_round_mode_32 0
		.amdhsa_float_round_mode_16_64 0
		.amdhsa_float_denorm_mode_32 3
		.amdhsa_float_denorm_mode_16_64 3
		.amdhsa_dx10_clamp 1
		.amdhsa_ieee_mode 1
		.amdhsa_fp16_overflow 0
		.amdhsa_workgroup_processor_mode 1
		.amdhsa_memory_ordered 1
		.amdhsa_forward_progress 1
		.amdhsa_shared_vgpr_count 0
		.amdhsa_exception_fp_ieee_invalid_op 0
		.amdhsa_exception_fp_denorm_src 0
		.amdhsa_exception_fp_ieee_div_zero 0
		.amdhsa_exception_fp_ieee_overflow 0
		.amdhsa_exception_fp_ieee_underflow 0
		.amdhsa_exception_fp_ieee_inexact 0
		.amdhsa_exception_int_div_zero 0
	.end_amdhsa_kernel
	.section	.text._ZN9rocsparseL19gebsrmvn_3xn_kernelILj128ELj7ELj64E21rocsparse_complex_numIfEEEvi20rocsparse_direction_NS_24const_host_device_scalarIT2_EEPKiS8_PKS5_SA_S6_PS5_21rocsparse_index_base_b,"axG",@progbits,_ZN9rocsparseL19gebsrmvn_3xn_kernelILj128ELj7ELj64E21rocsparse_complex_numIfEEEvi20rocsparse_direction_NS_24const_host_device_scalarIT2_EEPKiS8_PKS5_SA_S6_PS5_21rocsparse_index_base_b,comdat
.Lfunc_end103:
	.size	_ZN9rocsparseL19gebsrmvn_3xn_kernelILj128ELj7ELj64E21rocsparse_complex_numIfEEEvi20rocsparse_direction_NS_24const_host_device_scalarIT2_EEPKiS8_PKS5_SA_S6_PS5_21rocsparse_index_base_b, .Lfunc_end103-_ZN9rocsparseL19gebsrmvn_3xn_kernelILj128ELj7ELj64E21rocsparse_complex_numIfEEEvi20rocsparse_direction_NS_24const_host_device_scalarIT2_EEPKiS8_PKS5_SA_S6_PS5_21rocsparse_index_base_b
                                        ; -- End function
	.set _ZN9rocsparseL19gebsrmvn_3xn_kernelILj128ELj7ELj64E21rocsparse_complex_numIfEEEvi20rocsparse_direction_NS_24const_host_device_scalarIT2_EEPKiS8_PKS5_SA_S6_PS5_21rocsparse_index_base_b.num_vgpr, 73
	.set _ZN9rocsparseL19gebsrmvn_3xn_kernelILj128ELj7ELj64E21rocsparse_complex_numIfEEEvi20rocsparse_direction_NS_24const_host_device_scalarIT2_EEPKiS8_PKS5_SA_S6_PS5_21rocsparse_index_base_b.num_agpr, 0
	.set _ZN9rocsparseL19gebsrmvn_3xn_kernelILj128ELj7ELj64E21rocsparse_complex_numIfEEEvi20rocsparse_direction_NS_24const_host_device_scalarIT2_EEPKiS8_PKS5_SA_S6_PS5_21rocsparse_index_base_b.numbered_sgpr, 16
	.set _ZN9rocsparseL19gebsrmvn_3xn_kernelILj128ELj7ELj64E21rocsparse_complex_numIfEEEvi20rocsparse_direction_NS_24const_host_device_scalarIT2_EEPKiS8_PKS5_SA_S6_PS5_21rocsparse_index_base_b.num_named_barrier, 0
	.set _ZN9rocsparseL19gebsrmvn_3xn_kernelILj128ELj7ELj64E21rocsparse_complex_numIfEEEvi20rocsparse_direction_NS_24const_host_device_scalarIT2_EEPKiS8_PKS5_SA_S6_PS5_21rocsparse_index_base_b.private_seg_size, 0
	.set _ZN9rocsparseL19gebsrmvn_3xn_kernelILj128ELj7ELj64E21rocsparse_complex_numIfEEEvi20rocsparse_direction_NS_24const_host_device_scalarIT2_EEPKiS8_PKS5_SA_S6_PS5_21rocsparse_index_base_b.uses_vcc, 1
	.set _ZN9rocsparseL19gebsrmvn_3xn_kernelILj128ELj7ELj64E21rocsparse_complex_numIfEEEvi20rocsparse_direction_NS_24const_host_device_scalarIT2_EEPKiS8_PKS5_SA_S6_PS5_21rocsparse_index_base_b.uses_flat_scratch, 0
	.set _ZN9rocsparseL19gebsrmvn_3xn_kernelILj128ELj7ELj64E21rocsparse_complex_numIfEEEvi20rocsparse_direction_NS_24const_host_device_scalarIT2_EEPKiS8_PKS5_SA_S6_PS5_21rocsparse_index_base_b.has_dyn_sized_stack, 0
	.set _ZN9rocsparseL19gebsrmvn_3xn_kernelILj128ELj7ELj64E21rocsparse_complex_numIfEEEvi20rocsparse_direction_NS_24const_host_device_scalarIT2_EEPKiS8_PKS5_SA_S6_PS5_21rocsparse_index_base_b.has_recursion, 0
	.set _ZN9rocsparseL19gebsrmvn_3xn_kernelILj128ELj7ELj64E21rocsparse_complex_numIfEEEvi20rocsparse_direction_NS_24const_host_device_scalarIT2_EEPKiS8_PKS5_SA_S6_PS5_21rocsparse_index_base_b.has_indirect_call, 0
	.section	.AMDGPU.csdata,"",@progbits
; Kernel info:
; codeLenInByte = 4716
; TotalNumSgprs: 18
; NumVgprs: 73
; ScratchSize: 0
; MemoryBound: 0
; FloatMode: 240
; IeeeMode: 1
; LDSByteSize: 0 bytes/workgroup (compile time only)
; SGPRBlocks: 0
; VGPRBlocks: 9
; NumSGPRsForWavesPerEU: 18
; NumVGPRsForWavesPerEU: 73
; Occupancy: 12
; WaveLimiterHint : 1
; COMPUTE_PGM_RSRC2:SCRATCH_EN: 0
; COMPUTE_PGM_RSRC2:USER_SGPR: 6
; COMPUTE_PGM_RSRC2:TRAP_HANDLER: 0
; COMPUTE_PGM_RSRC2:TGID_X_EN: 1
; COMPUTE_PGM_RSRC2:TGID_Y_EN: 0
; COMPUTE_PGM_RSRC2:TGID_Z_EN: 0
; COMPUTE_PGM_RSRC2:TIDIG_COMP_CNT: 0
	.section	.text._ZN9rocsparseL19gebsrmvn_3xn_kernelILj128ELj8ELj4E21rocsparse_complex_numIfEEEvi20rocsparse_direction_NS_24const_host_device_scalarIT2_EEPKiS8_PKS5_SA_S6_PS5_21rocsparse_index_base_b,"axG",@progbits,_ZN9rocsparseL19gebsrmvn_3xn_kernelILj128ELj8ELj4E21rocsparse_complex_numIfEEEvi20rocsparse_direction_NS_24const_host_device_scalarIT2_EEPKiS8_PKS5_SA_S6_PS5_21rocsparse_index_base_b,comdat
	.globl	_ZN9rocsparseL19gebsrmvn_3xn_kernelILj128ELj8ELj4E21rocsparse_complex_numIfEEEvi20rocsparse_direction_NS_24const_host_device_scalarIT2_EEPKiS8_PKS5_SA_S6_PS5_21rocsparse_index_base_b ; -- Begin function _ZN9rocsparseL19gebsrmvn_3xn_kernelILj128ELj8ELj4E21rocsparse_complex_numIfEEEvi20rocsparse_direction_NS_24const_host_device_scalarIT2_EEPKiS8_PKS5_SA_S6_PS5_21rocsparse_index_base_b
	.p2align	8
	.type	_ZN9rocsparseL19gebsrmvn_3xn_kernelILj128ELj8ELj4E21rocsparse_complex_numIfEEEvi20rocsparse_direction_NS_24const_host_device_scalarIT2_EEPKiS8_PKS5_SA_S6_PS5_21rocsparse_index_base_b,@function
_ZN9rocsparseL19gebsrmvn_3xn_kernelILj128ELj8ELj4E21rocsparse_complex_numIfEEEvi20rocsparse_direction_NS_24const_host_device_scalarIT2_EEPKiS8_PKS5_SA_S6_PS5_21rocsparse_index_base_b: ; @_ZN9rocsparseL19gebsrmvn_3xn_kernelILj128ELj8ELj4E21rocsparse_complex_numIfEEEvi20rocsparse_direction_NS_24const_host_device_scalarIT2_EEPKiS8_PKS5_SA_S6_PS5_21rocsparse_index_base_b
; %bb.0:
	s_clause 0x2
	s_load_dwordx2 s[2:3], s[4:5], 0x40
	s_load_dwordx2 s[0:1], s[4:5], 0x8
	;; [unrolled: 1-line block ×3, first 2 shown]
	s_add_u32 s7, s4, 8
	s_addc_u32 s10, s5, 0
	s_add_u32 s11, s4, 48
	s_addc_u32 s12, s5, 0
	s_waitcnt lgkmcnt(0)
	s_bitcmp1_b32 s3, 0
	s_cselect_b32 s0, s7, s0
	s_cselect_b32 s1, s10, s1
	v_mov_b32_e32 v1, s0
	v_mov_b32_e32 v2, s1
	s_cselect_b32 s0, s11, s8
	s_cselect_b32 s1, s12, s9
	v_mov_b32_e32 v3, s0
	v_mov_b32_e32 v4, s1
	flat_load_dwordx2 v[1:2], v[1:2]
	flat_load_dwordx2 v[3:4], v[3:4]
	s_waitcnt vmcnt(1) lgkmcnt(1)
	v_cmp_eq_f32_e32 vcc_lo, 0, v1
	v_cmp_eq_f32_e64 s0, 0, v2
	s_and_b32 s3, vcc_lo, s0
	s_mov_b32 s0, -1
	s_and_saveexec_b32 s1, s3
	s_cbranch_execz .LBB104_2
; %bb.1:
	s_waitcnt vmcnt(0) lgkmcnt(0)
	v_cmp_neq_f32_e32 vcc_lo, 1.0, v3
	v_cmp_neq_f32_e64 s0, 0, v4
	s_or_b32 s0, vcc_lo, s0
	s_orn2_b32 s0, s0, exec_lo
.LBB104_2:
	s_or_b32 exec_lo, exec_lo, s1
	s_and_saveexec_b32 s1, s0
	s_cbranch_execz .LBB104_21
; %bb.3:
	s_load_dwordx2 s[0:1], s[4:5], 0x0
	v_lshrrev_b32_e32 v5, 2, v0
	v_lshl_or_b32 v5, s6, 5, v5
	s_waitcnt lgkmcnt(0)
	v_cmp_gt_i32_e32 vcc_lo, s0, v5
	s_and_b32 exec_lo, exec_lo, vcc_lo
	s_cbranch_execz .LBB104_21
; %bb.4:
	s_load_dwordx8 s[8:15], s[4:5], 0x10
	v_ashrrev_i32_e32 v6, 31, v5
	v_and_b32_e32 v0, 3, v0
	s_cmp_lg_u32 s1, 0
	v_lshlrev_b64 v[6:7], 2, v[5:6]
	s_waitcnt lgkmcnt(0)
	v_add_co_u32 v6, vcc_lo, s8, v6
	v_add_co_ci_u32_e64 v7, null, s9, v7, vcc_lo
	global_load_dwordx2 v[6:7], v[6:7], off
	s_waitcnt vmcnt(0)
	v_subrev_nc_u32_e32 v6, s2, v6
	v_subrev_nc_u32_e32 v17, s2, v7
	v_add_nc_u32_e32 v6, v6, v0
	v_cmp_lt_i32_e64 s0, v6, v17
	s_cbranch_scc0 .LBB104_10
; %bb.5:
	v_mov_b32_e32 v14, 0
	v_mov_b32_e32 v19, 0
	;; [unrolled: 1-line block ×6, first 2 shown]
	s_and_saveexec_b32 s1, s0
	s_cbranch_execz .LBB104_9
; %bb.6:
	v_mad_u64_u32 v[7:8], null, v6, 24, 23
	v_mov_b32_e32 v10, 0
	v_mov_b32_e32 v11, v6
	;; [unrolled: 1-line block ×8, first 2 shown]
	s_mov_b32 s3, 0
.LBB104_7:                              ; =>This Inner Loop Header: Depth=1
	v_ashrrev_i32_e32 v12, 31, v11
	v_subrev_nc_u32_e32 v9, 23, v7
	v_mov_b32_e32 v8, v10
	v_mov_b32_e32 v13, v10
	v_lshlrev_b64 v[23:24], 2, v[11:12]
	v_lshlrev_b64 v[21:22], 3, v[9:10]
	;; [unrolled: 1-line block ×3, first 2 shown]
	v_add_nc_u32_e32 v9, -15, v7
	v_add_nc_u32_e32 v11, 4, v11
	v_add_co_u32 v23, vcc_lo, s10, v23
	v_add_co_ci_u32_e64 v24, null, s11, v24, vcc_lo
	v_add_co_u32 v33, vcc_lo, s12, v21
	v_add_co_ci_u32_e64 v34, null, s13, v22, vcc_lo
	;; [unrolled: 2-line block ×3, first 2 shown]
	global_load_dword v8, v[23:24], off
	s_clause 0x1
	global_load_dwordx4 v[21:24], v[33:34], off offset:48
	global_load_dwordx4 v[25:28], v[33:34], off offset:32
	v_lshlrev_b64 v[29:30], 3, v[9:10]
	v_add_nc_u32_e32 v9, -14, v7
	v_lshlrev_b64 v[39:40], 3, v[9:10]
	v_add_nc_u32_e32 v9, -13, v7
	v_add_co_u32 v41, vcc_lo, s12, v29
	v_add_co_ci_u32_e64 v42, null, s13, v30, vcc_lo
	s_clause 0x2
	global_load_dwordx4 v[29:32], v[33:34], off offset:16
	global_load_dwordx4 v[33:36], v[33:34], off
	global_load_dwordx2 v[45:46], v[37:38], off
	v_lshlrev_b64 v[37:38], 3, v[9:10]
	v_add_co_u32 v39, vcc_lo, s12, v39
	v_add_nc_u32_e32 v9, -12, v7
	v_add_co_ci_u32_e64 v40, null, s13, v40, vcc_lo
	v_add_co_u32 v37, vcc_lo, s12, v37
	s_clause 0x1
	global_load_dwordx2 v[47:48], v[41:42], off
	global_load_dwordx2 v[49:50], v[39:40], off
	v_lshlrev_b64 v[41:42], 3, v[9:10]
	v_add_nc_u32_e32 v9, -11, v7
	v_add_co_ci_u32_e64 v38, null, s13, v38, vcc_lo
	global_load_dwordx2 v[51:52], v[37:38], off
	v_lshlrev_b64 v[39:40], 3, v[9:10]
	v_add_nc_u32_e32 v9, -10, v7
	v_add_co_u32 v37, vcc_lo, s12, v41
	v_add_co_ci_u32_e64 v38, null, s13, v42, vcc_lo
	v_add_co_u32 v39, vcc_lo, s12, v39
	v_lshlrev_b64 v[41:42], 3, v[9:10]
	v_add_nc_u32_e32 v9, -9, v7
	v_add_co_ci_u32_e64 v40, null, s13, v40, vcc_lo
	s_clause 0x1
	global_load_dwordx2 v[53:54], v[37:38], off
	global_load_dwordx2 v[55:56], v[39:40], off
	v_lshlrev_b64 v[37:38], 3, v[9:10]
	v_add_nc_u32_e32 v9, -8, v7
	v_add_co_u32 v39, vcc_lo, s12, v41
	v_add_co_ci_u32_e64 v40, null, s13, v42, vcc_lo
	v_lshlrev_b64 v[41:42], 3, v[9:10]
	v_add_co_u32 v37, vcc_lo, s12, v37
	v_add_co_ci_u32_e64 v38, null, s13, v38, vcc_lo
	global_load_dwordx2 v[57:58], v[39:40], off
	v_add_co_u32 v63, vcc_lo, s12, v41
	v_add_co_ci_u32_e64 v64, null, s13, v42, vcc_lo
	global_load_dwordx2 v[61:62], v[37:38], off
	v_add_nc_u32_e32 v9, -7, v7
	v_lshlrev_b64 v[59:60], 3, v[9:10]
	v_add_nc_u32_e32 v9, -6, v7
	s_waitcnt vmcnt(12)
	v_subrev_nc_u32_e32 v8, s2, v8
	v_lshlrev_b32_e32 v12, 3, v8
	v_lshlrev_b64 v[12:13], 3, v[12:13]
	v_add_co_u32 v12, vcc_lo, s14, v12
	v_add_co_ci_u32_e64 v13, null, s15, v13, vcc_lo
	s_clause 0x1
	global_load_dwordx4 v[37:40], v[12:13], off
	global_load_dwordx4 v[41:44], v[12:13], off offset:16
	s_waitcnt vmcnt(1)
	v_fmac_f32_e32 v19, v33, v37
	v_fmac_f32_e32 v20, v35, v37
	;; [unrolled: 1-line block ×5, first 2 shown]
	v_fma_f32 v8, -v34, v38, v19
	v_fma_f32 v65, -v36, v38, v20
	v_lshlrev_b64 v[19:20], 3, v[9:10]
	v_add_nc_u32_e32 v9, -5, v7
	v_fmac_f32_e32 v14, v33, v38
	v_add_co_u32 v33, vcc_lo, s12, v59
	v_add_co_ci_u32_e64 v34, null, s13, v60, vcc_lo
	v_lshlrev_b64 v[59:60], 3, v[9:10]
	v_add_nc_u32_e32 v9, -4, v7
	v_fmac_f32_e32 v15, v30, v37
	v_fmac_f32_e32 v14, v32, v39
	;; [unrolled: 1-line block ×3, first 2 shown]
	s_clause 0x1
	global_load_dwordx2 v[35:36], v[63:64], off
	global_load_dwordx2 v[33:34], v[33:34], off
	v_fma_f32 v63, -v30, v38, v18
	v_fmac_f32_e32 v15, v29, v38
	v_lshlrev_b64 v[29:30], 3, v[9:10]
	v_add_co_u32 v19, vcc_lo, s12, v19
	v_fmac_f32_e32 v8, v31, v39
	v_add_co_ci_u32_e64 v20, null, s13, v20, vcc_lo
	v_add_nc_u32_e32 v9, -3, v7
	v_fmac_f32_e32 v14, v31, v40
	v_add_co_u32 v31, vcc_lo, s12, v59
	v_fma_f32 v64, -v32, v40, v8
	v_add_co_ci_u32_e64 v32, null, s13, v60, vcc_lo
	v_add_co_u32 v18, vcc_lo, s12, v29
	global_load_dwordx2 v[37:38], v[19:20], off
	v_add_co_ci_u32_e64 v19, null, s13, v30, vcc_lo
	v_lshlrev_b64 v[29:30], 3, v[9:10]
	v_add_nc_u32_e32 v9, -2, v7
	v_fmac_f32_e32 v65, v25, v39
	v_fmac_f32_e32 v16, v26, v39
	;; [unrolled: 1-line block ×4, first 2 shown]
	global_load_dwordx2 v[31:32], v[31:32], off
	v_fma_f32 v20, -v26, v40, v65
	v_fmac_f32_e32 v16, v25, v40
	v_lshlrev_b64 v[25:26], 3, v[9:10]
	v_fmac_f32_e32 v15, v27, v40
	v_add_co_u32 v27, vcc_lo, s12, v29
	v_fma_f32 v63, -v28, v40, v63
	v_add_co_ci_u32_e64 v28, null, s13, v30, vcc_lo
	v_add_co_u32 v39, vcc_lo, s12, v25
	global_load_dwordx2 v[29:30], v[18:19], off
	v_add_co_ci_u32_e64 v40, null, s13, v26, vcc_lo
	global_load_dwordx2 v[59:60], v[27:28], off
	global_load_dwordx4 v[25:28], v[12:13], off offset:32
	v_add_nc_u32_e32 v9, -1, v7
	s_waitcnt vmcnt(7)
	v_fmac_f32_e32 v14, v22, v41
	v_fmac_f32_e32 v20, v23, v41
	;; [unrolled: 1-line block ×4, first 2 shown]
	v_lshlrev_b64 v[8:9], 3, v[9:10]
	v_fmac_f32_e32 v14, v21, v42
	v_fma_f32 v24, -v24, v42, v20
	global_load_dwordx4 v[18:21], v[12:13], off offset:48
	v_fmac_f32_e32 v63, v47, v41
	v_fmac_f32_e32 v15, v48, v41
	v_add_co_u32 v8, vcc_lo, s12, v8
	v_add_co_ci_u32_e64 v9, null, s13, v9, vcc_lo
	s_clause 0x1
	global_load_dwordx2 v[12:13], v[39:40], off
	global_load_dwordx2 v[8:9], v[8:9], off
	v_fma_f32 v22, -v22, v42, v64
	v_fmac_f32_e32 v16, v23, v42
	v_fma_f32 v23, -v48, v42, v63
	v_fmac_f32_e32 v15, v47, v42
	v_fmac_f32_e32 v14, v50, v43
	;; [unrolled: 1-line block ×7, first 2 shown]
	v_fma_f32 v22, -v50, v44, v22
	v_fmac_f32_e32 v14, v49, v44
	v_fma_f32 v24, -v52, v44, v24
	v_fmac_f32_e32 v16, v51, v44
	;; [unrolled: 2-line block ×3, first 2 shown]
	v_cmp_ge_i32_e32 vcc_lo, v11, v17
	v_add_nc_u32_e32 v7, 0x60, v7
	s_or_b32 s3, vcc_lo, s3
	s_waitcnt vmcnt(3)
	v_fmac_f32_e32 v22, v55, v25
	v_fmac_f32_e32 v14, v56, v25
	;; [unrolled: 1-line block ×6, first 2 shown]
	v_fma_f32 v22, -v56, v26, v22
	v_fmac_f32_e32 v14, v55, v26
	v_fma_f32 v24, -v58, v26, v24
	v_fmac_f32_e32 v16, v57, v26
	;; [unrolled: 2-line block ×3, first 2 shown]
	v_fmac_f32_e32 v22, v35, v27
	v_fmac_f32_e32 v14, v36, v27
	;; [unrolled: 1-line block ×6, first 2 shown]
	v_fma_f32 v22, -v36, v28, v22
	v_fmac_f32_e32 v14, v35, v28
	v_fma_f32 v24, -v34, v28, v24
	v_fmac_f32_e32 v16, v33, v28
	;; [unrolled: 2-line block ×3, first 2 shown]
	s_waitcnt vmcnt(2)
	v_fmac_f32_e32 v22, v31, v18
	v_fmac_f32_e32 v14, v32, v18
	;; [unrolled: 1-line block ×6, first 2 shown]
	v_fma_f32 v18, -v32, v19, v22
	v_fmac_f32_e32 v14, v31, v19
	v_fma_f32 v22, -v30, v19, v24
	v_fmac_f32_e32 v16, v29, v19
	;; [unrolled: 2-line block ×3, first 2 shown]
	s_waitcnt vmcnt(1)
	v_fmac_f32_e32 v18, v12, v20
	v_fmac_f32_e32 v14, v13, v20
	s_waitcnt vmcnt(0)
	v_fmac_f32_e32 v22, v8, v20
	v_fmac_f32_e32 v16, v9, v20
	;; [unrolled: 1-line block ×4, first 2 shown]
	v_fma_f32 v19, -v13, v21, v18
	v_fmac_f32_e32 v14, v12, v21
	v_fma_f32 v20, -v9, v21, v22
	v_fmac_f32_e32 v16, v8, v21
	;; [unrolled: 2-line block ×3, first 2 shown]
	s_andn2_b32 exec_lo, exec_lo, s3
	s_cbranch_execnz .LBB104_7
; %bb.8:
	s_or_b32 exec_lo, exec_lo, s3
.LBB104_9:
	s_or_b32 exec_lo, exec_lo, s1
	s_cbranch_execz .LBB104_11
	s_branch .LBB104_16
.LBB104_10:
                                        ; implicit-def: $vgpr14
                                        ; implicit-def: $vgpr19
                                        ; implicit-def: $vgpr18
                                        ; implicit-def: $vgpr15
                                        ; implicit-def: $vgpr20
                                        ; implicit-def: $vgpr16
.LBB104_11:
	v_mov_b32_e32 v14, 0
	v_mov_b32_e32 v19, 0
	v_mov_b32_e32 v18, 0
	v_mov_b32_e32 v15, 0
	v_mov_b32_e32 v20, 0
	v_mov_b32_e32 v16, 0
	s_and_saveexec_b32 s1, s0
	s_cbranch_execz .LBB104_15
; %bb.12:
	v_mad_u64_u32 v[8:9], null, v6, 24, 23
	v_mov_b32_e32 v11, 0
	v_mov_b32_e32 v14, 0
	v_mov_b32_e32 v19, 0
	v_mov_b32_e32 v18, 0
	v_mov_b32_e32 v15, 0
	v_mov_b32_e32 v20, 0
	v_mov_b32_e32 v16, 0
	s_mov_b32 s0, 0
.LBB104_13:                             ; =>This Inner Loop Header: Depth=1
	v_ashrrev_i32_e32 v7, 31, v6
	v_subrev_nc_u32_e32 v10, 23, v8
	v_add_nc_u32_e32 v12, -15, v8
	v_mov_b32_e32 v13, v11
	v_add_nc_u32_e32 v21, -7, v8
	v_lshlrev_b64 v[27:28], 2, v[6:7]
	v_mov_b32_e32 v22, v11
	v_lshlrev_b64 v[23:24], 3, v[10:11]
	v_lshlrev_b64 v[12:13], 3, v[12:13]
	v_mov_b32_e32 v9, v11
	v_add_nc_u32_e32 v10, -14, v8
	v_lshlrev_b64 v[21:22], 3, v[21:22]
	v_add_co_u32 v27, vcc_lo, s10, v27
	v_add_co_ci_u32_e64 v28, null, s11, v28, vcc_lo
	v_add_co_u32 v37, vcc_lo, s12, v23
	v_add_co_ci_u32_e64 v38, null, s13, v24, vcc_lo
	;; [unrolled: 2-line block ×4, first 2 shown]
	global_load_dword v7, v[27:28], off
	s_clause 0x2
	global_load_dwordx4 v[21:24], v[37:38], off
	global_load_dwordx2 v[12:13], v[12:13], off
	global_load_dwordx2 v[39:40], v[33:34], off
	v_lshlrev_b64 v[29:30], 3, v[8:9]
	v_lshlrev_b64 v[31:32], 3, v[10:11]
	v_add_nc_u32_e32 v10, -6, v8
	v_mov_b32_e32 v26, v11
	v_add_nc_u32_e32 v6, 4, v6
	v_add_co_u32 v45, vcc_lo, s12, v29
	v_add_co_ci_u32_e64 v46, null, s13, v30, vcc_lo
	v_lshlrev_b64 v[29:30], 3, v[10:11]
	v_add_nc_u32_e32 v10, -13, v8
	v_add_co_u32 v27, vcc_lo, s12, v31
	v_add_co_ci_u32_e64 v28, null, s13, v32, vcc_lo
	v_add_co_u32 v29, vcc_lo, s12, v29
	v_lshlrev_b64 v[31:32], 3, v[10:11]
	v_add_nc_u32_e32 v10, -5, v8
	v_add_co_ci_u32_e64 v30, null, s13, v30, vcc_lo
	global_load_dwordx2 v[41:42], v[27:28], off
	v_add_co_u32 v47, vcc_lo, s12, v31
	global_load_dwordx2 v[43:44], v[29:30], off
	v_lshlrev_b64 v[27:28], 3, v[10:11]
	v_add_nc_u32_e32 v10, -12, v8
	v_add_co_ci_u32_e64 v48, null, s13, v32, vcc_lo
	v_lshlrev_b64 v[29:30], 3, v[10:11]
	v_add_nc_u32_e32 v10, -4, v8
	v_add_co_u32 v49, vcc_lo, s12, v27
	v_add_co_ci_u32_e64 v50, null, s13, v28, vcc_lo
	v_lshlrev_b64 v[27:28], 3, v[10:11]
	v_add_nc_u32_e32 v10, -11, v8
	v_add_co_u32 v51, vcc_lo, s12, v29
	;; [unrolled: 4-line block ×6, first 2 shown]
	v_add_co_ci_u32_e64 v60, null, s13, v30, vcc_lo
	v_lshlrev_b64 v[9:10], 3, v[10:11]
	v_add_co_u32 v61, vcc_lo, s12, v27
	v_add_co_ci_u32_e64 v62, null, s13, v28, vcc_lo
	v_add_co_u32 v63, vcc_lo, s12, v9
	v_add_co_ci_u32_e64 v64, null, s13, v10, vcc_lo
	s_waitcnt vmcnt(5)
	v_subrev_nc_u32_e32 v7, s2, v7
	v_lshlrev_b32_e32 v25, 3, v7
	v_lshlrev_b64 v[9:10], 3, v[25:26]
	v_add_co_u32 v65, vcc_lo, s14, v9
	v_add_co_ci_u32_e64 v66, null, s15, v10, vcc_lo
	s_clause 0x1
	global_load_dwordx4 v[25:28], v[65:66], off
	global_load_dwordx4 v[29:32], v[65:66], off offset:16
	global_load_dwordx4 v[33:36], v[37:38], off offset:16
	v_add_nc_u32_e32 v10, -1, v8
	s_waitcnt vmcnt(2)
	v_fmac_f32_e32 v19, v21, v25
	v_fmac_f32_e32 v14, v22, v25
	;; [unrolled: 1-line block ×5, first 2 shown]
	v_fma_f32 v9, -v22, v26, v19
	v_fmac_f32_e32 v14, v21, v26
	v_fmac_f32_e32 v15, v40, v25
	v_fma_f32 v7, -v13, v26, v20
	v_fmac_f32_e32 v16, v12, v26
	v_fmac_f32_e32 v9, v23, v27
	;; [unrolled: 1-line block ×3, first 2 shown]
	global_load_dwordx4 v[19:22], v[37:38], off offset:48
	v_fmac_f32_e32 v15, v39, v26
	v_fmac_f32_e32 v7, v41, v27
	v_fma_f32 v67, -v24, v28, v9
	v_fmac_f32_e32 v14, v23, v28
	v_fma_f32 v9, -v40, v26, v18
	s_clause 0x6
	global_load_dwordx4 v[23:26], v[37:38], off offset:32
	global_load_dwordx2 v[12:13], v[47:48], off
	global_load_dwordx2 v[47:48], v[49:50], off
	;; [unrolled: 1-line block ×6, first 2 shown]
	v_lshlrev_b64 v[37:38], 3, v[10:11]
	v_fmac_f32_e32 v16, v42, v27
	v_fmac_f32_e32 v15, v44, v27
	;; [unrolled: 1-line block ×3, first 2 shown]
	v_fma_f32 v7, -v42, v28, v7
	v_add_nc_u32_e32 v10, -8, v8
	v_add_co_u32 v27, vcc_lo, s12, v37
	v_fmac_f32_e32 v16, v41, v28
	v_fma_f32 v18, -v44, v28, v9
	v_fmac_f32_e32 v15, v43, v28
	v_add_co_ci_u32_e64 v28, null, s13, v38, vcc_lo
	global_load_dwordx4 v[37:40], v[65:66], off offset:32
	s_clause 0x3
	global_load_dwordx2 v[57:58], v[59:60], off
	global_load_dwordx2 v[59:60], v[61:62], off
	;; [unrolled: 1-line block ×4, first 2 shown]
	v_lshlrev_b64 v[9:10], 3, v[10:11]
	s_waitcnt vmcnt(13)
	v_fmac_f32_e32 v67, v33, v29
	v_fmac_f32_e32 v14, v34, v29
	v_add_nc_u32_e32 v8, 0x60, v8
	v_add_co_u32 v9, vcc_lo, s12, v9
	v_add_co_ci_u32_e64 v10, null, s13, v10, vcc_lo
	v_fmac_f32_e32 v14, v33, v30
	v_cmp_ge_i32_e32 vcc_lo, v6, v17
	v_fmac_f32_e32 v14, v36, v31
	s_or_b32 s0, vcc_lo, s0
	v_fmac_f32_e32 v14, v35, v32
	s_waitcnt vmcnt(10)
	v_fmac_f32_e32 v7, v12, v29
	v_fmac_f32_e32 v16, v13, v29
	s_waitcnt vmcnt(9)
	v_fmac_f32_e32 v18, v47, v29
	v_fmac_f32_e32 v15, v48, v29
	v_fma_f32 v29, -v34, v30, v67
	v_fma_f32 v7, -v13, v30, v7
	v_fmac_f32_e32 v16, v12, v30
	global_load_dwordx4 v[41:44], v[65:66], off offset:48
	s_clause 0x1
	global_load_dwordx2 v[9:10], v[9:10], off
	global_load_dwordx2 v[12:13], v[45:46], off
	v_fma_f32 v18, -v48, v30, v18
	v_fmac_f32_e32 v15, v47, v30
	v_fmac_f32_e32 v29, v35, v31
	s_waitcnt vmcnt(11)
	v_fmac_f32_e32 v7, v49, v31
	v_fmac_f32_e32 v16, v50, v31
	s_waitcnt vmcnt(10)
	v_fmac_f32_e32 v18, v51, v31
	v_fmac_f32_e32 v15, v52, v31
	v_fma_f32 v29, -v36, v32, v29
	v_fma_f32 v7, -v50, v32, v7
	v_fmac_f32_e32 v16, v49, v32
	v_fma_f32 v18, -v52, v32, v18
	v_fmac_f32_e32 v15, v51, v32
	s_waitcnt vmcnt(7)
	v_fmac_f32_e32 v29, v23, v37
	v_fmac_f32_e32 v14, v24, v37
	;; [unrolled: 1-line block ×6, first 2 shown]
	v_fma_f32 v24, -v24, v38, v29
	v_fmac_f32_e32 v14, v23, v38
	v_fma_f32 v7, -v54, v38, v7
	v_fmac_f32_e32 v16, v53, v38
	;; [unrolled: 2-line block ×3, first 2 shown]
	v_fmac_f32_e32 v24, v25, v39
	v_fmac_f32_e32 v14, v26, v39
	s_waitcnt vmcnt(6)
	v_fmac_f32_e32 v7, v57, v39
	v_fmac_f32_e32 v16, v58, v39
	s_waitcnt vmcnt(5)
	v_fmac_f32_e32 v18, v59, v39
	v_fmac_f32_e32 v15, v60, v39
	v_fma_f32 v23, -v26, v40, v24
	v_fmac_f32_e32 v14, v25, v40
	v_fma_f32 v7, -v58, v40, v7
	;; [unrolled: 2-line block ×3, first 2 shown]
	v_fmac_f32_e32 v15, v59, v40
	s_waitcnt vmcnt(2)
	v_fmac_f32_e32 v23, v19, v41
	v_fmac_f32_e32 v14, v20, v41
	;; [unrolled: 1-line block ×6, first 2 shown]
	v_fma_f32 v20, -v20, v42, v23
	v_fmac_f32_e32 v14, v19, v42
	v_fma_f32 v7, -v62, v42, v7
	v_fmac_f32_e32 v16, v61, v42
	;; [unrolled: 2-line block ×3, first 2 shown]
	v_fmac_f32_e32 v20, v21, v43
	v_fmac_f32_e32 v14, v22, v43
	s_waitcnt vmcnt(1)
	v_fmac_f32_e32 v7, v9, v43
	v_fmac_f32_e32 v16, v10, v43
	s_waitcnt vmcnt(0)
	v_fmac_f32_e32 v18, v12, v43
	v_fmac_f32_e32 v15, v13, v43
	v_fma_f32 v19, -v22, v44, v20
	v_fmac_f32_e32 v14, v21, v44
	v_fma_f32 v20, -v10, v44, v7
	;; [unrolled: 2-line block ×3, first 2 shown]
	v_fmac_f32_e32 v15, v12, v44
	s_andn2_b32 exec_lo, exec_lo, s0
	s_cbranch_execnz .LBB104_13
; %bb.14:
	s_or_b32 exec_lo, exec_lo, s0
.LBB104_15:
	s_or_b32 exec_lo, exec_lo, s1
.LBB104_16:
	v_mbcnt_lo_u32_b32 v6, -1, 0
	v_xor_b32_e32 v7, 2, v6
	v_cmp_gt_i32_e32 vcc_lo, 32, v7
	v_cndmask_b32_e32 v7, v6, v7, vcc_lo
	v_lshlrev_b32_e32 v7, 2, v7
	ds_bpermute_b32 v8, v7, v19
	ds_bpermute_b32 v9, v7, v14
	;; [unrolled: 1-line block ×6, first 2 shown]
	v_xor_b32_e32 v7, 1, v6
	v_cmp_gt_i32_e32 vcc_lo, 32, v7
	v_cndmask_b32_e32 v6, v6, v7, vcc_lo
	v_cmp_eq_u32_e32 vcc_lo, 3, v0
	v_lshlrev_b32_e32 v21, 2, v6
	s_waitcnt lgkmcnt(5)
	v_add_f32_e32 v6, v19, v8
	s_waitcnt lgkmcnt(4)
	v_add_f32_e32 v9, v14, v9
	s_waitcnt lgkmcnt(3)
	v_add_f32_e32 v11, v20, v10
	s_waitcnt lgkmcnt(2)
	v_add_f32_e32 v12, v16, v12
	s_waitcnt lgkmcnt(1)
	v_add_f32_e32 v7, v18, v13
	s_waitcnt lgkmcnt(0)
	v_add_f32_e32 v8, v15, v17
	ds_bpermute_b32 v10, v21, v6
	ds_bpermute_b32 v15, v21, v9
	;; [unrolled: 1-line block ×6, first 2 shown]
	s_and_b32 exec_lo, exec_lo, vcc_lo
	s_cbranch_execz .LBB104_21
; %bb.17:
	s_load_dwordx2 s[2:3], s[4:5], 0x38
	v_cmp_eq_f32_e32 vcc_lo, 0, v3
	v_cmp_eq_f32_e64 s0, 0, v4
	s_waitcnt lgkmcnt(0)
	v_add_f32_e32 v0, v6, v10
	v_add_f32_e32 v10, v9, v15
	v_add_f32_e32 v6, v11, v16
	v_add_f32_e32 v9, v12, v17
	v_add_f32_e32 v7, v7, v13
	v_add_f32_e32 v8, v8, v14
	s_and_b32 s0, vcc_lo, s0
	s_and_saveexec_b32 s1, s0
	s_xor_b32 s0, exec_lo, s1
	s_cbranch_execz .LBB104_19
; %bb.18:
	v_lshl_add_u32 v3, v5, 1, v5
	v_mul_f32_e64 v11, v10, -v2
	v_mul_f32_e32 v12, v1, v10
	v_mul_f32_e64 v13, v9, -v2
	v_mul_f32_e32 v14, v1, v9
	v_ashrrev_i32_e32 v4, 31, v3
	v_mul_f32_e64 v9, v8, -v2
	v_mul_f32_e32 v10, v1, v8
	v_fmac_f32_e32 v11, v1, v0
	v_fmac_f32_e32 v12, v2, v0
	v_lshlrev_b64 v[3:4], 3, v[3:4]
	v_fmac_f32_e32 v13, v1, v6
	v_fmac_f32_e32 v14, v2, v6
	v_fmac_f32_e32 v9, v1, v7
	v_fmac_f32_e32 v10, v2, v7
                                        ; implicit-def: $vgpr5
                                        ; implicit-def: $vgpr0
                                        ; implicit-def: $vgpr6
                                        ; implicit-def: $vgpr7
                                        ; implicit-def: $vgpr8
                                        ; implicit-def: $vgpr1_vgpr2
	v_add_co_u32 v3, vcc_lo, s2, v3
	v_add_co_ci_u32_e64 v4, null, s3, v4, vcc_lo
	global_store_dwordx4 v[3:4], v[11:14], off
	global_store_dwordx2 v[3:4], v[9:10], off offset:16
                                        ; implicit-def: $vgpr10
                                        ; implicit-def: $vgpr9
                                        ; implicit-def: $vgpr3_vgpr4
.LBB104_19:
	s_andn2_saveexec_b32 s0, s0
	s_cbranch_execz .LBB104_21
; %bb.20:
	v_lshl_add_u32 v11, v5, 1, v5
	v_mul_f32_e64 v15, v10, -v2
	v_mul_f32_e32 v16, v1, v10
	v_mul_f32_e64 v10, v9, -v2
	v_mul_f32_e32 v18, v1, v9
	v_ashrrev_i32_e32 v12, 31, v11
	v_mul_f32_e64 v9, v8, -v2
	v_mul_f32_e32 v5, v1, v8
	v_fmac_f32_e32 v15, v1, v0
	v_fmac_f32_e32 v16, v2, v0
	v_lshlrev_b64 v[11:12], 3, v[11:12]
	v_fmac_f32_e32 v10, v1, v6
	v_fmac_f32_e32 v18, v2, v6
	;; [unrolled: 1-line block ×4, first 2 shown]
	v_add_co_u32 v19, vcc_lo, s2, v11
	v_add_co_ci_u32_e64 v20, null, s3, v12, vcc_lo
	s_clause 0x1
	global_load_dwordx4 v[11:14], v[19:20], off
	global_load_dwordx2 v[21:22], v[19:20], off offset:16
	s_waitcnt vmcnt(1)
	v_fmac_f32_e32 v15, v3, v11
	v_fmac_f32_e32 v16, v4, v11
	;; [unrolled: 1-line block ×4, first 2 shown]
	s_waitcnt vmcnt(0)
	v_fmac_f32_e32 v9, v3, v21
	v_fmac_f32_e32 v5, v4, v21
	v_fma_f32 v15, -v4, v12, v15
	v_fmac_f32_e32 v16, v3, v12
	v_fma_f32 v17, -v4, v14, v10
	;; [unrolled: 2-line block ×3, first 2 shown]
	v_fmac_f32_e32 v5, v3, v22
	global_store_dwordx4 v[19:20], v[15:18], off
	global_store_dwordx2 v[19:20], v[4:5], off offset:16
.LBB104_21:
	s_endpgm
	.section	.rodata,"a",@progbits
	.p2align	6, 0x0
	.amdhsa_kernel _ZN9rocsparseL19gebsrmvn_3xn_kernelILj128ELj8ELj4E21rocsparse_complex_numIfEEEvi20rocsparse_direction_NS_24const_host_device_scalarIT2_EEPKiS8_PKS5_SA_S6_PS5_21rocsparse_index_base_b
		.amdhsa_group_segment_fixed_size 0
		.amdhsa_private_segment_fixed_size 0
		.amdhsa_kernarg_size 72
		.amdhsa_user_sgpr_count 6
		.amdhsa_user_sgpr_private_segment_buffer 1
		.amdhsa_user_sgpr_dispatch_ptr 0
		.amdhsa_user_sgpr_queue_ptr 0
		.amdhsa_user_sgpr_kernarg_segment_ptr 1
		.amdhsa_user_sgpr_dispatch_id 0
		.amdhsa_user_sgpr_flat_scratch_init 0
		.amdhsa_user_sgpr_private_segment_size 0
		.amdhsa_wavefront_size32 1
		.amdhsa_uses_dynamic_stack 0
		.amdhsa_system_sgpr_private_segment_wavefront_offset 0
		.amdhsa_system_sgpr_workgroup_id_x 1
		.amdhsa_system_sgpr_workgroup_id_y 0
		.amdhsa_system_sgpr_workgroup_id_z 0
		.amdhsa_system_sgpr_workgroup_info 0
		.amdhsa_system_vgpr_workitem_id 0
		.amdhsa_next_free_vgpr 68
		.amdhsa_next_free_sgpr 16
		.amdhsa_reserve_vcc 1
		.amdhsa_reserve_flat_scratch 0
		.amdhsa_float_round_mode_32 0
		.amdhsa_float_round_mode_16_64 0
		.amdhsa_float_denorm_mode_32 3
		.amdhsa_float_denorm_mode_16_64 3
		.amdhsa_dx10_clamp 1
		.amdhsa_ieee_mode 1
		.amdhsa_fp16_overflow 0
		.amdhsa_workgroup_processor_mode 1
		.amdhsa_memory_ordered 1
		.amdhsa_forward_progress 1
		.amdhsa_shared_vgpr_count 0
		.amdhsa_exception_fp_ieee_invalid_op 0
		.amdhsa_exception_fp_denorm_src 0
		.amdhsa_exception_fp_ieee_div_zero 0
		.amdhsa_exception_fp_ieee_overflow 0
		.amdhsa_exception_fp_ieee_underflow 0
		.amdhsa_exception_fp_ieee_inexact 0
		.amdhsa_exception_int_div_zero 0
	.end_amdhsa_kernel
	.section	.text._ZN9rocsparseL19gebsrmvn_3xn_kernelILj128ELj8ELj4E21rocsparse_complex_numIfEEEvi20rocsparse_direction_NS_24const_host_device_scalarIT2_EEPKiS8_PKS5_SA_S6_PS5_21rocsparse_index_base_b,"axG",@progbits,_ZN9rocsparseL19gebsrmvn_3xn_kernelILj128ELj8ELj4E21rocsparse_complex_numIfEEEvi20rocsparse_direction_NS_24const_host_device_scalarIT2_EEPKiS8_PKS5_SA_S6_PS5_21rocsparse_index_base_b,comdat
.Lfunc_end104:
	.size	_ZN9rocsparseL19gebsrmvn_3xn_kernelILj128ELj8ELj4E21rocsparse_complex_numIfEEEvi20rocsparse_direction_NS_24const_host_device_scalarIT2_EEPKiS8_PKS5_SA_S6_PS5_21rocsparse_index_base_b, .Lfunc_end104-_ZN9rocsparseL19gebsrmvn_3xn_kernelILj128ELj8ELj4E21rocsparse_complex_numIfEEEvi20rocsparse_direction_NS_24const_host_device_scalarIT2_EEPKiS8_PKS5_SA_S6_PS5_21rocsparse_index_base_b
                                        ; -- End function
	.set _ZN9rocsparseL19gebsrmvn_3xn_kernelILj128ELj8ELj4E21rocsparse_complex_numIfEEEvi20rocsparse_direction_NS_24const_host_device_scalarIT2_EEPKiS8_PKS5_SA_S6_PS5_21rocsparse_index_base_b.num_vgpr, 68
	.set _ZN9rocsparseL19gebsrmvn_3xn_kernelILj128ELj8ELj4E21rocsparse_complex_numIfEEEvi20rocsparse_direction_NS_24const_host_device_scalarIT2_EEPKiS8_PKS5_SA_S6_PS5_21rocsparse_index_base_b.num_agpr, 0
	.set _ZN9rocsparseL19gebsrmvn_3xn_kernelILj128ELj8ELj4E21rocsparse_complex_numIfEEEvi20rocsparse_direction_NS_24const_host_device_scalarIT2_EEPKiS8_PKS5_SA_S6_PS5_21rocsparse_index_base_b.numbered_sgpr, 16
	.set _ZN9rocsparseL19gebsrmvn_3xn_kernelILj128ELj8ELj4E21rocsparse_complex_numIfEEEvi20rocsparse_direction_NS_24const_host_device_scalarIT2_EEPKiS8_PKS5_SA_S6_PS5_21rocsparse_index_base_b.num_named_barrier, 0
	.set _ZN9rocsparseL19gebsrmvn_3xn_kernelILj128ELj8ELj4E21rocsparse_complex_numIfEEEvi20rocsparse_direction_NS_24const_host_device_scalarIT2_EEPKiS8_PKS5_SA_S6_PS5_21rocsparse_index_base_b.private_seg_size, 0
	.set _ZN9rocsparseL19gebsrmvn_3xn_kernelILj128ELj8ELj4E21rocsparse_complex_numIfEEEvi20rocsparse_direction_NS_24const_host_device_scalarIT2_EEPKiS8_PKS5_SA_S6_PS5_21rocsparse_index_base_b.uses_vcc, 1
	.set _ZN9rocsparseL19gebsrmvn_3xn_kernelILj128ELj8ELj4E21rocsparse_complex_numIfEEEvi20rocsparse_direction_NS_24const_host_device_scalarIT2_EEPKiS8_PKS5_SA_S6_PS5_21rocsparse_index_base_b.uses_flat_scratch, 0
	.set _ZN9rocsparseL19gebsrmvn_3xn_kernelILj128ELj8ELj4E21rocsparse_complex_numIfEEEvi20rocsparse_direction_NS_24const_host_device_scalarIT2_EEPKiS8_PKS5_SA_S6_PS5_21rocsparse_index_base_b.has_dyn_sized_stack, 0
	.set _ZN9rocsparseL19gebsrmvn_3xn_kernelILj128ELj8ELj4E21rocsparse_complex_numIfEEEvi20rocsparse_direction_NS_24const_host_device_scalarIT2_EEPKiS8_PKS5_SA_S6_PS5_21rocsparse_index_base_b.has_recursion, 0
	.set _ZN9rocsparseL19gebsrmvn_3xn_kernelILj128ELj8ELj4E21rocsparse_complex_numIfEEEvi20rocsparse_direction_NS_24const_host_device_scalarIT2_EEPKiS8_PKS5_SA_S6_PS5_21rocsparse_index_base_b.has_indirect_call, 0
	.section	.AMDGPU.csdata,"",@progbits
; Kernel info:
; codeLenInByte = 3676
; TotalNumSgprs: 18
; NumVgprs: 68
; ScratchSize: 0
; MemoryBound: 0
; FloatMode: 240
; IeeeMode: 1
; LDSByteSize: 0 bytes/workgroup (compile time only)
; SGPRBlocks: 0
; VGPRBlocks: 8
; NumSGPRsForWavesPerEU: 18
; NumVGPRsForWavesPerEU: 68
; Occupancy: 12
; WaveLimiterHint : 1
; COMPUTE_PGM_RSRC2:SCRATCH_EN: 0
; COMPUTE_PGM_RSRC2:USER_SGPR: 6
; COMPUTE_PGM_RSRC2:TRAP_HANDLER: 0
; COMPUTE_PGM_RSRC2:TGID_X_EN: 1
; COMPUTE_PGM_RSRC2:TGID_Y_EN: 0
; COMPUTE_PGM_RSRC2:TGID_Z_EN: 0
; COMPUTE_PGM_RSRC2:TIDIG_COMP_CNT: 0
	.section	.text._ZN9rocsparseL19gebsrmvn_3xn_kernelILj128ELj8ELj8E21rocsparse_complex_numIfEEEvi20rocsparse_direction_NS_24const_host_device_scalarIT2_EEPKiS8_PKS5_SA_S6_PS5_21rocsparse_index_base_b,"axG",@progbits,_ZN9rocsparseL19gebsrmvn_3xn_kernelILj128ELj8ELj8E21rocsparse_complex_numIfEEEvi20rocsparse_direction_NS_24const_host_device_scalarIT2_EEPKiS8_PKS5_SA_S6_PS5_21rocsparse_index_base_b,comdat
	.globl	_ZN9rocsparseL19gebsrmvn_3xn_kernelILj128ELj8ELj8E21rocsparse_complex_numIfEEEvi20rocsparse_direction_NS_24const_host_device_scalarIT2_EEPKiS8_PKS5_SA_S6_PS5_21rocsparse_index_base_b ; -- Begin function _ZN9rocsparseL19gebsrmvn_3xn_kernelILj128ELj8ELj8E21rocsparse_complex_numIfEEEvi20rocsparse_direction_NS_24const_host_device_scalarIT2_EEPKiS8_PKS5_SA_S6_PS5_21rocsparse_index_base_b
	.p2align	8
	.type	_ZN9rocsparseL19gebsrmvn_3xn_kernelILj128ELj8ELj8E21rocsparse_complex_numIfEEEvi20rocsparse_direction_NS_24const_host_device_scalarIT2_EEPKiS8_PKS5_SA_S6_PS5_21rocsparse_index_base_b,@function
_ZN9rocsparseL19gebsrmvn_3xn_kernelILj128ELj8ELj8E21rocsparse_complex_numIfEEEvi20rocsparse_direction_NS_24const_host_device_scalarIT2_EEPKiS8_PKS5_SA_S6_PS5_21rocsparse_index_base_b: ; @_ZN9rocsparseL19gebsrmvn_3xn_kernelILj128ELj8ELj8E21rocsparse_complex_numIfEEEvi20rocsparse_direction_NS_24const_host_device_scalarIT2_EEPKiS8_PKS5_SA_S6_PS5_21rocsparse_index_base_b
; %bb.0:
	s_clause 0x2
	s_load_dwordx2 s[2:3], s[4:5], 0x40
	s_load_dwordx2 s[0:1], s[4:5], 0x8
	;; [unrolled: 1-line block ×3, first 2 shown]
	s_add_u32 s7, s4, 8
	s_addc_u32 s10, s5, 0
	s_add_u32 s11, s4, 48
	s_addc_u32 s12, s5, 0
	s_waitcnt lgkmcnt(0)
	s_bitcmp1_b32 s3, 0
	s_cselect_b32 s0, s7, s0
	s_cselect_b32 s1, s10, s1
	v_mov_b32_e32 v1, s0
	v_mov_b32_e32 v2, s1
	s_cselect_b32 s0, s11, s8
	s_cselect_b32 s1, s12, s9
	v_mov_b32_e32 v3, s0
	v_mov_b32_e32 v4, s1
	flat_load_dwordx2 v[1:2], v[1:2]
	flat_load_dwordx2 v[3:4], v[3:4]
	s_waitcnt vmcnt(1) lgkmcnt(1)
	v_cmp_eq_f32_e32 vcc_lo, 0, v1
	v_cmp_eq_f32_e64 s0, 0, v2
	s_and_b32 s3, vcc_lo, s0
	s_mov_b32 s0, -1
	s_and_saveexec_b32 s1, s3
	s_cbranch_execz .LBB105_2
; %bb.1:
	s_waitcnt vmcnt(0) lgkmcnt(0)
	v_cmp_neq_f32_e32 vcc_lo, 1.0, v3
	v_cmp_neq_f32_e64 s0, 0, v4
	s_or_b32 s0, vcc_lo, s0
	s_orn2_b32 s0, s0, exec_lo
.LBB105_2:
	s_or_b32 exec_lo, exec_lo, s1
	s_and_saveexec_b32 s1, s0
	s_cbranch_execz .LBB105_21
; %bb.3:
	s_load_dwordx2 s[0:1], s[4:5], 0x0
	v_lshrrev_b32_e32 v5, 3, v0
	v_lshl_or_b32 v5, s6, 4, v5
	s_waitcnt lgkmcnt(0)
	v_cmp_gt_i32_e32 vcc_lo, s0, v5
	s_and_b32 exec_lo, exec_lo, vcc_lo
	s_cbranch_execz .LBB105_21
; %bb.4:
	s_load_dwordx8 s[8:15], s[4:5], 0x10
	v_ashrrev_i32_e32 v6, 31, v5
	v_and_b32_e32 v0, 7, v0
	s_cmp_lg_u32 s1, 0
	v_lshlrev_b64 v[6:7], 2, v[5:6]
	s_waitcnt lgkmcnt(0)
	v_add_co_u32 v6, vcc_lo, s8, v6
	v_add_co_ci_u32_e64 v7, null, s9, v7, vcc_lo
	global_load_dwordx2 v[6:7], v[6:7], off
	s_waitcnt vmcnt(0)
	v_subrev_nc_u32_e32 v6, s2, v6
	v_subrev_nc_u32_e32 v17, s2, v7
	v_add_nc_u32_e32 v6, v6, v0
	v_cmp_lt_i32_e64 s0, v6, v17
	s_cbranch_scc0 .LBB105_10
; %bb.5:
	v_mov_b32_e32 v14, 0
	v_mov_b32_e32 v19, 0
	;; [unrolled: 1-line block ×6, first 2 shown]
	s_and_saveexec_b32 s1, s0
	s_cbranch_execz .LBB105_9
; %bb.6:
	v_mad_u64_u32 v[7:8], null, v6, 24, 23
	v_mov_b32_e32 v10, 0
	v_mov_b32_e32 v11, v6
	v_mov_b32_e32 v14, 0
	v_mov_b32_e32 v19, 0
	v_mov_b32_e32 v18, 0
	v_mov_b32_e32 v15, 0
	v_mov_b32_e32 v20, 0
	v_mov_b32_e32 v16, 0
	s_mov_b32 s3, 0
.LBB105_7:                              ; =>This Inner Loop Header: Depth=1
	v_ashrrev_i32_e32 v12, 31, v11
	v_subrev_nc_u32_e32 v9, 23, v7
	v_mov_b32_e32 v8, v10
	v_mov_b32_e32 v13, v10
	v_lshlrev_b64 v[23:24], 2, v[11:12]
	v_lshlrev_b64 v[21:22], 3, v[9:10]
	;; [unrolled: 1-line block ×3, first 2 shown]
	v_add_nc_u32_e32 v9, -15, v7
	v_add_nc_u32_e32 v11, 8, v11
	v_add_co_u32 v23, vcc_lo, s10, v23
	v_add_co_ci_u32_e64 v24, null, s11, v24, vcc_lo
	v_add_co_u32 v33, vcc_lo, s12, v21
	v_add_co_ci_u32_e64 v34, null, s13, v22, vcc_lo
	;; [unrolled: 2-line block ×3, first 2 shown]
	global_load_dword v8, v[23:24], off
	s_clause 0x1
	global_load_dwordx4 v[21:24], v[33:34], off offset:48
	global_load_dwordx4 v[25:28], v[33:34], off offset:32
	v_lshlrev_b64 v[29:30], 3, v[9:10]
	v_add_nc_u32_e32 v9, -14, v7
	v_lshlrev_b64 v[39:40], 3, v[9:10]
	v_add_nc_u32_e32 v9, -13, v7
	v_add_co_u32 v41, vcc_lo, s12, v29
	v_add_co_ci_u32_e64 v42, null, s13, v30, vcc_lo
	s_clause 0x2
	global_load_dwordx4 v[29:32], v[33:34], off offset:16
	global_load_dwordx4 v[33:36], v[33:34], off
	global_load_dwordx2 v[45:46], v[37:38], off
	v_lshlrev_b64 v[37:38], 3, v[9:10]
	v_add_co_u32 v39, vcc_lo, s12, v39
	v_add_nc_u32_e32 v9, -12, v7
	v_add_co_ci_u32_e64 v40, null, s13, v40, vcc_lo
	v_add_co_u32 v37, vcc_lo, s12, v37
	s_clause 0x1
	global_load_dwordx2 v[47:48], v[41:42], off
	global_load_dwordx2 v[49:50], v[39:40], off
	v_lshlrev_b64 v[41:42], 3, v[9:10]
	v_add_nc_u32_e32 v9, -11, v7
	v_add_co_ci_u32_e64 v38, null, s13, v38, vcc_lo
	global_load_dwordx2 v[51:52], v[37:38], off
	v_lshlrev_b64 v[39:40], 3, v[9:10]
	v_add_nc_u32_e32 v9, -10, v7
	v_add_co_u32 v37, vcc_lo, s12, v41
	v_add_co_ci_u32_e64 v38, null, s13, v42, vcc_lo
	v_add_co_u32 v39, vcc_lo, s12, v39
	v_lshlrev_b64 v[41:42], 3, v[9:10]
	v_add_nc_u32_e32 v9, -9, v7
	v_add_co_ci_u32_e64 v40, null, s13, v40, vcc_lo
	s_clause 0x1
	global_load_dwordx2 v[53:54], v[37:38], off
	global_load_dwordx2 v[55:56], v[39:40], off
	v_lshlrev_b64 v[37:38], 3, v[9:10]
	v_add_nc_u32_e32 v9, -8, v7
	v_add_co_u32 v39, vcc_lo, s12, v41
	v_add_co_ci_u32_e64 v40, null, s13, v42, vcc_lo
	v_lshlrev_b64 v[41:42], 3, v[9:10]
	v_add_co_u32 v37, vcc_lo, s12, v37
	v_add_co_ci_u32_e64 v38, null, s13, v38, vcc_lo
	global_load_dwordx2 v[57:58], v[39:40], off
	v_add_co_u32 v63, vcc_lo, s12, v41
	v_add_co_ci_u32_e64 v64, null, s13, v42, vcc_lo
	global_load_dwordx2 v[61:62], v[37:38], off
	v_add_nc_u32_e32 v9, -7, v7
	v_lshlrev_b64 v[59:60], 3, v[9:10]
	v_add_nc_u32_e32 v9, -6, v7
	s_waitcnt vmcnt(12)
	v_subrev_nc_u32_e32 v8, s2, v8
	v_lshlrev_b32_e32 v12, 3, v8
	v_lshlrev_b64 v[12:13], 3, v[12:13]
	v_add_co_u32 v12, vcc_lo, s14, v12
	v_add_co_ci_u32_e64 v13, null, s15, v13, vcc_lo
	s_clause 0x1
	global_load_dwordx4 v[37:40], v[12:13], off
	global_load_dwordx4 v[41:44], v[12:13], off offset:16
	s_waitcnt vmcnt(1)
	v_fmac_f32_e32 v19, v33, v37
	v_fmac_f32_e32 v20, v35, v37
	;; [unrolled: 1-line block ×5, first 2 shown]
	v_fma_f32 v8, -v34, v38, v19
	v_fma_f32 v65, -v36, v38, v20
	v_lshlrev_b64 v[19:20], 3, v[9:10]
	v_add_nc_u32_e32 v9, -5, v7
	v_fmac_f32_e32 v14, v33, v38
	v_add_co_u32 v33, vcc_lo, s12, v59
	v_add_co_ci_u32_e64 v34, null, s13, v60, vcc_lo
	v_lshlrev_b64 v[59:60], 3, v[9:10]
	v_add_nc_u32_e32 v9, -4, v7
	v_fmac_f32_e32 v15, v30, v37
	v_fmac_f32_e32 v14, v32, v39
	;; [unrolled: 1-line block ×3, first 2 shown]
	s_clause 0x1
	global_load_dwordx2 v[35:36], v[63:64], off
	global_load_dwordx2 v[33:34], v[33:34], off
	v_fma_f32 v63, -v30, v38, v18
	v_fmac_f32_e32 v15, v29, v38
	v_lshlrev_b64 v[29:30], 3, v[9:10]
	v_add_co_u32 v19, vcc_lo, s12, v19
	v_fmac_f32_e32 v8, v31, v39
	v_add_co_ci_u32_e64 v20, null, s13, v20, vcc_lo
	v_add_nc_u32_e32 v9, -3, v7
	v_fmac_f32_e32 v14, v31, v40
	v_add_co_u32 v31, vcc_lo, s12, v59
	v_fma_f32 v64, -v32, v40, v8
	v_add_co_ci_u32_e64 v32, null, s13, v60, vcc_lo
	v_add_co_u32 v18, vcc_lo, s12, v29
	global_load_dwordx2 v[37:38], v[19:20], off
	v_add_co_ci_u32_e64 v19, null, s13, v30, vcc_lo
	v_lshlrev_b64 v[29:30], 3, v[9:10]
	v_add_nc_u32_e32 v9, -2, v7
	v_fmac_f32_e32 v65, v25, v39
	v_fmac_f32_e32 v16, v26, v39
	;; [unrolled: 1-line block ×4, first 2 shown]
	global_load_dwordx2 v[31:32], v[31:32], off
	v_fma_f32 v20, -v26, v40, v65
	v_fmac_f32_e32 v16, v25, v40
	v_lshlrev_b64 v[25:26], 3, v[9:10]
	v_fmac_f32_e32 v15, v27, v40
	v_add_co_u32 v27, vcc_lo, s12, v29
	v_fma_f32 v63, -v28, v40, v63
	v_add_co_ci_u32_e64 v28, null, s13, v30, vcc_lo
	v_add_co_u32 v39, vcc_lo, s12, v25
	global_load_dwordx2 v[29:30], v[18:19], off
	v_add_co_ci_u32_e64 v40, null, s13, v26, vcc_lo
	global_load_dwordx2 v[59:60], v[27:28], off
	global_load_dwordx4 v[25:28], v[12:13], off offset:32
	v_add_nc_u32_e32 v9, -1, v7
	s_waitcnt vmcnt(7)
	v_fmac_f32_e32 v14, v22, v41
	v_fmac_f32_e32 v20, v23, v41
	;; [unrolled: 1-line block ×4, first 2 shown]
	v_lshlrev_b64 v[8:9], 3, v[9:10]
	v_fmac_f32_e32 v14, v21, v42
	v_fma_f32 v24, -v24, v42, v20
	global_load_dwordx4 v[18:21], v[12:13], off offset:48
	v_fmac_f32_e32 v63, v47, v41
	v_fmac_f32_e32 v15, v48, v41
	v_add_co_u32 v8, vcc_lo, s12, v8
	v_add_co_ci_u32_e64 v9, null, s13, v9, vcc_lo
	s_clause 0x1
	global_load_dwordx2 v[12:13], v[39:40], off
	global_load_dwordx2 v[8:9], v[8:9], off
	v_fma_f32 v22, -v22, v42, v64
	v_fmac_f32_e32 v16, v23, v42
	v_fma_f32 v23, -v48, v42, v63
	v_fmac_f32_e32 v15, v47, v42
	v_fmac_f32_e32 v14, v50, v43
	;; [unrolled: 1-line block ×7, first 2 shown]
	v_fma_f32 v22, -v50, v44, v22
	v_fmac_f32_e32 v14, v49, v44
	v_fma_f32 v24, -v52, v44, v24
	v_fmac_f32_e32 v16, v51, v44
	v_fma_f32 v23, -v54, v44, v23
	v_fmac_f32_e32 v15, v53, v44
	v_cmp_ge_i32_e32 vcc_lo, v11, v17
	v_add_nc_u32_e32 v7, 0xc0, v7
	s_or_b32 s3, vcc_lo, s3
	s_waitcnt vmcnt(3)
	v_fmac_f32_e32 v22, v55, v25
	v_fmac_f32_e32 v14, v56, v25
	;; [unrolled: 1-line block ×6, first 2 shown]
	v_fma_f32 v22, -v56, v26, v22
	v_fmac_f32_e32 v14, v55, v26
	v_fma_f32 v24, -v58, v26, v24
	v_fmac_f32_e32 v16, v57, v26
	;; [unrolled: 2-line block ×3, first 2 shown]
	v_fmac_f32_e32 v22, v35, v27
	v_fmac_f32_e32 v14, v36, v27
	;; [unrolled: 1-line block ×6, first 2 shown]
	v_fma_f32 v22, -v36, v28, v22
	v_fmac_f32_e32 v14, v35, v28
	v_fma_f32 v24, -v34, v28, v24
	v_fmac_f32_e32 v16, v33, v28
	;; [unrolled: 2-line block ×3, first 2 shown]
	s_waitcnt vmcnt(2)
	v_fmac_f32_e32 v22, v31, v18
	v_fmac_f32_e32 v14, v32, v18
	;; [unrolled: 1-line block ×6, first 2 shown]
	v_fma_f32 v18, -v32, v19, v22
	v_fmac_f32_e32 v14, v31, v19
	v_fma_f32 v22, -v30, v19, v24
	v_fmac_f32_e32 v16, v29, v19
	;; [unrolled: 2-line block ×3, first 2 shown]
	s_waitcnt vmcnt(1)
	v_fmac_f32_e32 v18, v12, v20
	v_fmac_f32_e32 v14, v13, v20
	s_waitcnt vmcnt(0)
	v_fmac_f32_e32 v22, v8, v20
	v_fmac_f32_e32 v16, v9, v20
	;; [unrolled: 1-line block ×4, first 2 shown]
	v_fma_f32 v19, -v13, v21, v18
	v_fmac_f32_e32 v14, v12, v21
	v_fma_f32 v20, -v9, v21, v22
	v_fmac_f32_e32 v16, v8, v21
	;; [unrolled: 2-line block ×3, first 2 shown]
	s_andn2_b32 exec_lo, exec_lo, s3
	s_cbranch_execnz .LBB105_7
; %bb.8:
	s_or_b32 exec_lo, exec_lo, s3
.LBB105_9:
	s_or_b32 exec_lo, exec_lo, s1
	s_cbranch_execz .LBB105_11
	s_branch .LBB105_16
.LBB105_10:
                                        ; implicit-def: $vgpr14
                                        ; implicit-def: $vgpr19
                                        ; implicit-def: $vgpr18
                                        ; implicit-def: $vgpr15
                                        ; implicit-def: $vgpr20
                                        ; implicit-def: $vgpr16
.LBB105_11:
	v_mov_b32_e32 v14, 0
	v_mov_b32_e32 v19, 0
	v_mov_b32_e32 v18, 0
	v_mov_b32_e32 v15, 0
	v_mov_b32_e32 v20, 0
	v_mov_b32_e32 v16, 0
	s_and_saveexec_b32 s1, s0
	s_cbranch_execz .LBB105_15
; %bb.12:
	v_mad_u64_u32 v[8:9], null, v6, 24, 23
	v_mov_b32_e32 v11, 0
	v_mov_b32_e32 v14, 0
	;; [unrolled: 1-line block ×7, first 2 shown]
	s_mov_b32 s0, 0
.LBB105_13:                             ; =>This Inner Loop Header: Depth=1
	v_ashrrev_i32_e32 v7, 31, v6
	v_subrev_nc_u32_e32 v10, 23, v8
	v_add_nc_u32_e32 v12, -15, v8
	v_mov_b32_e32 v13, v11
	v_add_nc_u32_e32 v21, -7, v8
	v_lshlrev_b64 v[27:28], 2, v[6:7]
	v_mov_b32_e32 v22, v11
	v_lshlrev_b64 v[23:24], 3, v[10:11]
	v_lshlrev_b64 v[12:13], 3, v[12:13]
	v_mov_b32_e32 v9, v11
	v_add_nc_u32_e32 v10, -14, v8
	v_lshlrev_b64 v[21:22], 3, v[21:22]
	v_add_co_u32 v27, vcc_lo, s10, v27
	v_add_co_ci_u32_e64 v28, null, s11, v28, vcc_lo
	v_add_co_u32 v37, vcc_lo, s12, v23
	v_add_co_ci_u32_e64 v38, null, s13, v24, vcc_lo
	;; [unrolled: 2-line block ×4, first 2 shown]
	global_load_dword v7, v[27:28], off
	s_clause 0x2
	global_load_dwordx4 v[21:24], v[37:38], off
	global_load_dwordx2 v[12:13], v[12:13], off
	global_load_dwordx2 v[39:40], v[33:34], off
	v_lshlrev_b64 v[29:30], 3, v[8:9]
	v_lshlrev_b64 v[31:32], 3, v[10:11]
	v_add_nc_u32_e32 v10, -6, v8
	v_mov_b32_e32 v26, v11
	v_add_nc_u32_e32 v6, 8, v6
	v_add_co_u32 v45, vcc_lo, s12, v29
	v_add_co_ci_u32_e64 v46, null, s13, v30, vcc_lo
	v_lshlrev_b64 v[29:30], 3, v[10:11]
	v_add_nc_u32_e32 v10, -13, v8
	v_add_co_u32 v27, vcc_lo, s12, v31
	v_add_co_ci_u32_e64 v28, null, s13, v32, vcc_lo
	v_add_co_u32 v29, vcc_lo, s12, v29
	v_lshlrev_b64 v[31:32], 3, v[10:11]
	v_add_nc_u32_e32 v10, -5, v8
	v_add_co_ci_u32_e64 v30, null, s13, v30, vcc_lo
	global_load_dwordx2 v[41:42], v[27:28], off
	v_add_co_u32 v47, vcc_lo, s12, v31
	global_load_dwordx2 v[43:44], v[29:30], off
	v_lshlrev_b64 v[27:28], 3, v[10:11]
	v_add_nc_u32_e32 v10, -12, v8
	v_add_co_ci_u32_e64 v48, null, s13, v32, vcc_lo
	v_lshlrev_b64 v[29:30], 3, v[10:11]
	v_add_nc_u32_e32 v10, -4, v8
	v_add_co_u32 v49, vcc_lo, s12, v27
	v_add_co_ci_u32_e64 v50, null, s13, v28, vcc_lo
	v_lshlrev_b64 v[27:28], 3, v[10:11]
	v_add_nc_u32_e32 v10, -11, v8
	v_add_co_u32 v51, vcc_lo, s12, v29
	;; [unrolled: 4-line block ×6, first 2 shown]
	v_add_co_ci_u32_e64 v60, null, s13, v30, vcc_lo
	v_lshlrev_b64 v[9:10], 3, v[10:11]
	v_add_co_u32 v61, vcc_lo, s12, v27
	v_add_co_ci_u32_e64 v62, null, s13, v28, vcc_lo
	v_add_co_u32 v63, vcc_lo, s12, v9
	v_add_co_ci_u32_e64 v64, null, s13, v10, vcc_lo
	s_waitcnt vmcnt(5)
	v_subrev_nc_u32_e32 v7, s2, v7
	v_lshlrev_b32_e32 v25, 3, v7
	v_lshlrev_b64 v[9:10], 3, v[25:26]
	v_add_co_u32 v65, vcc_lo, s14, v9
	v_add_co_ci_u32_e64 v66, null, s15, v10, vcc_lo
	s_clause 0x1
	global_load_dwordx4 v[25:28], v[65:66], off
	global_load_dwordx4 v[29:32], v[65:66], off offset:16
	global_load_dwordx4 v[33:36], v[37:38], off offset:16
	v_add_nc_u32_e32 v10, -1, v8
	s_waitcnt vmcnt(2)
	v_fmac_f32_e32 v19, v21, v25
	v_fmac_f32_e32 v14, v22, v25
	v_fmac_f32_e32 v20, v12, v25
	v_fmac_f32_e32 v16, v13, v25
	v_fmac_f32_e32 v18, v39, v25
	v_fma_f32 v9, -v22, v26, v19
	v_fmac_f32_e32 v14, v21, v26
	v_fmac_f32_e32 v15, v40, v25
	v_fma_f32 v7, -v13, v26, v20
	v_fmac_f32_e32 v16, v12, v26
	v_fmac_f32_e32 v9, v23, v27
	;; [unrolled: 1-line block ×3, first 2 shown]
	global_load_dwordx4 v[19:22], v[37:38], off offset:48
	v_fmac_f32_e32 v15, v39, v26
	v_fmac_f32_e32 v7, v41, v27
	v_fma_f32 v67, -v24, v28, v9
	v_fmac_f32_e32 v14, v23, v28
	v_fma_f32 v9, -v40, v26, v18
	s_clause 0x6
	global_load_dwordx4 v[23:26], v[37:38], off offset:32
	global_load_dwordx2 v[12:13], v[47:48], off
	global_load_dwordx2 v[47:48], v[49:50], off
	;; [unrolled: 1-line block ×6, first 2 shown]
	v_lshlrev_b64 v[37:38], 3, v[10:11]
	v_fmac_f32_e32 v16, v42, v27
	v_fmac_f32_e32 v15, v44, v27
	;; [unrolled: 1-line block ×3, first 2 shown]
	v_fma_f32 v7, -v42, v28, v7
	v_add_nc_u32_e32 v10, -8, v8
	v_add_co_u32 v27, vcc_lo, s12, v37
	v_fmac_f32_e32 v16, v41, v28
	v_fma_f32 v18, -v44, v28, v9
	v_fmac_f32_e32 v15, v43, v28
	v_add_co_ci_u32_e64 v28, null, s13, v38, vcc_lo
	global_load_dwordx4 v[37:40], v[65:66], off offset:32
	s_clause 0x3
	global_load_dwordx2 v[57:58], v[59:60], off
	global_load_dwordx2 v[59:60], v[61:62], off
	;; [unrolled: 1-line block ×4, first 2 shown]
	v_lshlrev_b64 v[9:10], 3, v[10:11]
	s_waitcnt vmcnt(13)
	v_fmac_f32_e32 v67, v33, v29
	v_fmac_f32_e32 v14, v34, v29
	v_add_nc_u32_e32 v8, 0xc0, v8
	v_add_co_u32 v9, vcc_lo, s12, v9
	v_add_co_ci_u32_e64 v10, null, s13, v10, vcc_lo
	v_fmac_f32_e32 v14, v33, v30
	v_cmp_ge_i32_e32 vcc_lo, v6, v17
	v_fmac_f32_e32 v14, v36, v31
	s_or_b32 s0, vcc_lo, s0
	v_fmac_f32_e32 v14, v35, v32
	s_waitcnt vmcnt(10)
	v_fmac_f32_e32 v7, v12, v29
	v_fmac_f32_e32 v16, v13, v29
	s_waitcnt vmcnt(9)
	v_fmac_f32_e32 v18, v47, v29
	v_fmac_f32_e32 v15, v48, v29
	v_fma_f32 v29, -v34, v30, v67
	v_fma_f32 v7, -v13, v30, v7
	v_fmac_f32_e32 v16, v12, v30
	global_load_dwordx4 v[41:44], v[65:66], off offset:48
	s_clause 0x1
	global_load_dwordx2 v[9:10], v[9:10], off
	global_load_dwordx2 v[12:13], v[45:46], off
	v_fma_f32 v18, -v48, v30, v18
	v_fmac_f32_e32 v15, v47, v30
	v_fmac_f32_e32 v29, v35, v31
	s_waitcnt vmcnt(11)
	v_fmac_f32_e32 v7, v49, v31
	v_fmac_f32_e32 v16, v50, v31
	s_waitcnt vmcnt(10)
	v_fmac_f32_e32 v18, v51, v31
	v_fmac_f32_e32 v15, v52, v31
	v_fma_f32 v29, -v36, v32, v29
	v_fma_f32 v7, -v50, v32, v7
	v_fmac_f32_e32 v16, v49, v32
	v_fma_f32 v18, -v52, v32, v18
	v_fmac_f32_e32 v15, v51, v32
	s_waitcnt vmcnt(7)
	v_fmac_f32_e32 v29, v23, v37
	v_fmac_f32_e32 v14, v24, v37
	;; [unrolled: 1-line block ×6, first 2 shown]
	v_fma_f32 v24, -v24, v38, v29
	v_fmac_f32_e32 v14, v23, v38
	v_fma_f32 v7, -v54, v38, v7
	v_fmac_f32_e32 v16, v53, v38
	;; [unrolled: 2-line block ×3, first 2 shown]
	v_fmac_f32_e32 v24, v25, v39
	v_fmac_f32_e32 v14, v26, v39
	s_waitcnt vmcnt(6)
	v_fmac_f32_e32 v7, v57, v39
	v_fmac_f32_e32 v16, v58, v39
	s_waitcnt vmcnt(5)
	v_fmac_f32_e32 v18, v59, v39
	v_fmac_f32_e32 v15, v60, v39
	v_fma_f32 v23, -v26, v40, v24
	v_fmac_f32_e32 v14, v25, v40
	v_fma_f32 v7, -v58, v40, v7
	;; [unrolled: 2-line block ×3, first 2 shown]
	v_fmac_f32_e32 v15, v59, v40
	s_waitcnt vmcnt(2)
	v_fmac_f32_e32 v23, v19, v41
	v_fmac_f32_e32 v14, v20, v41
	;; [unrolled: 1-line block ×6, first 2 shown]
	v_fma_f32 v20, -v20, v42, v23
	v_fmac_f32_e32 v14, v19, v42
	v_fma_f32 v7, -v62, v42, v7
	v_fmac_f32_e32 v16, v61, v42
	;; [unrolled: 2-line block ×3, first 2 shown]
	v_fmac_f32_e32 v20, v21, v43
	v_fmac_f32_e32 v14, v22, v43
	s_waitcnt vmcnt(1)
	v_fmac_f32_e32 v7, v9, v43
	v_fmac_f32_e32 v16, v10, v43
	s_waitcnt vmcnt(0)
	v_fmac_f32_e32 v18, v12, v43
	v_fmac_f32_e32 v15, v13, v43
	v_fma_f32 v19, -v22, v44, v20
	v_fmac_f32_e32 v14, v21, v44
	v_fma_f32 v20, -v10, v44, v7
	;; [unrolled: 2-line block ×3, first 2 shown]
	v_fmac_f32_e32 v15, v12, v44
	s_andn2_b32 exec_lo, exec_lo, s0
	s_cbranch_execnz .LBB105_13
; %bb.14:
	s_or_b32 exec_lo, exec_lo, s0
.LBB105_15:
	s_or_b32 exec_lo, exec_lo, s1
.LBB105_16:
	v_mbcnt_lo_u32_b32 v6, -1, 0
	v_xor_b32_e32 v7, 4, v6
	v_xor_b32_e32 v13, 2, v6
	v_cmp_gt_i32_e32 vcc_lo, 32, v7
	v_cndmask_b32_e32 v7, v6, v7, vcc_lo
	v_cmp_gt_i32_e32 vcc_lo, 32, v13
	v_lshlrev_b32_e32 v7, 2, v7
	v_cndmask_b32_e32 v13, v6, v13, vcc_lo
	ds_bpermute_b32 v8, v7, v19
	ds_bpermute_b32 v9, v7, v14
	;; [unrolled: 1-line block ×6, first 2 shown]
	v_lshlrev_b32_e32 v13, 2, v13
	s_waitcnt lgkmcnt(5)
	v_add_f32_e32 v8, v19, v8
	s_waitcnt lgkmcnt(4)
	v_add_f32_e32 v9, v14, v9
	;; [unrolled: 2-line block ×6, first 2 shown]
	ds_bpermute_b32 v7, v13, v8
	ds_bpermute_b32 v11, v13, v9
	;; [unrolled: 1-line block ×6, first 2 shown]
	v_xor_b32_e32 v19, 1, v6
	v_cmp_gt_i32_e32 vcc_lo, 32, v19
	v_cndmask_b32_e32 v6, v6, v19, vcc_lo
	v_cmp_eq_u32_e32 vcc_lo, 7, v0
	v_lshlrev_b32_e32 v19, 2, v6
	s_waitcnt lgkmcnt(5)
	v_add_f32_e32 v6, v8, v7
	s_waitcnt lgkmcnt(4)
	v_add_f32_e32 v9, v9, v11
	;; [unrolled: 2-line block ×6, first 2 shown]
	ds_bpermute_b32 v10, v19, v6
	ds_bpermute_b32 v15, v19, v9
	;; [unrolled: 1-line block ×6, first 2 shown]
	s_and_b32 exec_lo, exec_lo, vcc_lo
	s_cbranch_execz .LBB105_21
; %bb.17:
	s_load_dwordx2 s[2:3], s[4:5], 0x38
	v_cmp_eq_f32_e32 vcc_lo, 0, v3
	v_cmp_eq_f32_e64 s0, 0, v4
	s_waitcnt lgkmcnt(0)
	v_add_f32_e32 v0, v6, v10
	v_add_f32_e32 v10, v9, v15
	;; [unrolled: 1-line block ×6, first 2 shown]
	s_and_b32 s0, vcc_lo, s0
	s_and_saveexec_b32 s1, s0
	s_xor_b32 s0, exec_lo, s1
	s_cbranch_execz .LBB105_19
; %bb.18:
	v_lshl_add_u32 v3, v5, 1, v5
	v_mul_f32_e64 v11, v10, -v2
	v_mul_f32_e32 v12, v1, v10
	v_mul_f32_e64 v13, v9, -v2
	v_mul_f32_e32 v14, v1, v9
	v_ashrrev_i32_e32 v4, 31, v3
	v_mul_f32_e64 v9, v8, -v2
	v_mul_f32_e32 v10, v1, v8
	v_fmac_f32_e32 v11, v1, v0
	v_fmac_f32_e32 v12, v2, v0
	v_lshlrev_b64 v[3:4], 3, v[3:4]
	v_fmac_f32_e32 v13, v1, v6
	v_fmac_f32_e32 v14, v2, v6
	;; [unrolled: 1-line block ×4, first 2 shown]
                                        ; implicit-def: $vgpr5
                                        ; implicit-def: $vgpr0
                                        ; implicit-def: $vgpr6
                                        ; implicit-def: $vgpr7
                                        ; implicit-def: $vgpr8
                                        ; implicit-def: $vgpr1_vgpr2
	v_add_co_u32 v3, vcc_lo, s2, v3
	v_add_co_ci_u32_e64 v4, null, s3, v4, vcc_lo
	global_store_dwordx4 v[3:4], v[11:14], off
	global_store_dwordx2 v[3:4], v[9:10], off offset:16
                                        ; implicit-def: $vgpr10
                                        ; implicit-def: $vgpr9
                                        ; implicit-def: $vgpr3_vgpr4
.LBB105_19:
	s_andn2_saveexec_b32 s0, s0
	s_cbranch_execz .LBB105_21
; %bb.20:
	v_lshl_add_u32 v11, v5, 1, v5
	v_mul_f32_e64 v15, v10, -v2
	v_mul_f32_e32 v16, v1, v10
	v_mul_f32_e64 v10, v9, -v2
	v_mul_f32_e32 v18, v1, v9
	v_ashrrev_i32_e32 v12, 31, v11
	v_mul_f32_e64 v9, v8, -v2
	v_mul_f32_e32 v5, v1, v8
	v_fmac_f32_e32 v15, v1, v0
	v_fmac_f32_e32 v16, v2, v0
	v_lshlrev_b64 v[11:12], 3, v[11:12]
	v_fmac_f32_e32 v10, v1, v6
	v_fmac_f32_e32 v18, v2, v6
	;; [unrolled: 1-line block ×4, first 2 shown]
	v_add_co_u32 v19, vcc_lo, s2, v11
	v_add_co_ci_u32_e64 v20, null, s3, v12, vcc_lo
	s_clause 0x1
	global_load_dwordx4 v[11:14], v[19:20], off
	global_load_dwordx2 v[21:22], v[19:20], off offset:16
	s_waitcnt vmcnt(1)
	v_fmac_f32_e32 v15, v3, v11
	v_fmac_f32_e32 v16, v4, v11
	;; [unrolled: 1-line block ×4, first 2 shown]
	s_waitcnt vmcnt(0)
	v_fmac_f32_e32 v9, v3, v21
	v_fmac_f32_e32 v5, v4, v21
	v_fma_f32 v15, -v4, v12, v15
	v_fmac_f32_e32 v16, v3, v12
	v_fma_f32 v17, -v4, v14, v10
	;; [unrolled: 2-line block ×3, first 2 shown]
	v_fmac_f32_e32 v5, v3, v22
	global_store_dwordx4 v[19:20], v[15:18], off
	global_store_dwordx2 v[19:20], v[4:5], off offset:16
.LBB105_21:
	s_endpgm
	.section	.rodata,"a",@progbits
	.p2align	6, 0x0
	.amdhsa_kernel _ZN9rocsparseL19gebsrmvn_3xn_kernelILj128ELj8ELj8E21rocsparse_complex_numIfEEEvi20rocsparse_direction_NS_24const_host_device_scalarIT2_EEPKiS8_PKS5_SA_S6_PS5_21rocsparse_index_base_b
		.amdhsa_group_segment_fixed_size 0
		.amdhsa_private_segment_fixed_size 0
		.amdhsa_kernarg_size 72
		.amdhsa_user_sgpr_count 6
		.amdhsa_user_sgpr_private_segment_buffer 1
		.amdhsa_user_sgpr_dispatch_ptr 0
		.amdhsa_user_sgpr_queue_ptr 0
		.amdhsa_user_sgpr_kernarg_segment_ptr 1
		.amdhsa_user_sgpr_dispatch_id 0
		.amdhsa_user_sgpr_flat_scratch_init 0
		.amdhsa_user_sgpr_private_segment_size 0
		.amdhsa_wavefront_size32 1
		.amdhsa_uses_dynamic_stack 0
		.amdhsa_system_sgpr_private_segment_wavefront_offset 0
		.amdhsa_system_sgpr_workgroup_id_x 1
		.amdhsa_system_sgpr_workgroup_id_y 0
		.amdhsa_system_sgpr_workgroup_id_z 0
		.amdhsa_system_sgpr_workgroup_info 0
		.amdhsa_system_vgpr_workitem_id 0
		.amdhsa_next_free_vgpr 68
		.amdhsa_next_free_sgpr 16
		.amdhsa_reserve_vcc 1
		.amdhsa_reserve_flat_scratch 0
		.amdhsa_float_round_mode_32 0
		.amdhsa_float_round_mode_16_64 0
		.amdhsa_float_denorm_mode_32 3
		.amdhsa_float_denorm_mode_16_64 3
		.amdhsa_dx10_clamp 1
		.amdhsa_ieee_mode 1
		.amdhsa_fp16_overflow 0
		.amdhsa_workgroup_processor_mode 1
		.amdhsa_memory_ordered 1
		.amdhsa_forward_progress 1
		.amdhsa_shared_vgpr_count 0
		.amdhsa_exception_fp_ieee_invalid_op 0
		.amdhsa_exception_fp_denorm_src 0
		.amdhsa_exception_fp_ieee_div_zero 0
		.amdhsa_exception_fp_ieee_overflow 0
		.amdhsa_exception_fp_ieee_underflow 0
		.amdhsa_exception_fp_ieee_inexact 0
		.amdhsa_exception_int_div_zero 0
	.end_amdhsa_kernel
	.section	.text._ZN9rocsparseL19gebsrmvn_3xn_kernelILj128ELj8ELj8E21rocsparse_complex_numIfEEEvi20rocsparse_direction_NS_24const_host_device_scalarIT2_EEPKiS8_PKS5_SA_S6_PS5_21rocsparse_index_base_b,"axG",@progbits,_ZN9rocsparseL19gebsrmvn_3xn_kernelILj128ELj8ELj8E21rocsparse_complex_numIfEEEvi20rocsparse_direction_NS_24const_host_device_scalarIT2_EEPKiS8_PKS5_SA_S6_PS5_21rocsparse_index_base_b,comdat
.Lfunc_end105:
	.size	_ZN9rocsparseL19gebsrmvn_3xn_kernelILj128ELj8ELj8E21rocsparse_complex_numIfEEEvi20rocsparse_direction_NS_24const_host_device_scalarIT2_EEPKiS8_PKS5_SA_S6_PS5_21rocsparse_index_base_b, .Lfunc_end105-_ZN9rocsparseL19gebsrmvn_3xn_kernelILj128ELj8ELj8E21rocsparse_complex_numIfEEEvi20rocsparse_direction_NS_24const_host_device_scalarIT2_EEPKiS8_PKS5_SA_S6_PS5_21rocsparse_index_base_b
                                        ; -- End function
	.set _ZN9rocsparseL19gebsrmvn_3xn_kernelILj128ELj8ELj8E21rocsparse_complex_numIfEEEvi20rocsparse_direction_NS_24const_host_device_scalarIT2_EEPKiS8_PKS5_SA_S6_PS5_21rocsparse_index_base_b.num_vgpr, 68
	.set _ZN9rocsparseL19gebsrmvn_3xn_kernelILj128ELj8ELj8E21rocsparse_complex_numIfEEEvi20rocsparse_direction_NS_24const_host_device_scalarIT2_EEPKiS8_PKS5_SA_S6_PS5_21rocsparse_index_base_b.num_agpr, 0
	.set _ZN9rocsparseL19gebsrmvn_3xn_kernelILj128ELj8ELj8E21rocsparse_complex_numIfEEEvi20rocsparse_direction_NS_24const_host_device_scalarIT2_EEPKiS8_PKS5_SA_S6_PS5_21rocsparse_index_base_b.numbered_sgpr, 16
	.set _ZN9rocsparseL19gebsrmvn_3xn_kernelILj128ELj8ELj8E21rocsparse_complex_numIfEEEvi20rocsparse_direction_NS_24const_host_device_scalarIT2_EEPKiS8_PKS5_SA_S6_PS5_21rocsparse_index_base_b.num_named_barrier, 0
	.set _ZN9rocsparseL19gebsrmvn_3xn_kernelILj128ELj8ELj8E21rocsparse_complex_numIfEEEvi20rocsparse_direction_NS_24const_host_device_scalarIT2_EEPKiS8_PKS5_SA_S6_PS5_21rocsparse_index_base_b.private_seg_size, 0
	.set _ZN9rocsparseL19gebsrmvn_3xn_kernelILj128ELj8ELj8E21rocsparse_complex_numIfEEEvi20rocsparse_direction_NS_24const_host_device_scalarIT2_EEPKiS8_PKS5_SA_S6_PS5_21rocsparse_index_base_b.uses_vcc, 1
	.set _ZN9rocsparseL19gebsrmvn_3xn_kernelILj128ELj8ELj8E21rocsparse_complex_numIfEEEvi20rocsparse_direction_NS_24const_host_device_scalarIT2_EEPKiS8_PKS5_SA_S6_PS5_21rocsparse_index_base_b.uses_flat_scratch, 0
	.set _ZN9rocsparseL19gebsrmvn_3xn_kernelILj128ELj8ELj8E21rocsparse_complex_numIfEEEvi20rocsparse_direction_NS_24const_host_device_scalarIT2_EEPKiS8_PKS5_SA_S6_PS5_21rocsparse_index_base_b.has_dyn_sized_stack, 0
	.set _ZN9rocsparseL19gebsrmvn_3xn_kernelILj128ELj8ELj8E21rocsparse_complex_numIfEEEvi20rocsparse_direction_NS_24const_host_device_scalarIT2_EEPKiS8_PKS5_SA_S6_PS5_21rocsparse_index_base_b.has_recursion, 0
	.set _ZN9rocsparseL19gebsrmvn_3xn_kernelILj128ELj8ELj8E21rocsparse_complex_numIfEEEvi20rocsparse_direction_NS_24const_host_device_scalarIT2_EEPKiS8_PKS5_SA_S6_PS5_21rocsparse_index_base_b.has_indirect_call, 0
	.section	.AMDGPU.csdata,"",@progbits
; Kernel info:
; codeLenInByte = 3788
; TotalNumSgprs: 18
; NumVgprs: 68
; ScratchSize: 0
; MemoryBound: 0
; FloatMode: 240
; IeeeMode: 1
; LDSByteSize: 0 bytes/workgroup (compile time only)
; SGPRBlocks: 0
; VGPRBlocks: 8
; NumSGPRsForWavesPerEU: 18
; NumVGPRsForWavesPerEU: 68
; Occupancy: 12
; WaveLimiterHint : 1
; COMPUTE_PGM_RSRC2:SCRATCH_EN: 0
; COMPUTE_PGM_RSRC2:USER_SGPR: 6
; COMPUTE_PGM_RSRC2:TRAP_HANDLER: 0
; COMPUTE_PGM_RSRC2:TGID_X_EN: 1
; COMPUTE_PGM_RSRC2:TGID_Y_EN: 0
; COMPUTE_PGM_RSRC2:TGID_Z_EN: 0
; COMPUTE_PGM_RSRC2:TIDIG_COMP_CNT: 0
	.section	.text._ZN9rocsparseL19gebsrmvn_3xn_kernelILj128ELj8ELj16E21rocsparse_complex_numIfEEEvi20rocsparse_direction_NS_24const_host_device_scalarIT2_EEPKiS8_PKS5_SA_S6_PS5_21rocsparse_index_base_b,"axG",@progbits,_ZN9rocsparseL19gebsrmvn_3xn_kernelILj128ELj8ELj16E21rocsparse_complex_numIfEEEvi20rocsparse_direction_NS_24const_host_device_scalarIT2_EEPKiS8_PKS5_SA_S6_PS5_21rocsparse_index_base_b,comdat
	.globl	_ZN9rocsparseL19gebsrmvn_3xn_kernelILj128ELj8ELj16E21rocsparse_complex_numIfEEEvi20rocsparse_direction_NS_24const_host_device_scalarIT2_EEPKiS8_PKS5_SA_S6_PS5_21rocsparse_index_base_b ; -- Begin function _ZN9rocsparseL19gebsrmvn_3xn_kernelILj128ELj8ELj16E21rocsparse_complex_numIfEEEvi20rocsparse_direction_NS_24const_host_device_scalarIT2_EEPKiS8_PKS5_SA_S6_PS5_21rocsparse_index_base_b
	.p2align	8
	.type	_ZN9rocsparseL19gebsrmvn_3xn_kernelILj128ELj8ELj16E21rocsparse_complex_numIfEEEvi20rocsparse_direction_NS_24const_host_device_scalarIT2_EEPKiS8_PKS5_SA_S6_PS5_21rocsparse_index_base_b,@function
_ZN9rocsparseL19gebsrmvn_3xn_kernelILj128ELj8ELj16E21rocsparse_complex_numIfEEEvi20rocsparse_direction_NS_24const_host_device_scalarIT2_EEPKiS8_PKS5_SA_S6_PS5_21rocsparse_index_base_b: ; @_ZN9rocsparseL19gebsrmvn_3xn_kernelILj128ELj8ELj16E21rocsparse_complex_numIfEEEvi20rocsparse_direction_NS_24const_host_device_scalarIT2_EEPKiS8_PKS5_SA_S6_PS5_21rocsparse_index_base_b
; %bb.0:
	s_clause 0x2
	s_load_dwordx2 s[2:3], s[4:5], 0x40
	s_load_dwordx2 s[0:1], s[4:5], 0x8
	;; [unrolled: 1-line block ×3, first 2 shown]
	s_add_u32 s7, s4, 8
	s_addc_u32 s10, s5, 0
	s_add_u32 s11, s4, 48
	s_addc_u32 s12, s5, 0
	s_waitcnt lgkmcnt(0)
	s_bitcmp1_b32 s3, 0
	s_cselect_b32 s0, s7, s0
	s_cselect_b32 s1, s10, s1
	v_mov_b32_e32 v1, s0
	v_mov_b32_e32 v2, s1
	s_cselect_b32 s0, s11, s8
	s_cselect_b32 s1, s12, s9
	v_mov_b32_e32 v3, s0
	v_mov_b32_e32 v4, s1
	flat_load_dwordx2 v[1:2], v[1:2]
	flat_load_dwordx2 v[3:4], v[3:4]
	s_waitcnt vmcnt(1) lgkmcnt(1)
	v_cmp_eq_f32_e32 vcc_lo, 0, v1
	v_cmp_eq_f32_e64 s0, 0, v2
	s_and_b32 s3, vcc_lo, s0
	s_mov_b32 s0, -1
	s_and_saveexec_b32 s1, s3
	s_cbranch_execz .LBB106_2
; %bb.1:
	s_waitcnt vmcnt(0) lgkmcnt(0)
	v_cmp_neq_f32_e32 vcc_lo, 1.0, v3
	v_cmp_neq_f32_e64 s0, 0, v4
	s_or_b32 s0, vcc_lo, s0
	s_orn2_b32 s0, s0, exec_lo
.LBB106_2:
	s_or_b32 exec_lo, exec_lo, s1
	s_and_saveexec_b32 s1, s0
	s_cbranch_execz .LBB106_21
; %bb.3:
	s_load_dwordx2 s[0:1], s[4:5], 0x0
	v_lshrrev_b32_e32 v5, 4, v0
	v_lshl_or_b32 v5, s6, 3, v5
	s_waitcnt lgkmcnt(0)
	v_cmp_gt_i32_e32 vcc_lo, s0, v5
	s_and_b32 exec_lo, exec_lo, vcc_lo
	s_cbranch_execz .LBB106_21
; %bb.4:
	s_load_dwordx8 s[8:15], s[4:5], 0x10
	v_ashrrev_i32_e32 v6, 31, v5
	v_and_b32_e32 v0, 15, v0
	s_cmp_lg_u32 s1, 0
	v_lshlrev_b64 v[6:7], 2, v[5:6]
	s_waitcnt lgkmcnt(0)
	v_add_co_u32 v6, vcc_lo, s8, v6
	v_add_co_ci_u32_e64 v7, null, s9, v7, vcc_lo
	global_load_dwordx2 v[6:7], v[6:7], off
	s_waitcnt vmcnt(0)
	v_subrev_nc_u32_e32 v6, s2, v6
	v_subrev_nc_u32_e32 v17, s2, v7
	v_add_nc_u32_e32 v6, v6, v0
	v_cmp_lt_i32_e64 s0, v6, v17
	s_cbranch_scc0 .LBB106_10
; %bb.5:
	v_mov_b32_e32 v14, 0
	v_mov_b32_e32 v19, 0
	;; [unrolled: 1-line block ×6, first 2 shown]
	s_and_saveexec_b32 s1, s0
	s_cbranch_execz .LBB106_9
; %bb.6:
	v_mad_u64_u32 v[7:8], null, v6, 24, 23
	v_mov_b32_e32 v10, 0
	v_mov_b32_e32 v11, v6
	;; [unrolled: 1-line block ×8, first 2 shown]
	s_mov_b32 s3, 0
.LBB106_7:                              ; =>This Inner Loop Header: Depth=1
	v_ashrrev_i32_e32 v12, 31, v11
	v_subrev_nc_u32_e32 v9, 23, v7
	v_mov_b32_e32 v8, v10
	v_mov_b32_e32 v13, v10
	v_lshlrev_b64 v[23:24], 2, v[11:12]
	v_lshlrev_b64 v[21:22], 3, v[9:10]
	;; [unrolled: 1-line block ×3, first 2 shown]
	v_add_nc_u32_e32 v9, -15, v7
	v_add_nc_u32_e32 v11, 16, v11
	v_add_co_u32 v23, vcc_lo, s10, v23
	v_add_co_ci_u32_e64 v24, null, s11, v24, vcc_lo
	v_add_co_u32 v33, vcc_lo, s12, v21
	v_add_co_ci_u32_e64 v34, null, s13, v22, vcc_lo
	;; [unrolled: 2-line block ×3, first 2 shown]
	global_load_dword v8, v[23:24], off
	s_clause 0x1
	global_load_dwordx4 v[21:24], v[33:34], off offset:48
	global_load_dwordx4 v[25:28], v[33:34], off offset:32
	v_lshlrev_b64 v[29:30], 3, v[9:10]
	v_add_nc_u32_e32 v9, -14, v7
	v_lshlrev_b64 v[39:40], 3, v[9:10]
	v_add_nc_u32_e32 v9, -13, v7
	v_add_co_u32 v41, vcc_lo, s12, v29
	v_add_co_ci_u32_e64 v42, null, s13, v30, vcc_lo
	s_clause 0x2
	global_load_dwordx4 v[29:32], v[33:34], off offset:16
	global_load_dwordx4 v[33:36], v[33:34], off
	global_load_dwordx2 v[45:46], v[37:38], off
	v_lshlrev_b64 v[37:38], 3, v[9:10]
	v_add_co_u32 v39, vcc_lo, s12, v39
	v_add_nc_u32_e32 v9, -12, v7
	v_add_co_ci_u32_e64 v40, null, s13, v40, vcc_lo
	v_add_co_u32 v37, vcc_lo, s12, v37
	s_clause 0x1
	global_load_dwordx2 v[47:48], v[41:42], off
	global_load_dwordx2 v[49:50], v[39:40], off
	v_lshlrev_b64 v[41:42], 3, v[9:10]
	v_add_nc_u32_e32 v9, -11, v7
	v_add_co_ci_u32_e64 v38, null, s13, v38, vcc_lo
	global_load_dwordx2 v[51:52], v[37:38], off
	v_lshlrev_b64 v[39:40], 3, v[9:10]
	v_add_nc_u32_e32 v9, -10, v7
	v_add_co_u32 v37, vcc_lo, s12, v41
	v_add_co_ci_u32_e64 v38, null, s13, v42, vcc_lo
	v_add_co_u32 v39, vcc_lo, s12, v39
	v_lshlrev_b64 v[41:42], 3, v[9:10]
	v_add_nc_u32_e32 v9, -9, v7
	v_add_co_ci_u32_e64 v40, null, s13, v40, vcc_lo
	s_clause 0x1
	global_load_dwordx2 v[53:54], v[37:38], off
	global_load_dwordx2 v[55:56], v[39:40], off
	v_lshlrev_b64 v[37:38], 3, v[9:10]
	v_add_nc_u32_e32 v9, -8, v7
	v_add_co_u32 v39, vcc_lo, s12, v41
	v_add_co_ci_u32_e64 v40, null, s13, v42, vcc_lo
	v_lshlrev_b64 v[41:42], 3, v[9:10]
	v_add_co_u32 v37, vcc_lo, s12, v37
	v_add_co_ci_u32_e64 v38, null, s13, v38, vcc_lo
	global_load_dwordx2 v[57:58], v[39:40], off
	v_add_co_u32 v63, vcc_lo, s12, v41
	v_add_co_ci_u32_e64 v64, null, s13, v42, vcc_lo
	global_load_dwordx2 v[61:62], v[37:38], off
	v_add_nc_u32_e32 v9, -7, v7
	v_lshlrev_b64 v[59:60], 3, v[9:10]
	v_add_nc_u32_e32 v9, -6, v7
	s_waitcnt vmcnt(12)
	v_subrev_nc_u32_e32 v8, s2, v8
	v_lshlrev_b32_e32 v12, 3, v8
	v_lshlrev_b64 v[12:13], 3, v[12:13]
	v_add_co_u32 v12, vcc_lo, s14, v12
	v_add_co_ci_u32_e64 v13, null, s15, v13, vcc_lo
	s_clause 0x1
	global_load_dwordx4 v[37:40], v[12:13], off
	global_load_dwordx4 v[41:44], v[12:13], off offset:16
	s_waitcnt vmcnt(1)
	v_fmac_f32_e32 v19, v33, v37
	v_fmac_f32_e32 v20, v35, v37
	;; [unrolled: 1-line block ×5, first 2 shown]
	v_fma_f32 v8, -v34, v38, v19
	v_fma_f32 v65, -v36, v38, v20
	v_lshlrev_b64 v[19:20], 3, v[9:10]
	v_add_nc_u32_e32 v9, -5, v7
	v_fmac_f32_e32 v14, v33, v38
	v_add_co_u32 v33, vcc_lo, s12, v59
	v_add_co_ci_u32_e64 v34, null, s13, v60, vcc_lo
	v_lshlrev_b64 v[59:60], 3, v[9:10]
	v_add_nc_u32_e32 v9, -4, v7
	v_fmac_f32_e32 v15, v30, v37
	v_fmac_f32_e32 v14, v32, v39
	;; [unrolled: 1-line block ×3, first 2 shown]
	s_clause 0x1
	global_load_dwordx2 v[35:36], v[63:64], off
	global_load_dwordx2 v[33:34], v[33:34], off
	v_fma_f32 v63, -v30, v38, v18
	v_fmac_f32_e32 v15, v29, v38
	v_lshlrev_b64 v[29:30], 3, v[9:10]
	v_add_co_u32 v19, vcc_lo, s12, v19
	v_fmac_f32_e32 v8, v31, v39
	v_add_co_ci_u32_e64 v20, null, s13, v20, vcc_lo
	v_add_nc_u32_e32 v9, -3, v7
	v_fmac_f32_e32 v14, v31, v40
	v_add_co_u32 v31, vcc_lo, s12, v59
	v_fma_f32 v64, -v32, v40, v8
	v_add_co_ci_u32_e64 v32, null, s13, v60, vcc_lo
	v_add_co_u32 v18, vcc_lo, s12, v29
	global_load_dwordx2 v[37:38], v[19:20], off
	v_add_co_ci_u32_e64 v19, null, s13, v30, vcc_lo
	v_lshlrev_b64 v[29:30], 3, v[9:10]
	v_add_nc_u32_e32 v9, -2, v7
	v_fmac_f32_e32 v65, v25, v39
	v_fmac_f32_e32 v16, v26, v39
	;; [unrolled: 1-line block ×4, first 2 shown]
	global_load_dwordx2 v[31:32], v[31:32], off
	v_fma_f32 v20, -v26, v40, v65
	v_fmac_f32_e32 v16, v25, v40
	v_lshlrev_b64 v[25:26], 3, v[9:10]
	v_fmac_f32_e32 v15, v27, v40
	v_add_co_u32 v27, vcc_lo, s12, v29
	v_fma_f32 v63, -v28, v40, v63
	v_add_co_ci_u32_e64 v28, null, s13, v30, vcc_lo
	v_add_co_u32 v39, vcc_lo, s12, v25
	global_load_dwordx2 v[29:30], v[18:19], off
	v_add_co_ci_u32_e64 v40, null, s13, v26, vcc_lo
	global_load_dwordx2 v[59:60], v[27:28], off
	global_load_dwordx4 v[25:28], v[12:13], off offset:32
	v_add_nc_u32_e32 v9, -1, v7
	s_waitcnt vmcnt(7)
	v_fmac_f32_e32 v14, v22, v41
	v_fmac_f32_e32 v20, v23, v41
	;; [unrolled: 1-line block ×4, first 2 shown]
	v_lshlrev_b64 v[8:9], 3, v[9:10]
	v_fmac_f32_e32 v14, v21, v42
	v_fma_f32 v24, -v24, v42, v20
	global_load_dwordx4 v[18:21], v[12:13], off offset:48
	v_fmac_f32_e32 v63, v47, v41
	v_fmac_f32_e32 v15, v48, v41
	v_add_co_u32 v8, vcc_lo, s12, v8
	v_add_co_ci_u32_e64 v9, null, s13, v9, vcc_lo
	s_clause 0x1
	global_load_dwordx2 v[12:13], v[39:40], off
	global_load_dwordx2 v[8:9], v[8:9], off
	v_fma_f32 v22, -v22, v42, v64
	v_fmac_f32_e32 v16, v23, v42
	v_fma_f32 v23, -v48, v42, v63
	v_fmac_f32_e32 v15, v47, v42
	v_fmac_f32_e32 v14, v50, v43
	;; [unrolled: 1-line block ×7, first 2 shown]
	v_fma_f32 v22, -v50, v44, v22
	v_fmac_f32_e32 v14, v49, v44
	v_fma_f32 v24, -v52, v44, v24
	v_fmac_f32_e32 v16, v51, v44
	;; [unrolled: 2-line block ×3, first 2 shown]
	v_cmp_ge_i32_e32 vcc_lo, v11, v17
	v_add_nc_u32_e32 v7, 0x180, v7
	s_or_b32 s3, vcc_lo, s3
	s_waitcnt vmcnt(3)
	v_fmac_f32_e32 v22, v55, v25
	v_fmac_f32_e32 v14, v56, v25
	;; [unrolled: 1-line block ×6, first 2 shown]
	v_fma_f32 v22, -v56, v26, v22
	v_fmac_f32_e32 v14, v55, v26
	v_fma_f32 v24, -v58, v26, v24
	v_fmac_f32_e32 v16, v57, v26
	;; [unrolled: 2-line block ×3, first 2 shown]
	v_fmac_f32_e32 v22, v35, v27
	v_fmac_f32_e32 v14, v36, v27
	;; [unrolled: 1-line block ×6, first 2 shown]
	v_fma_f32 v22, -v36, v28, v22
	v_fmac_f32_e32 v14, v35, v28
	v_fma_f32 v24, -v34, v28, v24
	v_fmac_f32_e32 v16, v33, v28
	;; [unrolled: 2-line block ×3, first 2 shown]
	s_waitcnt vmcnt(2)
	v_fmac_f32_e32 v22, v31, v18
	v_fmac_f32_e32 v14, v32, v18
	;; [unrolled: 1-line block ×6, first 2 shown]
	v_fma_f32 v18, -v32, v19, v22
	v_fmac_f32_e32 v14, v31, v19
	v_fma_f32 v22, -v30, v19, v24
	v_fmac_f32_e32 v16, v29, v19
	;; [unrolled: 2-line block ×3, first 2 shown]
	s_waitcnt vmcnt(1)
	v_fmac_f32_e32 v18, v12, v20
	v_fmac_f32_e32 v14, v13, v20
	s_waitcnt vmcnt(0)
	v_fmac_f32_e32 v22, v8, v20
	v_fmac_f32_e32 v16, v9, v20
	v_fmac_f32_e32 v23, v45, v20
	v_fmac_f32_e32 v15, v46, v20
	v_fma_f32 v19, -v13, v21, v18
	v_fmac_f32_e32 v14, v12, v21
	v_fma_f32 v20, -v9, v21, v22
	v_fmac_f32_e32 v16, v8, v21
	;; [unrolled: 2-line block ×3, first 2 shown]
	s_andn2_b32 exec_lo, exec_lo, s3
	s_cbranch_execnz .LBB106_7
; %bb.8:
	s_or_b32 exec_lo, exec_lo, s3
.LBB106_9:
	s_or_b32 exec_lo, exec_lo, s1
	s_cbranch_execz .LBB106_11
	s_branch .LBB106_16
.LBB106_10:
                                        ; implicit-def: $vgpr14
                                        ; implicit-def: $vgpr19
                                        ; implicit-def: $vgpr18
                                        ; implicit-def: $vgpr15
                                        ; implicit-def: $vgpr20
                                        ; implicit-def: $vgpr16
.LBB106_11:
	v_mov_b32_e32 v14, 0
	v_mov_b32_e32 v19, 0
	;; [unrolled: 1-line block ×6, first 2 shown]
	s_and_saveexec_b32 s1, s0
	s_cbranch_execz .LBB106_15
; %bb.12:
	v_mad_u64_u32 v[8:9], null, v6, 24, 23
	v_mov_b32_e32 v11, 0
	v_mov_b32_e32 v14, 0
	;; [unrolled: 1-line block ×7, first 2 shown]
	s_mov_b32 s0, 0
.LBB106_13:                             ; =>This Inner Loop Header: Depth=1
	v_ashrrev_i32_e32 v7, 31, v6
	v_subrev_nc_u32_e32 v10, 23, v8
	v_add_nc_u32_e32 v12, -15, v8
	v_mov_b32_e32 v13, v11
	v_add_nc_u32_e32 v21, -7, v8
	v_lshlrev_b64 v[27:28], 2, v[6:7]
	v_mov_b32_e32 v22, v11
	v_lshlrev_b64 v[23:24], 3, v[10:11]
	v_lshlrev_b64 v[12:13], 3, v[12:13]
	v_mov_b32_e32 v9, v11
	v_add_nc_u32_e32 v10, -14, v8
	v_lshlrev_b64 v[21:22], 3, v[21:22]
	v_add_co_u32 v27, vcc_lo, s10, v27
	v_add_co_ci_u32_e64 v28, null, s11, v28, vcc_lo
	v_add_co_u32 v37, vcc_lo, s12, v23
	v_add_co_ci_u32_e64 v38, null, s13, v24, vcc_lo
	;; [unrolled: 2-line block ×4, first 2 shown]
	global_load_dword v7, v[27:28], off
	s_clause 0x2
	global_load_dwordx4 v[21:24], v[37:38], off
	global_load_dwordx2 v[12:13], v[12:13], off
	global_load_dwordx2 v[39:40], v[33:34], off
	v_lshlrev_b64 v[29:30], 3, v[8:9]
	v_lshlrev_b64 v[31:32], 3, v[10:11]
	v_add_nc_u32_e32 v10, -6, v8
	v_mov_b32_e32 v26, v11
	v_add_nc_u32_e32 v6, 16, v6
	v_add_co_u32 v45, vcc_lo, s12, v29
	v_add_co_ci_u32_e64 v46, null, s13, v30, vcc_lo
	v_lshlrev_b64 v[29:30], 3, v[10:11]
	v_add_nc_u32_e32 v10, -13, v8
	v_add_co_u32 v27, vcc_lo, s12, v31
	v_add_co_ci_u32_e64 v28, null, s13, v32, vcc_lo
	v_add_co_u32 v29, vcc_lo, s12, v29
	v_lshlrev_b64 v[31:32], 3, v[10:11]
	v_add_nc_u32_e32 v10, -5, v8
	v_add_co_ci_u32_e64 v30, null, s13, v30, vcc_lo
	global_load_dwordx2 v[41:42], v[27:28], off
	v_add_co_u32 v47, vcc_lo, s12, v31
	global_load_dwordx2 v[43:44], v[29:30], off
	v_lshlrev_b64 v[27:28], 3, v[10:11]
	v_add_nc_u32_e32 v10, -12, v8
	v_add_co_ci_u32_e64 v48, null, s13, v32, vcc_lo
	v_lshlrev_b64 v[29:30], 3, v[10:11]
	v_add_nc_u32_e32 v10, -4, v8
	v_add_co_u32 v49, vcc_lo, s12, v27
	v_add_co_ci_u32_e64 v50, null, s13, v28, vcc_lo
	v_lshlrev_b64 v[27:28], 3, v[10:11]
	v_add_nc_u32_e32 v10, -11, v8
	v_add_co_u32 v51, vcc_lo, s12, v29
	;; [unrolled: 4-line block ×6, first 2 shown]
	v_add_co_ci_u32_e64 v60, null, s13, v30, vcc_lo
	v_lshlrev_b64 v[9:10], 3, v[10:11]
	v_add_co_u32 v61, vcc_lo, s12, v27
	v_add_co_ci_u32_e64 v62, null, s13, v28, vcc_lo
	v_add_co_u32 v63, vcc_lo, s12, v9
	v_add_co_ci_u32_e64 v64, null, s13, v10, vcc_lo
	s_waitcnt vmcnt(5)
	v_subrev_nc_u32_e32 v7, s2, v7
	v_lshlrev_b32_e32 v25, 3, v7
	v_lshlrev_b64 v[9:10], 3, v[25:26]
	v_add_co_u32 v65, vcc_lo, s14, v9
	v_add_co_ci_u32_e64 v66, null, s15, v10, vcc_lo
	s_clause 0x1
	global_load_dwordx4 v[25:28], v[65:66], off
	global_load_dwordx4 v[29:32], v[65:66], off offset:16
	global_load_dwordx4 v[33:36], v[37:38], off offset:16
	v_add_nc_u32_e32 v10, -1, v8
	s_waitcnt vmcnt(2)
	v_fmac_f32_e32 v19, v21, v25
	v_fmac_f32_e32 v14, v22, v25
	;; [unrolled: 1-line block ×5, first 2 shown]
	v_fma_f32 v9, -v22, v26, v19
	v_fmac_f32_e32 v14, v21, v26
	v_fmac_f32_e32 v15, v40, v25
	v_fma_f32 v7, -v13, v26, v20
	v_fmac_f32_e32 v16, v12, v26
	v_fmac_f32_e32 v9, v23, v27
	;; [unrolled: 1-line block ×3, first 2 shown]
	global_load_dwordx4 v[19:22], v[37:38], off offset:48
	v_fmac_f32_e32 v15, v39, v26
	v_fmac_f32_e32 v7, v41, v27
	v_fma_f32 v67, -v24, v28, v9
	v_fmac_f32_e32 v14, v23, v28
	v_fma_f32 v9, -v40, v26, v18
	s_clause 0x6
	global_load_dwordx4 v[23:26], v[37:38], off offset:32
	global_load_dwordx2 v[12:13], v[47:48], off
	global_load_dwordx2 v[47:48], v[49:50], off
	;; [unrolled: 1-line block ×6, first 2 shown]
	v_lshlrev_b64 v[37:38], 3, v[10:11]
	v_fmac_f32_e32 v16, v42, v27
	v_fmac_f32_e32 v15, v44, v27
	;; [unrolled: 1-line block ×3, first 2 shown]
	v_fma_f32 v7, -v42, v28, v7
	v_add_nc_u32_e32 v10, -8, v8
	v_add_co_u32 v27, vcc_lo, s12, v37
	v_fmac_f32_e32 v16, v41, v28
	v_fma_f32 v18, -v44, v28, v9
	v_fmac_f32_e32 v15, v43, v28
	v_add_co_ci_u32_e64 v28, null, s13, v38, vcc_lo
	global_load_dwordx4 v[37:40], v[65:66], off offset:32
	s_clause 0x3
	global_load_dwordx2 v[57:58], v[59:60], off
	global_load_dwordx2 v[59:60], v[61:62], off
	;; [unrolled: 1-line block ×4, first 2 shown]
	v_lshlrev_b64 v[9:10], 3, v[10:11]
	s_waitcnt vmcnt(13)
	v_fmac_f32_e32 v67, v33, v29
	v_fmac_f32_e32 v14, v34, v29
	v_add_nc_u32_e32 v8, 0x180, v8
	v_add_co_u32 v9, vcc_lo, s12, v9
	v_add_co_ci_u32_e64 v10, null, s13, v10, vcc_lo
	v_fmac_f32_e32 v14, v33, v30
	v_cmp_ge_i32_e32 vcc_lo, v6, v17
	v_fmac_f32_e32 v14, v36, v31
	s_or_b32 s0, vcc_lo, s0
	v_fmac_f32_e32 v14, v35, v32
	s_waitcnt vmcnt(10)
	v_fmac_f32_e32 v7, v12, v29
	v_fmac_f32_e32 v16, v13, v29
	s_waitcnt vmcnt(9)
	v_fmac_f32_e32 v18, v47, v29
	v_fmac_f32_e32 v15, v48, v29
	v_fma_f32 v29, -v34, v30, v67
	v_fma_f32 v7, -v13, v30, v7
	v_fmac_f32_e32 v16, v12, v30
	global_load_dwordx4 v[41:44], v[65:66], off offset:48
	s_clause 0x1
	global_load_dwordx2 v[9:10], v[9:10], off
	global_load_dwordx2 v[12:13], v[45:46], off
	v_fma_f32 v18, -v48, v30, v18
	v_fmac_f32_e32 v15, v47, v30
	v_fmac_f32_e32 v29, v35, v31
	s_waitcnt vmcnt(11)
	v_fmac_f32_e32 v7, v49, v31
	v_fmac_f32_e32 v16, v50, v31
	s_waitcnt vmcnt(10)
	v_fmac_f32_e32 v18, v51, v31
	v_fmac_f32_e32 v15, v52, v31
	v_fma_f32 v29, -v36, v32, v29
	v_fma_f32 v7, -v50, v32, v7
	v_fmac_f32_e32 v16, v49, v32
	v_fma_f32 v18, -v52, v32, v18
	v_fmac_f32_e32 v15, v51, v32
	s_waitcnt vmcnt(7)
	v_fmac_f32_e32 v29, v23, v37
	v_fmac_f32_e32 v14, v24, v37
	;; [unrolled: 1-line block ×6, first 2 shown]
	v_fma_f32 v24, -v24, v38, v29
	v_fmac_f32_e32 v14, v23, v38
	v_fma_f32 v7, -v54, v38, v7
	v_fmac_f32_e32 v16, v53, v38
	v_fma_f32 v18, -v56, v38, v18
	v_fmac_f32_e32 v15, v55, v38
	v_fmac_f32_e32 v24, v25, v39
	v_fmac_f32_e32 v14, v26, v39
	s_waitcnt vmcnt(6)
	v_fmac_f32_e32 v7, v57, v39
	v_fmac_f32_e32 v16, v58, v39
	s_waitcnt vmcnt(5)
	v_fmac_f32_e32 v18, v59, v39
	v_fmac_f32_e32 v15, v60, v39
	v_fma_f32 v23, -v26, v40, v24
	v_fmac_f32_e32 v14, v25, v40
	v_fma_f32 v7, -v58, v40, v7
	;; [unrolled: 2-line block ×3, first 2 shown]
	v_fmac_f32_e32 v15, v59, v40
	s_waitcnt vmcnt(2)
	v_fmac_f32_e32 v23, v19, v41
	v_fmac_f32_e32 v14, v20, v41
	;; [unrolled: 1-line block ×6, first 2 shown]
	v_fma_f32 v20, -v20, v42, v23
	v_fmac_f32_e32 v14, v19, v42
	v_fma_f32 v7, -v62, v42, v7
	v_fmac_f32_e32 v16, v61, v42
	v_fma_f32 v18, -v28, v42, v18
	v_fmac_f32_e32 v15, v27, v42
	v_fmac_f32_e32 v20, v21, v43
	v_fmac_f32_e32 v14, v22, v43
	s_waitcnt vmcnt(1)
	v_fmac_f32_e32 v7, v9, v43
	v_fmac_f32_e32 v16, v10, v43
	s_waitcnt vmcnt(0)
	v_fmac_f32_e32 v18, v12, v43
	v_fmac_f32_e32 v15, v13, v43
	v_fma_f32 v19, -v22, v44, v20
	v_fmac_f32_e32 v14, v21, v44
	v_fma_f32 v20, -v10, v44, v7
	v_fmac_f32_e32 v16, v9, v44
	v_fma_f32 v18, -v13, v44, v18
	v_fmac_f32_e32 v15, v12, v44
	s_andn2_b32 exec_lo, exec_lo, s0
	s_cbranch_execnz .LBB106_13
; %bb.14:
	s_or_b32 exec_lo, exec_lo, s0
.LBB106_15:
	s_or_b32 exec_lo, exec_lo, s1
.LBB106_16:
	v_mbcnt_lo_u32_b32 v6, -1, 0
	v_xor_b32_e32 v7, 8, v6
	v_xor_b32_e32 v13, 4, v6
	v_cmp_gt_i32_e32 vcc_lo, 32, v7
	v_cndmask_b32_e32 v7, v6, v7, vcc_lo
	v_cmp_gt_i32_e32 vcc_lo, 32, v13
	v_lshlrev_b32_e32 v7, 2, v7
	v_cndmask_b32_e32 v13, v6, v13, vcc_lo
	ds_bpermute_b32 v8, v7, v19
	ds_bpermute_b32 v9, v7, v14
	;; [unrolled: 1-line block ×6, first 2 shown]
	v_lshlrev_b32_e32 v13, 2, v13
	s_waitcnt lgkmcnt(5)
	v_add_f32_e32 v8, v19, v8
	s_waitcnt lgkmcnt(4)
	v_add_f32_e32 v9, v14, v9
	s_waitcnt lgkmcnt(3)
	v_add_f32_e32 v10, v20, v10
	s_waitcnt lgkmcnt(2)
	v_add_f32_e32 v11, v16, v11
	s_waitcnt lgkmcnt(1)
	v_add_f32_e32 v12, v18, v12
	s_waitcnt lgkmcnt(0)
	v_add_f32_e32 v7, v15, v7
	ds_bpermute_b32 v14, v13, v8
	ds_bpermute_b32 v15, v13, v9
	ds_bpermute_b32 v16, v13, v10
	ds_bpermute_b32 v17, v13, v11
	ds_bpermute_b32 v18, v13, v12
	ds_bpermute_b32 v13, v13, v7
	v_xor_b32_e32 v19, 2, v6
	v_cmp_gt_i32_e32 vcc_lo, 32, v19
	v_cndmask_b32_e32 v19, v6, v19, vcc_lo
	s_waitcnt lgkmcnt(5)
	v_add_f32_e32 v8, v8, v14
	v_lshlrev_b32_e32 v19, 2, v19
	s_waitcnt lgkmcnt(4)
	v_add_f32_e32 v9, v9, v15
	s_waitcnt lgkmcnt(3)
	v_add_f32_e32 v10, v10, v16
	s_waitcnt lgkmcnt(2)
	v_add_f32_e32 v14, v11, v17
	s_waitcnt lgkmcnt(1)
	v_add_f32_e32 v15, v12, v18
	s_waitcnt lgkmcnt(0)
	v_add_f32_e32 v13, v7, v13
	ds_bpermute_b32 v7, v19, v8
	ds_bpermute_b32 v11, v19, v9
	ds_bpermute_b32 v12, v19, v10
	ds_bpermute_b32 v16, v19, v14
	ds_bpermute_b32 v17, v19, v15
	ds_bpermute_b32 v18, v19, v13
	v_xor_b32_e32 v19, 1, v6
	v_cmp_gt_i32_e32 vcc_lo, 32, v19
	v_cndmask_b32_e32 v6, v6, v19, vcc_lo
	v_cmp_eq_u32_e32 vcc_lo, 15, v0
	v_lshlrev_b32_e32 v19, 2, v6
	s_waitcnt lgkmcnt(5)
	v_add_f32_e32 v6, v8, v7
	s_waitcnt lgkmcnt(4)
	v_add_f32_e32 v9, v9, v11
	s_waitcnt lgkmcnt(3)
	v_add_f32_e32 v11, v10, v12
	s_waitcnt lgkmcnt(2)
	v_add_f32_e32 v12, v14, v16
	s_waitcnt lgkmcnt(1)
	v_add_f32_e32 v7, v15, v17
	s_waitcnt lgkmcnt(0)
	v_add_f32_e32 v8, v13, v18
	ds_bpermute_b32 v10, v19, v6
	ds_bpermute_b32 v15, v19, v9
	;; [unrolled: 1-line block ×6, first 2 shown]
	s_and_b32 exec_lo, exec_lo, vcc_lo
	s_cbranch_execz .LBB106_21
; %bb.17:
	s_load_dwordx2 s[2:3], s[4:5], 0x38
	v_cmp_eq_f32_e32 vcc_lo, 0, v3
	v_cmp_eq_f32_e64 s0, 0, v4
	s_waitcnt lgkmcnt(0)
	v_add_f32_e32 v0, v6, v10
	v_add_f32_e32 v10, v9, v15
	v_add_f32_e32 v6, v11, v16
	v_add_f32_e32 v9, v12, v17
	v_add_f32_e32 v7, v7, v13
	v_add_f32_e32 v8, v8, v14
	s_and_b32 s0, vcc_lo, s0
	s_and_saveexec_b32 s1, s0
	s_xor_b32 s0, exec_lo, s1
	s_cbranch_execz .LBB106_19
; %bb.18:
	v_lshl_add_u32 v3, v5, 1, v5
	v_mul_f32_e64 v11, v10, -v2
	v_mul_f32_e32 v12, v1, v10
	v_mul_f32_e64 v13, v9, -v2
	v_mul_f32_e32 v14, v1, v9
	v_ashrrev_i32_e32 v4, 31, v3
	v_mul_f32_e64 v9, v8, -v2
	v_mul_f32_e32 v10, v1, v8
	v_fmac_f32_e32 v11, v1, v0
	v_fmac_f32_e32 v12, v2, v0
	v_lshlrev_b64 v[3:4], 3, v[3:4]
	v_fmac_f32_e32 v13, v1, v6
	v_fmac_f32_e32 v14, v2, v6
	;; [unrolled: 1-line block ×4, first 2 shown]
                                        ; implicit-def: $vgpr5
                                        ; implicit-def: $vgpr0
                                        ; implicit-def: $vgpr6
                                        ; implicit-def: $vgpr7
                                        ; implicit-def: $vgpr8
                                        ; implicit-def: $vgpr1_vgpr2
	v_add_co_u32 v3, vcc_lo, s2, v3
	v_add_co_ci_u32_e64 v4, null, s3, v4, vcc_lo
	global_store_dwordx4 v[3:4], v[11:14], off
	global_store_dwordx2 v[3:4], v[9:10], off offset:16
                                        ; implicit-def: $vgpr10
                                        ; implicit-def: $vgpr9
                                        ; implicit-def: $vgpr3_vgpr4
.LBB106_19:
	s_andn2_saveexec_b32 s0, s0
	s_cbranch_execz .LBB106_21
; %bb.20:
	v_lshl_add_u32 v11, v5, 1, v5
	v_mul_f32_e64 v15, v10, -v2
	v_mul_f32_e32 v16, v1, v10
	v_mul_f32_e64 v10, v9, -v2
	v_mul_f32_e32 v18, v1, v9
	v_ashrrev_i32_e32 v12, 31, v11
	v_mul_f32_e64 v9, v8, -v2
	v_mul_f32_e32 v5, v1, v8
	v_fmac_f32_e32 v15, v1, v0
	v_fmac_f32_e32 v16, v2, v0
	v_lshlrev_b64 v[11:12], 3, v[11:12]
	v_fmac_f32_e32 v10, v1, v6
	v_fmac_f32_e32 v18, v2, v6
	;; [unrolled: 1-line block ×4, first 2 shown]
	v_add_co_u32 v19, vcc_lo, s2, v11
	v_add_co_ci_u32_e64 v20, null, s3, v12, vcc_lo
	s_clause 0x1
	global_load_dwordx4 v[11:14], v[19:20], off
	global_load_dwordx2 v[21:22], v[19:20], off offset:16
	s_waitcnt vmcnt(1)
	v_fmac_f32_e32 v15, v3, v11
	v_fmac_f32_e32 v16, v4, v11
	;; [unrolled: 1-line block ×4, first 2 shown]
	s_waitcnt vmcnt(0)
	v_fmac_f32_e32 v9, v3, v21
	v_fmac_f32_e32 v5, v4, v21
	v_fma_f32 v15, -v4, v12, v15
	v_fmac_f32_e32 v16, v3, v12
	v_fma_f32 v17, -v4, v14, v10
	;; [unrolled: 2-line block ×3, first 2 shown]
	v_fmac_f32_e32 v5, v3, v22
	global_store_dwordx4 v[19:20], v[15:18], off
	global_store_dwordx2 v[19:20], v[4:5], off offset:16
.LBB106_21:
	s_endpgm
	.section	.rodata,"a",@progbits
	.p2align	6, 0x0
	.amdhsa_kernel _ZN9rocsparseL19gebsrmvn_3xn_kernelILj128ELj8ELj16E21rocsparse_complex_numIfEEEvi20rocsparse_direction_NS_24const_host_device_scalarIT2_EEPKiS8_PKS5_SA_S6_PS5_21rocsparse_index_base_b
		.amdhsa_group_segment_fixed_size 0
		.amdhsa_private_segment_fixed_size 0
		.amdhsa_kernarg_size 72
		.amdhsa_user_sgpr_count 6
		.amdhsa_user_sgpr_private_segment_buffer 1
		.amdhsa_user_sgpr_dispatch_ptr 0
		.amdhsa_user_sgpr_queue_ptr 0
		.amdhsa_user_sgpr_kernarg_segment_ptr 1
		.amdhsa_user_sgpr_dispatch_id 0
		.amdhsa_user_sgpr_flat_scratch_init 0
		.amdhsa_user_sgpr_private_segment_size 0
		.amdhsa_wavefront_size32 1
		.amdhsa_uses_dynamic_stack 0
		.amdhsa_system_sgpr_private_segment_wavefront_offset 0
		.amdhsa_system_sgpr_workgroup_id_x 1
		.amdhsa_system_sgpr_workgroup_id_y 0
		.amdhsa_system_sgpr_workgroup_id_z 0
		.amdhsa_system_sgpr_workgroup_info 0
		.amdhsa_system_vgpr_workitem_id 0
		.amdhsa_next_free_vgpr 68
		.amdhsa_next_free_sgpr 16
		.amdhsa_reserve_vcc 1
		.amdhsa_reserve_flat_scratch 0
		.amdhsa_float_round_mode_32 0
		.amdhsa_float_round_mode_16_64 0
		.amdhsa_float_denorm_mode_32 3
		.amdhsa_float_denorm_mode_16_64 3
		.amdhsa_dx10_clamp 1
		.amdhsa_ieee_mode 1
		.amdhsa_fp16_overflow 0
		.amdhsa_workgroup_processor_mode 1
		.amdhsa_memory_ordered 1
		.amdhsa_forward_progress 1
		.amdhsa_shared_vgpr_count 0
		.amdhsa_exception_fp_ieee_invalid_op 0
		.amdhsa_exception_fp_denorm_src 0
		.amdhsa_exception_fp_ieee_div_zero 0
		.amdhsa_exception_fp_ieee_overflow 0
		.amdhsa_exception_fp_ieee_underflow 0
		.amdhsa_exception_fp_ieee_inexact 0
		.amdhsa_exception_int_div_zero 0
	.end_amdhsa_kernel
	.section	.text._ZN9rocsparseL19gebsrmvn_3xn_kernelILj128ELj8ELj16E21rocsparse_complex_numIfEEEvi20rocsparse_direction_NS_24const_host_device_scalarIT2_EEPKiS8_PKS5_SA_S6_PS5_21rocsparse_index_base_b,"axG",@progbits,_ZN9rocsparseL19gebsrmvn_3xn_kernelILj128ELj8ELj16E21rocsparse_complex_numIfEEEvi20rocsparse_direction_NS_24const_host_device_scalarIT2_EEPKiS8_PKS5_SA_S6_PS5_21rocsparse_index_base_b,comdat
.Lfunc_end106:
	.size	_ZN9rocsparseL19gebsrmvn_3xn_kernelILj128ELj8ELj16E21rocsparse_complex_numIfEEEvi20rocsparse_direction_NS_24const_host_device_scalarIT2_EEPKiS8_PKS5_SA_S6_PS5_21rocsparse_index_base_b, .Lfunc_end106-_ZN9rocsparseL19gebsrmvn_3xn_kernelILj128ELj8ELj16E21rocsparse_complex_numIfEEEvi20rocsparse_direction_NS_24const_host_device_scalarIT2_EEPKiS8_PKS5_SA_S6_PS5_21rocsparse_index_base_b
                                        ; -- End function
	.set _ZN9rocsparseL19gebsrmvn_3xn_kernelILj128ELj8ELj16E21rocsparse_complex_numIfEEEvi20rocsparse_direction_NS_24const_host_device_scalarIT2_EEPKiS8_PKS5_SA_S6_PS5_21rocsparse_index_base_b.num_vgpr, 68
	.set _ZN9rocsparseL19gebsrmvn_3xn_kernelILj128ELj8ELj16E21rocsparse_complex_numIfEEEvi20rocsparse_direction_NS_24const_host_device_scalarIT2_EEPKiS8_PKS5_SA_S6_PS5_21rocsparse_index_base_b.num_agpr, 0
	.set _ZN9rocsparseL19gebsrmvn_3xn_kernelILj128ELj8ELj16E21rocsparse_complex_numIfEEEvi20rocsparse_direction_NS_24const_host_device_scalarIT2_EEPKiS8_PKS5_SA_S6_PS5_21rocsparse_index_base_b.numbered_sgpr, 16
	.set _ZN9rocsparseL19gebsrmvn_3xn_kernelILj128ELj8ELj16E21rocsparse_complex_numIfEEEvi20rocsparse_direction_NS_24const_host_device_scalarIT2_EEPKiS8_PKS5_SA_S6_PS5_21rocsparse_index_base_b.num_named_barrier, 0
	.set _ZN9rocsparseL19gebsrmvn_3xn_kernelILj128ELj8ELj16E21rocsparse_complex_numIfEEEvi20rocsparse_direction_NS_24const_host_device_scalarIT2_EEPKiS8_PKS5_SA_S6_PS5_21rocsparse_index_base_b.private_seg_size, 0
	.set _ZN9rocsparseL19gebsrmvn_3xn_kernelILj128ELj8ELj16E21rocsparse_complex_numIfEEEvi20rocsparse_direction_NS_24const_host_device_scalarIT2_EEPKiS8_PKS5_SA_S6_PS5_21rocsparse_index_base_b.uses_vcc, 1
	.set _ZN9rocsparseL19gebsrmvn_3xn_kernelILj128ELj8ELj16E21rocsparse_complex_numIfEEEvi20rocsparse_direction_NS_24const_host_device_scalarIT2_EEPKiS8_PKS5_SA_S6_PS5_21rocsparse_index_base_b.uses_flat_scratch, 0
	.set _ZN9rocsparseL19gebsrmvn_3xn_kernelILj128ELj8ELj16E21rocsparse_complex_numIfEEEvi20rocsparse_direction_NS_24const_host_device_scalarIT2_EEPKiS8_PKS5_SA_S6_PS5_21rocsparse_index_base_b.has_dyn_sized_stack, 0
	.set _ZN9rocsparseL19gebsrmvn_3xn_kernelILj128ELj8ELj16E21rocsparse_complex_numIfEEEvi20rocsparse_direction_NS_24const_host_device_scalarIT2_EEPKiS8_PKS5_SA_S6_PS5_21rocsparse_index_base_b.has_recursion, 0
	.set _ZN9rocsparseL19gebsrmvn_3xn_kernelILj128ELj8ELj16E21rocsparse_complex_numIfEEEvi20rocsparse_direction_NS_24const_host_device_scalarIT2_EEPKiS8_PKS5_SA_S6_PS5_21rocsparse_index_base_b.has_indirect_call, 0
	.section	.AMDGPU.csdata,"",@progbits
; Kernel info:
; codeLenInByte = 3900
; TotalNumSgprs: 18
; NumVgprs: 68
; ScratchSize: 0
; MemoryBound: 0
; FloatMode: 240
; IeeeMode: 1
; LDSByteSize: 0 bytes/workgroup (compile time only)
; SGPRBlocks: 0
; VGPRBlocks: 8
; NumSGPRsForWavesPerEU: 18
; NumVGPRsForWavesPerEU: 68
; Occupancy: 12
; WaveLimiterHint : 1
; COMPUTE_PGM_RSRC2:SCRATCH_EN: 0
; COMPUTE_PGM_RSRC2:USER_SGPR: 6
; COMPUTE_PGM_RSRC2:TRAP_HANDLER: 0
; COMPUTE_PGM_RSRC2:TGID_X_EN: 1
; COMPUTE_PGM_RSRC2:TGID_Y_EN: 0
; COMPUTE_PGM_RSRC2:TGID_Z_EN: 0
; COMPUTE_PGM_RSRC2:TIDIG_COMP_CNT: 0
	.section	.text._ZN9rocsparseL19gebsrmvn_3xn_kernelILj128ELj8ELj32E21rocsparse_complex_numIfEEEvi20rocsparse_direction_NS_24const_host_device_scalarIT2_EEPKiS8_PKS5_SA_S6_PS5_21rocsparse_index_base_b,"axG",@progbits,_ZN9rocsparseL19gebsrmvn_3xn_kernelILj128ELj8ELj32E21rocsparse_complex_numIfEEEvi20rocsparse_direction_NS_24const_host_device_scalarIT2_EEPKiS8_PKS5_SA_S6_PS5_21rocsparse_index_base_b,comdat
	.globl	_ZN9rocsparseL19gebsrmvn_3xn_kernelILj128ELj8ELj32E21rocsparse_complex_numIfEEEvi20rocsparse_direction_NS_24const_host_device_scalarIT2_EEPKiS8_PKS5_SA_S6_PS5_21rocsparse_index_base_b ; -- Begin function _ZN9rocsparseL19gebsrmvn_3xn_kernelILj128ELj8ELj32E21rocsparse_complex_numIfEEEvi20rocsparse_direction_NS_24const_host_device_scalarIT2_EEPKiS8_PKS5_SA_S6_PS5_21rocsparse_index_base_b
	.p2align	8
	.type	_ZN9rocsparseL19gebsrmvn_3xn_kernelILj128ELj8ELj32E21rocsparse_complex_numIfEEEvi20rocsparse_direction_NS_24const_host_device_scalarIT2_EEPKiS8_PKS5_SA_S6_PS5_21rocsparse_index_base_b,@function
_ZN9rocsparseL19gebsrmvn_3xn_kernelILj128ELj8ELj32E21rocsparse_complex_numIfEEEvi20rocsparse_direction_NS_24const_host_device_scalarIT2_EEPKiS8_PKS5_SA_S6_PS5_21rocsparse_index_base_b: ; @_ZN9rocsparseL19gebsrmvn_3xn_kernelILj128ELj8ELj32E21rocsparse_complex_numIfEEEvi20rocsparse_direction_NS_24const_host_device_scalarIT2_EEPKiS8_PKS5_SA_S6_PS5_21rocsparse_index_base_b
; %bb.0:
	s_clause 0x2
	s_load_dwordx2 s[2:3], s[4:5], 0x40
	s_load_dwordx2 s[0:1], s[4:5], 0x8
	;; [unrolled: 1-line block ×3, first 2 shown]
	s_add_u32 s7, s4, 8
	s_addc_u32 s10, s5, 0
	s_add_u32 s11, s4, 48
	s_addc_u32 s12, s5, 0
	s_waitcnt lgkmcnt(0)
	s_bitcmp1_b32 s3, 0
	s_cselect_b32 s0, s7, s0
	s_cselect_b32 s1, s10, s1
	v_mov_b32_e32 v1, s0
	v_mov_b32_e32 v2, s1
	s_cselect_b32 s0, s11, s8
	s_cselect_b32 s1, s12, s9
	v_mov_b32_e32 v3, s0
	v_mov_b32_e32 v4, s1
	flat_load_dwordx2 v[1:2], v[1:2]
	flat_load_dwordx2 v[3:4], v[3:4]
	s_waitcnt vmcnt(1) lgkmcnt(1)
	v_cmp_eq_f32_e32 vcc_lo, 0, v1
	v_cmp_eq_f32_e64 s0, 0, v2
	s_and_b32 s3, vcc_lo, s0
	s_mov_b32 s0, -1
	s_and_saveexec_b32 s1, s3
	s_cbranch_execz .LBB107_2
; %bb.1:
	s_waitcnt vmcnt(0) lgkmcnt(0)
	v_cmp_neq_f32_e32 vcc_lo, 1.0, v3
	v_cmp_neq_f32_e64 s0, 0, v4
	s_or_b32 s0, vcc_lo, s0
	s_orn2_b32 s0, s0, exec_lo
.LBB107_2:
	s_or_b32 exec_lo, exec_lo, s1
	s_and_saveexec_b32 s1, s0
	s_cbranch_execz .LBB107_21
; %bb.3:
	s_load_dwordx2 s[0:1], s[4:5], 0x0
	v_lshrrev_b32_e32 v5, 5, v0
	v_lshl_or_b32 v5, s6, 2, v5
	s_waitcnt lgkmcnt(0)
	v_cmp_gt_i32_e32 vcc_lo, s0, v5
	s_and_b32 exec_lo, exec_lo, vcc_lo
	s_cbranch_execz .LBB107_21
; %bb.4:
	s_load_dwordx8 s[8:15], s[4:5], 0x10
	v_ashrrev_i32_e32 v6, 31, v5
	v_and_b32_e32 v0, 31, v0
	s_cmp_lg_u32 s1, 0
	v_lshlrev_b64 v[6:7], 2, v[5:6]
	s_waitcnt lgkmcnt(0)
	v_add_co_u32 v6, vcc_lo, s8, v6
	v_add_co_ci_u32_e64 v7, null, s9, v7, vcc_lo
	global_load_dwordx2 v[6:7], v[6:7], off
	s_waitcnt vmcnt(0)
	v_subrev_nc_u32_e32 v6, s2, v6
	v_subrev_nc_u32_e32 v17, s2, v7
	v_add_nc_u32_e32 v6, v6, v0
	v_cmp_lt_i32_e64 s0, v6, v17
	s_cbranch_scc0 .LBB107_10
; %bb.5:
	v_mov_b32_e32 v14, 0
	v_mov_b32_e32 v19, 0
	;; [unrolled: 1-line block ×6, first 2 shown]
	s_and_saveexec_b32 s1, s0
	s_cbranch_execz .LBB107_9
; %bb.6:
	v_mad_u64_u32 v[7:8], null, v6, 24, 23
	v_mov_b32_e32 v10, 0
	v_mov_b32_e32 v11, v6
	;; [unrolled: 1-line block ×8, first 2 shown]
	s_mov_b32 s3, 0
.LBB107_7:                              ; =>This Inner Loop Header: Depth=1
	v_ashrrev_i32_e32 v12, 31, v11
	v_subrev_nc_u32_e32 v9, 23, v7
	v_mov_b32_e32 v8, v10
	v_mov_b32_e32 v13, v10
	v_lshlrev_b64 v[23:24], 2, v[11:12]
	v_lshlrev_b64 v[21:22], 3, v[9:10]
	;; [unrolled: 1-line block ×3, first 2 shown]
	v_add_nc_u32_e32 v9, -15, v7
	v_add_nc_u32_e32 v11, 32, v11
	v_add_co_u32 v23, vcc_lo, s10, v23
	v_add_co_ci_u32_e64 v24, null, s11, v24, vcc_lo
	v_add_co_u32 v33, vcc_lo, s12, v21
	v_add_co_ci_u32_e64 v34, null, s13, v22, vcc_lo
	;; [unrolled: 2-line block ×3, first 2 shown]
	global_load_dword v8, v[23:24], off
	s_clause 0x1
	global_load_dwordx4 v[21:24], v[33:34], off offset:48
	global_load_dwordx4 v[25:28], v[33:34], off offset:32
	v_lshlrev_b64 v[29:30], 3, v[9:10]
	v_add_nc_u32_e32 v9, -14, v7
	v_lshlrev_b64 v[39:40], 3, v[9:10]
	v_add_nc_u32_e32 v9, -13, v7
	v_add_co_u32 v41, vcc_lo, s12, v29
	v_add_co_ci_u32_e64 v42, null, s13, v30, vcc_lo
	s_clause 0x2
	global_load_dwordx4 v[29:32], v[33:34], off offset:16
	global_load_dwordx4 v[33:36], v[33:34], off
	global_load_dwordx2 v[45:46], v[37:38], off
	v_lshlrev_b64 v[37:38], 3, v[9:10]
	v_add_co_u32 v39, vcc_lo, s12, v39
	v_add_nc_u32_e32 v9, -12, v7
	v_add_co_ci_u32_e64 v40, null, s13, v40, vcc_lo
	v_add_co_u32 v37, vcc_lo, s12, v37
	s_clause 0x1
	global_load_dwordx2 v[47:48], v[41:42], off
	global_load_dwordx2 v[49:50], v[39:40], off
	v_lshlrev_b64 v[41:42], 3, v[9:10]
	v_add_nc_u32_e32 v9, -11, v7
	v_add_co_ci_u32_e64 v38, null, s13, v38, vcc_lo
	global_load_dwordx2 v[51:52], v[37:38], off
	v_lshlrev_b64 v[39:40], 3, v[9:10]
	v_add_nc_u32_e32 v9, -10, v7
	v_add_co_u32 v37, vcc_lo, s12, v41
	v_add_co_ci_u32_e64 v38, null, s13, v42, vcc_lo
	v_add_co_u32 v39, vcc_lo, s12, v39
	v_lshlrev_b64 v[41:42], 3, v[9:10]
	v_add_nc_u32_e32 v9, -9, v7
	v_add_co_ci_u32_e64 v40, null, s13, v40, vcc_lo
	s_clause 0x1
	global_load_dwordx2 v[53:54], v[37:38], off
	global_load_dwordx2 v[55:56], v[39:40], off
	v_lshlrev_b64 v[37:38], 3, v[9:10]
	v_add_nc_u32_e32 v9, -8, v7
	v_add_co_u32 v39, vcc_lo, s12, v41
	v_add_co_ci_u32_e64 v40, null, s13, v42, vcc_lo
	v_lshlrev_b64 v[41:42], 3, v[9:10]
	v_add_co_u32 v37, vcc_lo, s12, v37
	v_add_co_ci_u32_e64 v38, null, s13, v38, vcc_lo
	global_load_dwordx2 v[57:58], v[39:40], off
	v_add_co_u32 v63, vcc_lo, s12, v41
	v_add_co_ci_u32_e64 v64, null, s13, v42, vcc_lo
	global_load_dwordx2 v[61:62], v[37:38], off
	v_add_nc_u32_e32 v9, -7, v7
	v_lshlrev_b64 v[59:60], 3, v[9:10]
	v_add_nc_u32_e32 v9, -6, v7
	s_waitcnt vmcnt(12)
	v_subrev_nc_u32_e32 v8, s2, v8
	v_lshlrev_b32_e32 v12, 3, v8
	v_lshlrev_b64 v[12:13], 3, v[12:13]
	v_add_co_u32 v12, vcc_lo, s14, v12
	v_add_co_ci_u32_e64 v13, null, s15, v13, vcc_lo
	s_clause 0x1
	global_load_dwordx4 v[37:40], v[12:13], off
	global_load_dwordx4 v[41:44], v[12:13], off offset:16
	s_waitcnt vmcnt(1)
	v_fmac_f32_e32 v19, v33, v37
	v_fmac_f32_e32 v20, v35, v37
	;; [unrolled: 1-line block ×5, first 2 shown]
	v_fma_f32 v8, -v34, v38, v19
	v_fma_f32 v65, -v36, v38, v20
	v_lshlrev_b64 v[19:20], 3, v[9:10]
	v_add_nc_u32_e32 v9, -5, v7
	v_fmac_f32_e32 v14, v33, v38
	v_add_co_u32 v33, vcc_lo, s12, v59
	v_add_co_ci_u32_e64 v34, null, s13, v60, vcc_lo
	v_lshlrev_b64 v[59:60], 3, v[9:10]
	v_add_nc_u32_e32 v9, -4, v7
	v_fmac_f32_e32 v15, v30, v37
	v_fmac_f32_e32 v14, v32, v39
	;; [unrolled: 1-line block ×3, first 2 shown]
	s_clause 0x1
	global_load_dwordx2 v[35:36], v[63:64], off
	global_load_dwordx2 v[33:34], v[33:34], off
	v_fma_f32 v63, -v30, v38, v18
	v_fmac_f32_e32 v15, v29, v38
	v_lshlrev_b64 v[29:30], 3, v[9:10]
	v_add_co_u32 v19, vcc_lo, s12, v19
	v_fmac_f32_e32 v8, v31, v39
	v_add_co_ci_u32_e64 v20, null, s13, v20, vcc_lo
	v_add_nc_u32_e32 v9, -3, v7
	v_fmac_f32_e32 v14, v31, v40
	v_add_co_u32 v31, vcc_lo, s12, v59
	v_fma_f32 v64, -v32, v40, v8
	v_add_co_ci_u32_e64 v32, null, s13, v60, vcc_lo
	v_add_co_u32 v18, vcc_lo, s12, v29
	global_load_dwordx2 v[37:38], v[19:20], off
	v_add_co_ci_u32_e64 v19, null, s13, v30, vcc_lo
	v_lshlrev_b64 v[29:30], 3, v[9:10]
	v_add_nc_u32_e32 v9, -2, v7
	v_fmac_f32_e32 v65, v25, v39
	v_fmac_f32_e32 v16, v26, v39
	;; [unrolled: 1-line block ×4, first 2 shown]
	global_load_dwordx2 v[31:32], v[31:32], off
	v_fma_f32 v20, -v26, v40, v65
	v_fmac_f32_e32 v16, v25, v40
	v_lshlrev_b64 v[25:26], 3, v[9:10]
	v_fmac_f32_e32 v15, v27, v40
	v_add_co_u32 v27, vcc_lo, s12, v29
	v_fma_f32 v63, -v28, v40, v63
	v_add_co_ci_u32_e64 v28, null, s13, v30, vcc_lo
	v_add_co_u32 v39, vcc_lo, s12, v25
	global_load_dwordx2 v[29:30], v[18:19], off
	v_add_co_ci_u32_e64 v40, null, s13, v26, vcc_lo
	global_load_dwordx2 v[59:60], v[27:28], off
	global_load_dwordx4 v[25:28], v[12:13], off offset:32
	v_add_nc_u32_e32 v9, -1, v7
	s_waitcnt vmcnt(7)
	v_fmac_f32_e32 v14, v22, v41
	v_fmac_f32_e32 v20, v23, v41
	;; [unrolled: 1-line block ×4, first 2 shown]
	v_lshlrev_b64 v[8:9], 3, v[9:10]
	v_fmac_f32_e32 v14, v21, v42
	v_fma_f32 v24, -v24, v42, v20
	global_load_dwordx4 v[18:21], v[12:13], off offset:48
	v_fmac_f32_e32 v63, v47, v41
	v_fmac_f32_e32 v15, v48, v41
	v_add_co_u32 v8, vcc_lo, s12, v8
	v_add_co_ci_u32_e64 v9, null, s13, v9, vcc_lo
	s_clause 0x1
	global_load_dwordx2 v[12:13], v[39:40], off
	global_load_dwordx2 v[8:9], v[8:9], off
	v_fma_f32 v22, -v22, v42, v64
	v_fmac_f32_e32 v16, v23, v42
	v_fma_f32 v23, -v48, v42, v63
	v_fmac_f32_e32 v15, v47, v42
	v_fmac_f32_e32 v14, v50, v43
	;; [unrolled: 1-line block ×7, first 2 shown]
	v_fma_f32 v22, -v50, v44, v22
	v_fmac_f32_e32 v14, v49, v44
	v_fma_f32 v24, -v52, v44, v24
	v_fmac_f32_e32 v16, v51, v44
	;; [unrolled: 2-line block ×3, first 2 shown]
	v_cmp_ge_i32_e32 vcc_lo, v11, v17
	v_add_nc_u32_e32 v7, 0x300, v7
	s_or_b32 s3, vcc_lo, s3
	s_waitcnt vmcnt(3)
	v_fmac_f32_e32 v22, v55, v25
	v_fmac_f32_e32 v14, v56, v25
	;; [unrolled: 1-line block ×6, first 2 shown]
	v_fma_f32 v22, -v56, v26, v22
	v_fmac_f32_e32 v14, v55, v26
	v_fma_f32 v24, -v58, v26, v24
	v_fmac_f32_e32 v16, v57, v26
	;; [unrolled: 2-line block ×3, first 2 shown]
	v_fmac_f32_e32 v22, v35, v27
	v_fmac_f32_e32 v14, v36, v27
	;; [unrolled: 1-line block ×6, first 2 shown]
	v_fma_f32 v22, -v36, v28, v22
	v_fmac_f32_e32 v14, v35, v28
	v_fma_f32 v24, -v34, v28, v24
	v_fmac_f32_e32 v16, v33, v28
	;; [unrolled: 2-line block ×3, first 2 shown]
	s_waitcnt vmcnt(2)
	v_fmac_f32_e32 v22, v31, v18
	v_fmac_f32_e32 v14, v32, v18
	;; [unrolled: 1-line block ×6, first 2 shown]
	v_fma_f32 v18, -v32, v19, v22
	v_fmac_f32_e32 v14, v31, v19
	v_fma_f32 v22, -v30, v19, v24
	v_fmac_f32_e32 v16, v29, v19
	;; [unrolled: 2-line block ×3, first 2 shown]
	s_waitcnt vmcnt(1)
	v_fmac_f32_e32 v18, v12, v20
	v_fmac_f32_e32 v14, v13, v20
	s_waitcnt vmcnt(0)
	v_fmac_f32_e32 v22, v8, v20
	v_fmac_f32_e32 v16, v9, v20
	;; [unrolled: 1-line block ×4, first 2 shown]
	v_fma_f32 v19, -v13, v21, v18
	v_fmac_f32_e32 v14, v12, v21
	v_fma_f32 v20, -v9, v21, v22
	v_fmac_f32_e32 v16, v8, v21
	;; [unrolled: 2-line block ×3, first 2 shown]
	s_andn2_b32 exec_lo, exec_lo, s3
	s_cbranch_execnz .LBB107_7
; %bb.8:
	s_or_b32 exec_lo, exec_lo, s3
.LBB107_9:
	s_or_b32 exec_lo, exec_lo, s1
	s_cbranch_execz .LBB107_11
	s_branch .LBB107_16
.LBB107_10:
                                        ; implicit-def: $vgpr14
                                        ; implicit-def: $vgpr19
                                        ; implicit-def: $vgpr18
                                        ; implicit-def: $vgpr15
                                        ; implicit-def: $vgpr20
                                        ; implicit-def: $vgpr16
.LBB107_11:
	v_mov_b32_e32 v14, 0
	v_mov_b32_e32 v19, 0
	;; [unrolled: 1-line block ×6, first 2 shown]
	s_and_saveexec_b32 s1, s0
	s_cbranch_execz .LBB107_15
; %bb.12:
	v_mad_u64_u32 v[8:9], null, v6, 24, 23
	v_mov_b32_e32 v11, 0
	v_mov_b32_e32 v14, 0
	;; [unrolled: 1-line block ×7, first 2 shown]
	s_mov_b32 s0, 0
.LBB107_13:                             ; =>This Inner Loop Header: Depth=1
	v_ashrrev_i32_e32 v7, 31, v6
	v_subrev_nc_u32_e32 v10, 23, v8
	v_add_nc_u32_e32 v12, -15, v8
	v_mov_b32_e32 v13, v11
	v_add_nc_u32_e32 v21, -7, v8
	v_lshlrev_b64 v[27:28], 2, v[6:7]
	v_mov_b32_e32 v22, v11
	v_lshlrev_b64 v[23:24], 3, v[10:11]
	v_lshlrev_b64 v[12:13], 3, v[12:13]
	v_mov_b32_e32 v9, v11
	v_add_nc_u32_e32 v10, -14, v8
	v_lshlrev_b64 v[21:22], 3, v[21:22]
	v_add_co_u32 v27, vcc_lo, s10, v27
	v_add_co_ci_u32_e64 v28, null, s11, v28, vcc_lo
	v_add_co_u32 v37, vcc_lo, s12, v23
	v_add_co_ci_u32_e64 v38, null, s13, v24, vcc_lo
	;; [unrolled: 2-line block ×4, first 2 shown]
	global_load_dword v7, v[27:28], off
	s_clause 0x2
	global_load_dwordx4 v[21:24], v[37:38], off
	global_load_dwordx2 v[12:13], v[12:13], off
	global_load_dwordx2 v[39:40], v[33:34], off
	v_lshlrev_b64 v[29:30], 3, v[8:9]
	v_lshlrev_b64 v[31:32], 3, v[10:11]
	v_add_nc_u32_e32 v10, -6, v8
	v_mov_b32_e32 v26, v11
	v_add_nc_u32_e32 v6, 32, v6
	v_add_co_u32 v45, vcc_lo, s12, v29
	v_add_co_ci_u32_e64 v46, null, s13, v30, vcc_lo
	v_lshlrev_b64 v[29:30], 3, v[10:11]
	v_add_nc_u32_e32 v10, -13, v8
	v_add_co_u32 v27, vcc_lo, s12, v31
	v_add_co_ci_u32_e64 v28, null, s13, v32, vcc_lo
	v_add_co_u32 v29, vcc_lo, s12, v29
	v_lshlrev_b64 v[31:32], 3, v[10:11]
	v_add_nc_u32_e32 v10, -5, v8
	v_add_co_ci_u32_e64 v30, null, s13, v30, vcc_lo
	global_load_dwordx2 v[41:42], v[27:28], off
	v_add_co_u32 v47, vcc_lo, s12, v31
	global_load_dwordx2 v[43:44], v[29:30], off
	v_lshlrev_b64 v[27:28], 3, v[10:11]
	v_add_nc_u32_e32 v10, -12, v8
	v_add_co_ci_u32_e64 v48, null, s13, v32, vcc_lo
	v_lshlrev_b64 v[29:30], 3, v[10:11]
	v_add_nc_u32_e32 v10, -4, v8
	v_add_co_u32 v49, vcc_lo, s12, v27
	v_add_co_ci_u32_e64 v50, null, s13, v28, vcc_lo
	v_lshlrev_b64 v[27:28], 3, v[10:11]
	v_add_nc_u32_e32 v10, -11, v8
	v_add_co_u32 v51, vcc_lo, s12, v29
	;; [unrolled: 4-line block ×6, first 2 shown]
	v_add_co_ci_u32_e64 v60, null, s13, v30, vcc_lo
	v_lshlrev_b64 v[9:10], 3, v[10:11]
	v_add_co_u32 v61, vcc_lo, s12, v27
	v_add_co_ci_u32_e64 v62, null, s13, v28, vcc_lo
	v_add_co_u32 v63, vcc_lo, s12, v9
	v_add_co_ci_u32_e64 v64, null, s13, v10, vcc_lo
	s_waitcnt vmcnt(5)
	v_subrev_nc_u32_e32 v7, s2, v7
	v_lshlrev_b32_e32 v25, 3, v7
	v_lshlrev_b64 v[9:10], 3, v[25:26]
	v_add_co_u32 v65, vcc_lo, s14, v9
	v_add_co_ci_u32_e64 v66, null, s15, v10, vcc_lo
	s_clause 0x1
	global_load_dwordx4 v[25:28], v[65:66], off
	global_load_dwordx4 v[29:32], v[65:66], off offset:16
	global_load_dwordx4 v[33:36], v[37:38], off offset:16
	v_add_nc_u32_e32 v10, -1, v8
	s_waitcnt vmcnt(2)
	v_fmac_f32_e32 v19, v21, v25
	v_fmac_f32_e32 v14, v22, v25
	;; [unrolled: 1-line block ×5, first 2 shown]
	v_fma_f32 v9, -v22, v26, v19
	v_fmac_f32_e32 v14, v21, v26
	v_fmac_f32_e32 v15, v40, v25
	v_fma_f32 v7, -v13, v26, v20
	v_fmac_f32_e32 v16, v12, v26
	v_fmac_f32_e32 v9, v23, v27
	v_fmac_f32_e32 v14, v24, v27
	global_load_dwordx4 v[19:22], v[37:38], off offset:48
	v_fmac_f32_e32 v15, v39, v26
	v_fmac_f32_e32 v7, v41, v27
	v_fma_f32 v67, -v24, v28, v9
	v_fmac_f32_e32 v14, v23, v28
	v_fma_f32 v9, -v40, v26, v18
	s_clause 0x6
	global_load_dwordx4 v[23:26], v[37:38], off offset:32
	global_load_dwordx2 v[12:13], v[47:48], off
	global_load_dwordx2 v[47:48], v[49:50], off
	;; [unrolled: 1-line block ×6, first 2 shown]
	v_lshlrev_b64 v[37:38], 3, v[10:11]
	v_fmac_f32_e32 v16, v42, v27
	v_fmac_f32_e32 v15, v44, v27
	;; [unrolled: 1-line block ×3, first 2 shown]
	v_fma_f32 v7, -v42, v28, v7
	v_add_nc_u32_e32 v10, -8, v8
	v_add_co_u32 v27, vcc_lo, s12, v37
	v_fmac_f32_e32 v16, v41, v28
	v_fma_f32 v18, -v44, v28, v9
	v_fmac_f32_e32 v15, v43, v28
	v_add_co_ci_u32_e64 v28, null, s13, v38, vcc_lo
	global_load_dwordx4 v[37:40], v[65:66], off offset:32
	s_clause 0x3
	global_load_dwordx2 v[57:58], v[59:60], off
	global_load_dwordx2 v[59:60], v[61:62], off
	;; [unrolled: 1-line block ×4, first 2 shown]
	v_lshlrev_b64 v[9:10], 3, v[10:11]
	s_waitcnt vmcnt(13)
	v_fmac_f32_e32 v67, v33, v29
	v_fmac_f32_e32 v14, v34, v29
	v_add_nc_u32_e32 v8, 0x300, v8
	v_add_co_u32 v9, vcc_lo, s12, v9
	v_add_co_ci_u32_e64 v10, null, s13, v10, vcc_lo
	v_fmac_f32_e32 v14, v33, v30
	v_cmp_ge_i32_e32 vcc_lo, v6, v17
	v_fmac_f32_e32 v14, v36, v31
	s_or_b32 s0, vcc_lo, s0
	v_fmac_f32_e32 v14, v35, v32
	s_waitcnt vmcnt(10)
	v_fmac_f32_e32 v7, v12, v29
	v_fmac_f32_e32 v16, v13, v29
	s_waitcnt vmcnt(9)
	v_fmac_f32_e32 v18, v47, v29
	v_fmac_f32_e32 v15, v48, v29
	v_fma_f32 v29, -v34, v30, v67
	v_fma_f32 v7, -v13, v30, v7
	v_fmac_f32_e32 v16, v12, v30
	global_load_dwordx4 v[41:44], v[65:66], off offset:48
	s_clause 0x1
	global_load_dwordx2 v[9:10], v[9:10], off
	global_load_dwordx2 v[12:13], v[45:46], off
	v_fma_f32 v18, -v48, v30, v18
	v_fmac_f32_e32 v15, v47, v30
	v_fmac_f32_e32 v29, v35, v31
	s_waitcnt vmcnt(11)
	v_fmac_f32_e32 v7, v49, v31
	v_fmac_f32_e32 v16, v50, v31
	s_waitcnt vmcnt(10)
	v_fmac_f32_e32 v18, v51, v31
	v_fmac_f32_e32 v15, v52, v31
	v_fma_f32 v29, -v36, v32, v29
	v_fma_f32 v7, -v50, v32, v7
	v_fmac_f32_e32 v16, v49, v32
	v_fma_f32 v18, -v52, v32, v18
	v_fmac_f32_e32 v15, v51, v32
	s_waitcnt vmcnt(7)
	v_fmac_f32_e32 v29, v23, v37
	v_fmac_f32_e32 v14, v24, v37
	;; [unrolled: 1-line block ×6, first 2 shown]
	v_fma_f32 v24, -v24, v38, v29
	v_fmac_f32_e32 v14, v23, v38
	v_fma_f32 v7, -v54, v38, v7
	v_fmac_f32_e32 v16, v53, v38
	;; [unrolled: 2-line block ×3, first 2 shown]
	v_fmac_f32_e32 v24, v25, v39
	v_fmac_f32_e32 v14, v26, v39
	s_waitcnt vmcnt(6)
	v_fmac_f32_e32 v7, v57, v39
	v_fmac_f32_e32 v16, v58, v39
	s_waitcnt vmcnt(5)
	v_fmac_f32_e32 v18, v59, v39
	v_fmac_f32_e32 v15, v60, v39
	v_fma_f32 v23, -v26, v40, v24
	v_fmac_f32_e32 v14, v25, v40
	v_fma_f32 v7, -v58, v40, v7
	v_fmac_f32_e32 v16, v57, v40
	v_fma_f32 v18, -v60, v40, v18
	v_fmac_f32_e32 v15, v59, v40
	s_waitcnt vmcnt(2)
	v_fmac_f32_e32 v23, v19, v41
	v_fmac_f32_e32 v14, v20, v41
	;; [unrolled: 1-line block ×6, first 2 shown]
	v_fma_f32 v20, -v20, v42, v23
	v_fmac_f32_e32 v14, v19, v42
	v_fma_f32 v7, -v62, v42, v7
	v_fmac_f32_e32 v16, v61, v42
	;; [unrolled: 2-line block ×3, first 2 shown]
	v_fmac_f32_e32 v20, v21, v43
	v_fmac_f32_e32 v14, v22, v43
	s_waitcnt vmcnt(1)
	v_fmac_f32_e32 v7, v9, v43
	v_fmac_f32_e32 v16, v10, v43
	s_waitcnt vmcnt(0)
	v_fmac_f32_e32 v18, v12, v43
	v_fmac_f32_e32 v15, v13, v43
	v_fma_f32 v19, -v22, v44, v20
	v_fmac_f32_e32 v14, v21, v44
	v_fma_f32 v20, -v10, v44, v7
	;; [unrolled: 2-line block ×3, first 2 shown]
	v_fmac_f32_e32 v15, v12, v44
	s_andn2_b32 exec_lo, exec_lo, s0
	s_cbranch_execnz .LBB107_13
; %bb.14:
	s_or_b32 exec_lo, exec_lo, s0
.LBB107_15:
	s_or_b32 exec_lo, exec_lo, s1
.LBB107_16:
	v_mbcnt_lo_u32_b32 v6, -1, 0
	v_xor_b32_e32 v7, 16, v6
	v_xor_b32_e32 v13, 8, v6
	v_cmp_gt_i32_e32 vcc_lo, 32, v7
	v_cndmask_b32_e32 v7, v6, v7, vcc_lo
	v_cmp_gt_i32_e32 vcc_lo, 32, v13
	v_lshlrev_b32_e32 v7, 2, v7
	v_cndmask_b32_e32 v13, v6, v13, vcc_lo
	ds_bpermute_b32 v8, v7, v19
	ds_bpermute_b32 v9, v7, v14
	;; [unrolled: 1-line block ×6, first 2 shown]
	v_lshlrev_b32_e32 v13, 2, v13
	s_waitcnt lgkmcnt(5)
	v_add_f32_e32 v8, v19, v8
	s_waitcnt lgkmcnt(4)
	v_add_f32_e32 v9, v14, v9
	;; [unrolled: 2-line block ×6, first 2 shown]
	ds_bpermute_b32 v14, v13, v8
	ds_bpermute_b32 v15, v13, v9
	;; [unrolled: 1-line block ×6, first 2 shown]
	v_xor_b32_e32 v19, 4, v6
	v_cmp_gt_i32_e32 vcc_lo, 32, v19
	v_cndmask_b32_e32 v19, v6, v19, vcc_lo
	s_waitcnt lgkmcnt(5)
	v_add_f32_e32 v8, v8, v14
	v_lshlrev_b32_e32 v19, 2, v19
	s_waitcnt lgkmcnt(4)
	v_add_f32_e32 v9, v9, v15
	s_waitcnt lgkmcnt(3)
	v_add_f32_e32 v10, v10, v16
	;; [unrolled: 2-line block ×5, first 2 shown]
	ds_bpermute_b32 v13, v19, v8
	ds_bpermute_b32 v14, v19, v9
	;; [unrolled: 1-line block ×6, first 2 shown]
	v_xor_b32_e32 v19, 2, v6
	v_cmp_gt_i32_e32 vcc_lo, 32, v19
	v_cndmask_b32_e32 v19, v6, v19, vcc_lo
	s_waitcnt lgkmcnt(5)
	v_add_f32_e32 v8, v8, v13
	v_lshlrev_b32_e32 v19, 2, v19
	s_waitcnt lgkmcnt(4)
	v_add_f32_e32 v9, v9, v14
	s_waitcnt lgkmcnt(3)
	v_add_f32_e32 v10, v10, v15
	s_waitcnt lgkmcnt(2)
	v_add_f32_e32 v13, v11, v16
	s_waitcnt lgkmcnt(1)
	v_add_f32_e32 v14, v12, v17
	s_waitcnt lgkmcnt(0)
	v_add_f32_e32 v15, v7, v18
	ds_bpermute_b32 v7, v19, v8
	ds_bpermute_b32 v11, v19, v9
	;; [unrolled: 1-line block ×6, first 2 shown]
	v_xor_b32_e32 v19, 1, v6
	v_cmp_gt_i32_e32 vcc_lo, 32, v19
	v_cndmask_b32_e32 v6, v6, v19, vcc_lo
	v_cmp_eq_u32_e32 vcc_lo, 31, v0
	v_lshlrev_b32_e32 v19, 2, v6
	s_waitcnt lgkmcnt(5)
	v_add_f32_e32 v6, v8, v7
	s_waitcnt lgkmcnt(4)
	v_add_f32_e32 v9, v9, v11
	;; [unrolled: 2-line block ×6, first 2 shown]
	ds_bpermute_b32 v10, v19, v6
	ds_bpermute_b32 v15, v19, v9
	;; [unrolled: 1-line block ×6, first 2 shown]
	s_and_b32 exec_lo, exec_lo, vcc_lo
	s_cbranch_execz .LBB107_21
; %bb.17:
	s_load_dwordx2 s[2:3], s[4:5], 0x38
	v_cmp_eq_f32_e32 vcc_lo, 0, v3
	v_cmp_eq_f32_e64 s0, 0, v4
	s_waitcnt lgkmcnt(0)
	v_add_f32_e32 v0, v6, v10
	v_add_f32_e32 v10, v9, v15
	;; [unrolled: 1-line block ×6, first 2 shown]
	s_and_b32 s0, vcc_lo, s0
	s_and_saveexec_b32 s1, s0
	s_xor_b32 s0, exec_lo, s1
	s_cbranch_execz .LBB107_19
; %bb.18:
	v_lshl_add_u32 v3, v5, 1, v5
	v_mul_f32_e64 v11, v10, -v2
	v_mul_f32_e32 v12, v1, v10
	v_mul_f32_e64 v13, v9, -v2
	v_mul_f32_e32 v14, v1, v9
	v_ashrrev_i32_e32 v4, 31, v3
	v_mul_f32_e64 v9, v8, -v2
	v_mul_f32_e32 v10, v1, v8
	v_fmac_f32_e32 v11, v1, v0
	v_fmac_f32_e32 v12, v2, v0
	v_lshlrev_b64 v[3:4], 3, v[3:4]
	v_fmac_f32_e32 v13, v1, v6
	v_fmac_f32_e32 v14, v2, v6
	;; [unrolled: 1-line block ×4, first 2 shown]
                                        ; implicit-def: $vgpr5
                                        ; implicit-def: $vgpr0
                                        ; implicit-def: $vgpr6
                                        ; implicit-def: $vgpr7
                                        ; implicit-def: $vgpr8
                                        ; implicit-def: $vgpr1_vgpr2
	v_add_co_u32 v3, vcc_lo, s2, v3
	v_add_co_ci_u32_e64 v4, null, s3, v4, vcc_lo
	global_store_dwordx4 v[3:4], v[11:14], off
	global_store_dwordx2 v[3:4], v[9:10], off offset:16
                                        ; implicit-def: $vgpr10
                                        ; implicit-def: $vgpr9
                                        ; implicit-def: $vgpr3_vgpr4
.LBB107_19:
	s_andn2_saveexec_b32 s0, s0
	s_cbranch_execz .LBB107_21
; %bb.20:
	v_lshl_add_u32 v11, v5, 1, v5
	v_mul_f32_e64 v15, v10, -v2
	v_mul_f32_e32 v16, v1, v10
	v_mul_f32_e64 v10, v9, -v2
	v_mul_f32_e32 v18, v1, v9
	v_ashrrev_i32_e32 v12, 31, v11
	v_mul_f32_e64 v9, v8, -v2
	v_mul_f32_e32 v5, v1, v8
	v_fmac_f32_e32 v15, v1, v0
	v_fmac_f32_e32 v16, v2, v0
	v_lshlrev_b64 v[11:12], 3, v[11:12]
	v_fmac_f32_e32 v10, v1, v6
	v_fmac_f32_e32 v18, v2, v6
	;; [unrolled: 1-line block ×4, first 2 shown]
	v_add_co_u32 v19, vcc_lo, s2, v11
	v_add_co_ci_u32_e64 v20, null, s3, v12, vcc_lo
	s_clause 0x1
	global_load_dwordx4 v[11:14], v[19:20], off
	global_load_dwordx2 v[21:22], v[19:20], off offset:16
	s_waitcnt vmcnt(1)
	v_fmac_f32_e32 v15, v3, v11
	v_fmac_f32_e32 v16, v4, v11
	;; [unrolled: 1-line block ×4, first 2 shown]
	s_waitcnt vmcnt(0)
	v_fmac_f32_e32 v9, v3, v21
	v_fmac_f32_e32 v5, v4, v21
	v_fma_f32 v15, -v4, v12, v15
	v_fmac_f32_e32 v16, v3, v12
	v_fma_f32 v17, -v4, v14, v10
	;; [unrolled: 2-line block ×3, first 2 shown]
	v_fmac_f32_e32 v5, v3, v22
	global_store_dwordx4 v[19:20], v[15:18], off
	global_store_dwordx2 v[19:20], v[4:5], off offset:16
.LBB107_21:
	s_endpgm
	.section	.rodata,"a",@progbits
	.p2align	6, 0x0
	.amdhsa_kernel _ZN9rocsparseL19gebsrmvn_3xn_kernelILj128ELj8ELj32E21rocsparse_complex_numIfEEEvi20rocsparse_direction_NS_24const_host_device_scalarIT2_EEPKiS8_PKS5_SA_S6_PS5_21rocsparse_index_base_b
		.amdhsa_group_segment_fixed_size 0
		.amdhsa_private_segment_fixed_size 0
		.amdhsa_kernarg_size 72
		.amdhsa_user_sgpr_count 6
		.amdhsa_user_sgpr_private_segment_buffer 1
		.amdhsa_user_sgpr_dispatch_ptr 0
		.amdhsa_user_sgpr_queue_ptr 0
		.amdhsa_user_sgpr_kernarg_segment_ptr 1
		.amdhsa_user_sgpr_dispatch_id 0
		.amdhsa_user_sgpr_flat_scratch_init 0
		.amdhsa_user_sgpr_private_segment_size 0
		.amdhsa_wavefront_size32 1
		.amdhsa_uses_dynamic_stack 0
		.amdhsa_system_sgpr_private_segment_wavefront_offset 0
		.amdhsa_system_sgpr_workgroup_id_x 1
		.amdhsa_system_sgpr_workgroup_id_y 0
		.amdhsa_system_sgpr_workgroup_id_z 0
		.amdhsa_system_sgpr_workgroup_info 0
		.amdhsa_system_vgpr_workitem_id 0
		.amdhsa_next_free_vgpr 68
		.amdhsa_next_free_sgpr 16
		.amdhsa_reserve_vcc 1
		.amdhsa_reserve_flat_scratch 0
		.amdhsa_float_round_mode_32 0
		.amdhsa_float_round_mode_16_64 0
		.amdhsa_float_denorm_mode_32 3
		.amdhsa_float_denorm_mode_16_64 3
		.amdhsa_dx10_clamp 1
		.amdhsa_ieee_mode 1
		.amdhsa_fp16_overflow 0
		.amdhsa_workgroup_processor_mode 1
		.amdhsa_memory_ordered 1
		.amdhsa_forward_progress 1
		.amdhsa_shared_vgpr_count 0
		.amdhsa_exception_fp_ieee_invalid_op 0
		.amdhsa_exception_fp_denorm_src 0
		.amdhsa_exception_fp_ieee_div_zero 0
		.amdhsa_exception_fp_ieee_overflow 0
		.amdhsa_exception_fp_ieee_underflow 0
		.amdhsa_exception_fp_ieee_inexact 0
		.amdhsa_exception_int_div_zero 0
	.end_amdhsa_kernel
	.section	.text._ZN9rocsparseL19gebsrmvn_3xn_kernelILj128ELj8ELj32E21rocsparse_complex_numIfEEEvi20rocsparse_direction_NS_24const_host_device_scalarIT2_EEPKiS8_PKS5_SA_S6_PS5_21rocsparse_index_base_b,"axG",@progbits,_ZN9rocsparseL19gebsrmvn_3xn_kernelILj128ELj8ELj32E21rocsparse_complex_numIfEEEvi20rocsparse_direction_NS_24const_host_device_scalarIT2_EEPKiS8_PKS5_SA_S6_PS5_21rocsparse_index_base_b,comdat
.Lfunc_end107:
	.size	_ZN9rocsparseL19gebsrmvn_3xn_kernelILj128ELj8ELj32E21rocsparse_complex_numIfEEEvi20rocsparse_direction_NS_24const_host_device_scalarIT2_EEPKiS8_PKS5_SA_S6_PS5_21rocsparse_index_base_b, .Lfunc_end107-_ZN9rocsparseL19gebsrmvn_3xn_kernelILj128ELj8ELj32E21rocsparse_complex_numIfEEEvi20rocsparse_direction_NS_24const_host_device_scalarIT2_EEPKiS8_PKS5_SA_S6_PS5_21rocsparse_index_base_b
                                        ; -- End function
	.set _ZN9rocsparseL19gebsrmvn_3xn_kernelILj128ELj8ELj32E21rocsparse_complex_numIfEEEvi20rocsparse_direction_NS_24const_host_device_scalarIT2_EEPKiS8_PKS5_SA_S6_PS5_21rocsparse_index_base_b.num_vgpr, 68
	.set _ZN9rocsparseL19gebsrmvn_3xn_kernelILj128ELj8ELj32E21rocsparse_complex_numIfEEEvi20rocsparse_direction_NS_24const_host_device_scalarIT2_EEPKiS8_PKS5_SA_S6_PS5_21rocsparse_index_base_b.num_agpr, 0
	.set _ZN9rocsparseL19gebsrmvn_3xn_kernelILj128ELj8ELj32E21rocsparse_complex_numIfEEEvi20rocsparse_direction_NS_24const_host_device_scalarIT2_EEPKiS8_PKS5_SA_S6_PS5_21rocsparse_index_base_b.numbered_sgpr, 16
	.set _ZN9rocsparseL19gebsrmvn_3xn_kernelILj128ELj8ELj32E21rocsparse_complex_numIfEEEvi20rocsparse_direction_NS_24const_host_device_scalarIT2_EEPKiS8_PKS5_SA_S6_PS5_21rocsparse_index_base_b.num_named_barrier, 0
	.set _ZN9rocsparseL19gebsrmvn_3xn_kernelILj128ELj8ELj32E21rocsparse_complex_numIfEEEvi20rocsparse_direction_NS_24const_host_device_scalarIT2_EEPKiS8_PKS5_SA_S6_PS5_21rocsparse_index_base_b.private_seg_size, 0
	.set _ZN9rocsparseL19gebsrmvn_3xn_kernelILj128ELj8ELj32E21rocsparse_complex_numIfEEEvi20rocsparse_direction_NS_24const_host_device_scalarIT2_EEPKiS8_PKS5_SA_S6_PS5_21rocsparse_index_base_b.uses_vcc, 1
	.set _ZN9rocsparseL19gebsrmvn_3xn_kernelILj128ELj8ELj32E21rocsparse_complex_numIfEEEvi20rocsparse_direction_NS_24const_host_device_scalarIT2_EEPKiS8_PKS5_SA_S6_PS5_21rocsparse_index_base_b.uses_flat_scratch, 0
	.set _ZN9rocsparseL19gebsrmvn_3xn_kernelILj128ELj8ELj32E21rocsparse_complex_numIfEEEvi20rocsparse_direction_NS_24const_host_device_scalarIT2_EEPKiS8_PKS5_SA_S6_PS5_21rocsparse_index_base_b.has_dyn_sized_stack, 0
	.set _ZN9rocsparseL19gebsrmvn_3xn_kernelILj128ELj8ELj32E21rocsparse_complex_numIfEEEvi20rocsparse_direction_NS_24const_host_device_scalarIT2_EEPKiS8_PKS5_SA_S6_PS5_21rocsparse_index_base_b.has_recursion, 0
	.set _ZN9rocsparseL19gebsrmvn_3xn_kernelILj128ELj8ELj32E21rocsparse_complex_numIfEEEvi20rocsparse_direction_NS_24const_host_device_scalarIT2_EEPKiS8_PKS5_SA_S6_PS5_21rocsparse_index_base_b.has_indirect_call, 0
	.section	.AMDGPU.csdata,"",@progbits
; Kernel info:
; codeLenInByte = 4012
; TotalNumSgprs: 18
; NumVgprs: 68
; ScratchSize: 0
; MemoryBound: 0
; FloatMode: 240
; IeeeMode: 1
; LDSByteSize: 0 bytes/workgroup (compile time only)
; SGPRBlocks: 0
; VGPRBlocks: 8
; NumSGPRsForWavesPerEU: 18
; NumVGPRsForWavesPerEU: 68
; Occupancy: 12
; WaveLimiterHint : 1
; COMPUTE_PGM_RSRC2:SCRATCH_EN: 0
; COMPUTE_PGM_RSRC2:USER_SGPR: 6
; COMPUTE_PGM_RSRC2:TRAP_HANDLER: 0
; COMPUTE_PGM_RSRC2:TGID_X_EN: 1
; COMPUTE_PGM_RSRC2:TGID_Y_EN: 0
; COMPUTE_PGM_RSRC2:TGID_Z_EN: 0
; COMPUTE_PGM_RSRC2:TIDIG_COMP_CNT: 0
	.section	.text._ZN9rocsparseL19gebsrmvn_3xn_kernelILj128ELj8ELj64E21rocsparse_complex_numIfEEEvi20rocsparse_direction_NS_24const_host_device_scalarIT2_EEPKiS8_PKS5_SA_S6_PS5_21rocsparse_index_base_b,"axG",@progbits,_ZN9rocsparseL19gebsrmvn_3xn_kernelILj128ELj8ELj64E21rocsparse_complex_numIfEEEvi20rocsparse_direction_NS_24const_host_device_scalarIT2_EEPKiS8_PKS5_SA_S6_PS5_21rocsparse_index_base_b,comdat
	.globl	_ZN9rocsparseL19gebsrmvn_3xn_kernelILj128ELj8ELj64E21rocsparse_complex_numIfEEEvi20rocsparse_direction_NS_24const_host_device_scalarIT2_EEPKiS8_PKS5_SA_S6_PS5_21rocsparse_index_base_b ; -- Begin function _ZN9rocsparseL19gebsrmvn_3xn_kernelILj128ELj8ELj64E21rocsparse_complex_numIfEEEvi20rocsparse_direction_NS_24const_host_device_scalarIT2_EEPKiS8_PKS5_SA_S6_PS5_21rocsparse_index_base_b
	.p2align	8
	.type	_ZN9rocsparseL19gebsrmvn_3xn_kernelILj128ELj8ELj64E21rocsparse_complex_numIfEEEvi20rocsparse_direction_NS_24const_host_device_scalarIT2_EEPKiS8_PKS5_SA_S6_PS5_21rocsparse_index_base_b,@function
_ZN9rocsparseL19gebsrmvn_3xn_kernelILj128ELj8ELj64E21rocsparse_complex_numIfEEEvi20rocsparse_direction_NS_24const_host_device_scalarIT2_EEPKiS8_PKS5_SA_S6_PS5_21rocsparse_index_base_b: ; @_ZN9rocsparseL19gebsrmvn_3xn_kernelILj128ELj8ELj64E21rocsparse_complex_numIfEEEvi20rocsparse_direction_NS_24const_host_device_scalarIT2_EEPKiS8_PKS5_SA_S6_PS5_21rocsparse_index_base_b
; %bb.0:
	s_clause 0x2
	s_load_dwordx2 s[2:3], s[4:5], 0x40
	s_load_dwordx2 s[0:1], s[4:5], 0x8
	;; [unrolled: 1-line block ×3, first 2 shown]
	s_add_u32 s7, s4, 8
	s_addc_u32 s10, s5, 0
	s_add_u32 s11, s4, 48
	s_addc_u32 s12, s5, 0
	s_waitcnt lgkmcnt(0)
	s_bitcmp1_b32 s3, 0
	s_cselect_b32 s0, s7, s0
	s_cselect_b32 s1, s10, s1
	v_mov_b32_e32 v1, s0
	v_mov_b32_e32 v2, s1
	s_cselect_b32 s0, s11, s8
	s_cselect_b32 s1, s12, s9
	v_mov_b32_e32 v3, s0
	v_mov_b32_e32 v4, s1
	flat_load_dwordx2 v[1:2], v[1:2]
	flat_load_dwordx2 v[3:4], v[3:4]
	s_waitcnt vmcnt(1) lgkmcnt(1)
	v_cmp_eq_f32_e32 vcc_lo, 0, v1
	v_cmp_eq_f32_e64 s0, 0, v2
	s_and_b32 s3, vcc_lo, s0
	s_mov_b32 s0, -1
	s_and_saveexec_b32 s1, s3
	s_cbranch_execz .LBB108_2
; %bb.1:
	s_waitcnt vmcnt(0) lgkmcnt(0)
	v_cmp_neq_f32_e32 vcc_lo, 1.0, v3
	v_cmp_neq_f32_e64 s0, 0, v4
	s_or_b32 s0, vcc_lo, s0
	s_orn2_b32 s0, s0, exec_lo
.LBB108_2:
	s_or_b32 exec_lo, exec_lo, s1
	s_and_saveexec_b32 s1, s0
	s_cbranch_execz .LBB108_21
; %bb.3:
	s_load_dwordx2 s[0:1], s[4:5], 0x0
	v_lshrrev_b32_e32 v5, 6, v0
	v_lshl_or_b32 v5, s6, 1, v5
	s_waitcnt lgkmcnt(0)
	v_cmp_gt_i32_e32 vcc_lo, s0, v5
	s_and_b32 exec_lo, exec_lo, vcc_lo
	s_cbranch_execz .LBB108_21
; %bb.4:
	s_load_dwordx8 s[8:15], s[4:5], 0x10
	v_ashrrev_i32_e32 v6, 31, v5
	v_and_b32_e32 v0, 63, v0
	s_cmp_lg_u32 s1, 0
	v_lshlrev_b64 v[6:7], 2, v[5:6]
	s_waitcnt lgkmcnt(0)
	v_add_co_u32 v6, vcc_lo, s8, v6
	v_add_co_ci_u32_e64 v7, null, s9, v7, vcc_lo
	global_load_dwordx2 v[6:7], v[6:7], off
	s_waitcnt vmcnt(0)
	v_subrev_nc_u32_e32 v6, s2, v6
	v_subrev_nc_u32_e32 v17, s2, v7
	v_add_nc_u32_e32 v6, v6, v0
	v_cmp_lt_i32_e64 s0, v6, v17
	s_cbranch_scc0 .LBB108_10
; %bb.5:
	v_mov_b32_e32 v14, 0
	v_mov_b32_e32 v19, 0
	;; [unrolled: 1-line block ×6, first 2 shown]
	s_and_saveexec_b32 s1, s0
	s_cbranch_execz .LBB108_9
; %bb.6:
	v_mad_u64_u32 v[7:8], null, v6, 24, 23
	v_mov_b32_e32 v10, 0
	v_mov_b32_e32 v11, v6
	;; [unrolled: 1-line block ×8, first 2 shown]
	s_mov_b32 s3, 0
.LBB108_7:                              ; =>This Inner Loop Header: Depth=1
	v_ashrrev_i32_e32 v12, 31, v11
	v_subrev_nc_u32_e32 v9, 23, v7
	v_mov_b32_e32 v8, v10
	v_mov_b32_e32 v13, v10
	v_lshlrev_b64 v[23:24], 2, v[11:12]
	v_lshlrev_b64 v[21:22], 3, v[9:10]
	;; [unrolled: 1-line block ×3, first 2 shown]
	v_add_nc_u32_e32 v9, -15, v7
	v_add_nc_u32_e32 v11, 64, v11
	v_add_co_u32 v23, vcc_lo, s10, v23
	v_add_co_ci_u32_e64 v24, null, s11, v24, vcc_lo
	v_add_co_u32 v33, vcc_lo, s12, v21
	v_add_co_ci_u32_e64 v34, null, s13, v22, vcc_lo
	v_add_co_u32 v37, vcc_lo, s12, v25
	v_add_co_ci_u32_e64 v38, null, s13, v26, vcc_lo
	global_load_dword v8, v[23:24], off
	s_clause 0x1
	global_load_dwordx4 v[21:24], v[33:34], off offset:48
	global_load_dwordx4 v[25:28], v[33:34], off offset:32
	v_lshlrev_b64 v[29:30], 3, v[9:10]
	v_add_nc_u32_e32 v9, -14, v7
	v_lshlrev_b64 v[39:40], 3, v[9:10]
	v_add_nc_u32_e32 v9, -13, v7
	v_add_co_u32 v41, vcc_lo, s12, v29
	v_add_co_ci_u32_e64 v42, null, s13, v30, vcc_lo
	s_clause 0x2
	global_load_dwordx4 v[29:32], v[33:34], off offset:16
	global_load_dwordx4 v[33:36], v[33:34], off
	global_load_dwordx2 v[45:46], v[37:38], off
	v_lshlrev_b64 v[37:38], 3, v[9:10]
	v_add_co_u32 v39, vcc_lo, s12, v39
	v_add_nc_u32_e32 v9, -12, v7
	v_add_co_ci_u32_e64 v40, null, s13, v40, vcc_lo
	v_add_co_u32 v37, vcc_lo, s12, v37
	s_clause 0x1
	global_load_dwordx2 v[47:48], v[41:42], off
	global_load_dwordx2 v[49:50], v[39:40], off
	v_lshlrev_b64 v[41:42], 3, v[9:10]
	v_add_nc_u32_e32 v9, -11, v7
	v_add_co_ci_u32_e64 v38, null, s13, v38, vcc_lo
	global_load_dwordx2 v[51:52], v[37:38], off
	v_lshlrev_b64 v[39:40], 3, v[9:10]
	v_add_nc_u32_e32 v9, -10, v7
	v_add_co_u32 v37, vcc_lo, s12, v41
	v_add_co_ci_u32_e64 v38, null, s13, v42, vcc_lo
	v_add_co_u32 v39, vcc_lo, s12, v39
	v_lshlrev_b64 v[41:42], 3, v[9:10]
	v_add_nc_u32_e32 v9, -9, v7
	v_add_co_ci_u32_e64 v40, null, s13, v40, vcc_lo
	s_clause 0x1
	global_load_dwordx2 v[53:54], v[37:38], off
	global_load_dwordx2 v[55:56], v[39:40], off
	v_lshlrev_b64 v[37:38], 3, v[9:10]
	v_add_nc_u32_e32 v9, -8, v7
	v_add_co_u32 v39, vcc_lo, s12, v41
	v_add_co_ci_u32_e64 v40, null, s13, v42, vcc_lo
	v_lshlrev_b64 v[41:42], 3, v[9:10]
	v_add_co_u32 v37, vcc_lo, s12, v37
	v_add_co_ci_u32_e64 v38, null, s13, v38, vcc_lo
	global_load_dwordx2 v[57:58], v[39:40], off
	v_add_co_u32 v63, vcc_lo, s12, v41
	v_add_co_ci_u32_e64 v64, null, s13, v42, vcc_lo
	global_load_dwordx2 v[61:62], v[37:38], off
	v_add_nc_u32_e32 v9, -7, v7
	v_lshlrev_b64 v[59:60], 3, v[9:10]
	v_add_nc_u32_e32 v9, -6, v7
	s_waitcnt vmcnt(12)
	v_subrev_nc_u32_e32 v8, s2, v8
	v_lshlrev_b32_e32 v12, 3, v8
	v_lshlrev_b64 v[12:13], 3, v[12:13]
	v_add_co_u32 v12, vcc_lo, s14, v12
	v_add_co_ci_u32_e64 v13, null, s15, v13, vcc_lo
	s_clause 0x1
	global_load_dwordx4 v[37:40], v[12:13], off
	global_load_dwordx4 v[41:44], v[12:13], off offset:16
	s_waitcnt vmcnt(1)
	v_fmac_f32_e32 v19, v33, v37
	v_fmac_f32_e32 v20, v35, v37
	;; [unrolled: 1-line block ×5, first 2 shown]
	v_fma_f32 v8, -v34, v38, v19
	v_fma_f32 v65, -v36, v38, v20
	v_lshlrev_b64 v[19:20], 3, v[9:10]
	v_add_nc_u32_e32 v9, -5, v7
	v_fmac_f32_e32 v14, v33, v38
	v_add_co_u32 v33, vcc_lo, s12, v59
	v_add_co_ci_u32_e64 v34, null, s13, v60, vcc_lo
	v_lshlrev_b64 v[59:60], 3, v[9:10]
	v_add_nc_u32_e32 v9, -4, v7
	v_fmac_f32_e32 v15, v30, v37
	v_fmac_f32_e32 v14, v32, v39
	v_fmac_f32_e32 v16, v35, v38
	s_clause 0x1
	global_load_dwordx2 v[35:36], v[63:64], off
	global_load_dwordx2 v[33:34], v[33:34], off
	v_fma_f32 v63, -v30, v38, v18
	v_fmac_f32_e32 v15, v29, v38
	v_lshlrev_b64 v[29:30], 3, v[9:10]
	v_add_co_u32 v19, vcc_lo, s12, v19
	v_fmac_f32_e32 v8, v31, v39
	v_add_co_ci_u32_e64 v20, null, s13, v20, vcc_lo
	v_add_nc_u32_e32 v9, -3, v7
	v_fmac_f32_e32 v14, v31, v40
	v_add_co_u32 v31, vcc_lo, s12, v59
	v_fma_f32 v64, -v32, v40, v8
	v_add_co_ci_u32_e64 v32, null, s13, v60, vcc_lo
	v_add_co_u32 v18, vcc_lo, s12, v29
	global_load_dwordx2 v[37:38], v[19:20], off
	v_add_co_ci_u32_e64 v19, null, s13, v30, vcc_lo
	v_lshlrev_b64 v[29:30], 3, v[9:10]
	v_add_nc_u32_e32 v9, -2, v7
	v_fmac_f32_e32 v65, v25, v39
	v_fmac_f32_e32 v16, v26, v39
	v_fmac_f32_e32 v15, v28, v39
	v_fmac_f32_e32 v63, v27, v39
	global_load_dwordx2 v[31:32], v[31:32], off
	v_fma_f32 v20, -v26, v40, v65
	v_fmac_f32_e32 v16, v25, v40
	v_lshlrev_b64 v[25:26], 3, v[9:10]
	v_fmac_f32_e32 v15, v27, v40
	v_add_co_u32 v27, vcc_lo, s12, v29
	v_fma_f32 v63, -v28, v40, v63
	v_add_co_ci_u32_e64 v28, null, s13, v30, vcc_lo
	v_add_co_u32 v39, vcc_lo, s12, v25
	global_load_dwordx2 v[29:30], v[18:19], off
	v_add_co_ci_u32_e64 v40, null, s13, v26, vcc_lo
	global_load_dwordx2 v[59:60], v[27:28], off
	global_load_dwordx4 v[25:28], v[12:13], off offset:32
	v_add_nc_u32_e32 v9, -1, v7
	s_waitcnt vmcnt(7)
	v_fmac_f32_e32 v14, v22, v41
	v_fmac_f32_e32 v20, v23, v41
	;; [unrolled: 1-line block ×4, first 2 shown]
	v_lshlrev_b64 v[8:9], 3, v[9:10]
	v_fmac_f32_e32 v14, v21, v42
	v_fma_f32 v24, -v24, v42, v20
	global_load_dwordx4 v[18:21], v[12:13], off offset:48
	v_fmac_f32_e32 v63, v47, v41
	v_fmac_f32_e32 v15, v48, v41
	v_add_co_u32 v8, vcc_lo, s12, v8
	v_add_co_ci_u32_e64 v9, null, s13, v9, vcc_lo
	s_clause 0x1
	global_load_dwordx2 v[12:13], v[39:40], off
	global_load_dwordx2 v[8:9], v[8:9], off
	v_fma_f32 v22, -v22, v42, v64
	v_fmac_f32_e32 v16, v23, v42
	v_fma_f32 v23, -v48, v42, v63
	v_fmac_f32_e32 v15, v47, v42
	v_fmac_f32_e32 v14, v50, v43
	v_fmac_f32_e32 v22, v49, v43
	v_fmac_f32_e32 v24, v51, v43
	v_fmac_f32_e32 v16, v52, v43
	v_fmac_f32_e32 v23, v53, v43
	v_fmac_f32_e32 v15, v54, v43
	v_fma_f32 v22, -v50, v44, v22
	v_fmac_f32_e32 v14, v49, v44
	v_fma_f32 v24, -v52, v44, v24
	v_fmac_f32_e32 v16, v51, v44
	;; [unrolled: 2-line block ×3, first 2 shown]
	v_cmp_ge_i32_e32 vcc_lo, v11, v17
	v_add_nc_u32_e32 v7, 0x600, v7
	s_or_b32 s3, vcc_lo, s3
	s_waitcnt vmcnt(3)
	v_fmac_f32_e32 v22, v55, v25
	v_fmac_f32_e32 v14, v56, v25
	;; [unrolled: 1-line block ×6, first 2 shown]
	v_fma_f32 v22, -v56, v26, v22
	v_fmac_f32_e32 v14, v55, v26
	v_fma_f32 v24, -v58, v26, v24
	v_fmac_f32_e32 v16, v57, v26
	;; [unrolled: 2-line block ×3, first 2 shown]
	v_fmac_f32_e32 v22, v35, v27
	v_fmac_f32_e32 v14, v36, v27
	;; [unrolled: 1-line block ×6, first 2 shown]
	v_fma_f32 v22, -v36, v28, v22
	v_fmac_f32_e32 v14, v35, v28
	v_fma_f32 v24, -v34, v28, v24
	v_fmac_f32_e32 v16, v33, v28
	;; [unrolled: 2-line block ×3, first 2 shown]
	s_waitcnt vmcnt(2)
	v_fmac_f32_e32 v22, v31, v18
	v_fmac_f32_e32 v14, v32, v18
	;; [unrolled: 1-line block ×6, first 2 shown]
	v_fma_f32 v18, -v32, v19, v22
	v_fmac_f32_e32 v14, v31, v19
	v_fma_f32 v22, -v30, v19, v24
	v_fmac_f32_e32 v16, v29, v19
	;; [unrolled: 2-line block ×3, first 2 shown]
	s_waitcnt vmcnt(1)
	v_fmac_f32_e32 v18, v12, v20
	v_fmac_f32_e32 v14, v13, v20
	s_waitcnt vmcnt(0)
	v_fmac_f32_e32 v22, v8, v20
	v_fmac_f32_e32 v16, v9, v20
	;; [unrolled: 1-line block ×4, first 2 shown]
	v_fma_f32 v19, -v13, v21, v18
	v_fmac_f32_e32 v14, v12, v21
	v_fma_f32 v20, -v9, v21, v22
	v_fmac_f32_e32 v16, v8, v21
	;; [unrolled: 2-line block ×3, first 2 shown]
	s_andn2_b32 exec_lo, exec_lo, s3
	s_cbranch_execnz .LBB108_7
; %bb.8:
	s_or_b32 exec_lo, exec_lo, s3
.LBB108_9:
	s_or_b32 exec_lo, exec_lo, s1
	s_cbranch_execz .LBB108_11
	s_branch .LBB108_16
.LBB108_10:
                                        ; implicit-def: $vgpr14
                                        ; implicit-def: $vgpr19
                                        ; implicit-def: $vgpr18
                                        ; implicit-def: $vgpr15
                                        ; implicit-def: $vgpr20
                                        ; implicit-def: $vgpr16
.LBB108_11:
	v_mov_b32_e32 v14, 0
	v_mov_b32_e32 v19, 0
	;; [unrolled: 1-line block ×6, first 2 shown]
	s_and_saveexec_b32 s1, s0
	s_cbranch_execz .LBB108_15
; %bb.12:
	v_mad_u64_u32 v[8:9], null, v6, 24, 23
	v_mov_b32_e32 v11, 0
	v_mov_b32_e32 v14, 0
	;; [unrolled: 1-line block ×7, first 2 shown]
	s_mov_b32 s0, 0
.LBB108_13:                             ; =>This Inner Loop Header: Depth=1
	v_ashrrev_i32_e32 v7, 31, v6
	v_subrev_nc_u32_e32 v10, 23, v8
	v_add_nc_u32_e32 v12, -15, v8
	v_mov_b32_e32 v13, v11
	v_add_nc_u32_e32 v21, -7, v8
	v_lshlrev_b64 v[27:28], 2, v[6:7]
	v_mov_b32_e32 v22, v11
	v_lshlrev_b64 v[23:24], 3, v[10:11]
	v_lshlrev_b64 v[12:13], 3, v[12:13]
	v_mov_b32_e32 v9, v11
	v_add_nc_u32_e32 v10, -14, v8
	v_lshlrev_b64 v[21:22], 3, v[21:22]
	v_add_co_u32 v27, vcc_lo, s10, v27
	v_add_co_ci_u32_e64 v28, null, s11, v28, vcc_lo
	v_add_co_u32 v37, vcc_lo, s12, v23
	v_add_co_ci_u32_e64 v38, null, s13, v24, vcc_lo
	;; [unrolled: 2-line block ×4, first 2 shown]
	global_load_dword v7, v[27:28], off
	s_clause 0x2
	global_load_dwordx4 v[21:24], v[37:38], off
	global_load_dwordx2 v[12:13], v[12:13], off
	global_load_dwordx2 v[39:40], v[33:34], off
	v_lshlrev_b64 v[29:30], 3, v[8:9]
	v_lshlrev_b64 v[31:32], 3, v[10:11]
	v_add_nc_u32_e32 v10, -6, v8
	v_mov_b32_e32 v26, v11
	v_add_nc_u32_e32 v6, 64, v6
	v_add_co_u32 v45, vcc_lo, s12, v29
	v_add_co_ci_u32_e64 v46, null, s13, v30, vcc_lo
	v_lshlrev_b64 v[29:30], 3, v[10:11]
	v_add_nc_u32_e32 v10, -13, v8
	v_add_co_u32 v27, vcc_lo, s12, v31
	v_add_co_ci_u32_e64 v28, null, s13, v32, vcc_lo
	v_add_co_u32 v29, vcc_lo, s12, v29
	v_lshlrev_b64 v[31:32], 3, v[10:11]
	v_add_nc_u32_e32 v10, -5, v8
	v_add_co_ci_u32_e64 v30, null, s13, v30, vcc_lo
	global_load_dwordx2 v[41:42], v[27:28], off
	v_add_co_u32 v47, vcc_lo, s12, v31
	global_load_dwordx2 v[43:44], v[29:30], off
	v_lshlrev_b64 v[27:28], 3, v[10:11]
	v_add_nc_u32_e32 v10, -12, v8
	v_add_co_ci_u32_e64 v48, null, s13, v32, vcc_lo
	v_lshlrev_b64 v[29:30], 3, v[10:11]
	v_add_nc_u32_e32 v10, -4, v8
	v_add_co_u32 v49, vcc_lo, s12, v27
	v_add_co_ci_u32_e64 v50, null, s13, v28, vcc_lo
	v_lshlrev_b64 v[27:28], 3, v[10:11]
	v_add_nc_u32_e32 v10, -11, v8
	v_add_co_u32 v51, vcc_lo, s12, v29
	;; [unrolled: 4-line block ×6, first 2 shown]
	v_add_co_ci_u32_e64 v60, null, s13, v30, vcc_lo
	v_lshlrev_b64 v[9:10], 3, v[10:11]
	v_add_co_u32 v61, vcc_lo, s12, v27
	v_add_co_ci_u32_e64 v62, null, s13, v28, vcc_lo
	v_add_co_u32 v63, vcc_lo, s12, v9
	v_add_co_ci_u32_e64 v64, null, s13, v10, vcc_lo
	s_waitcnt vmcnt(5)
	v_subrev_nc_u32_e32 v7, s2, v7
	v_lshlrev_b32_e32 v25, 3, v7
	v_lshlrev_b64 v[9:10], 3, v[25:26]
	v_add_co_u32 v65, vcc_lo, s14, v9
	v_add_co_ci_u32_e64 v66, null, s15, v10, vcc_lo
	s_clause 0x1
	global_load_dwordx4 v[25:28], v[65:66], off
	global_load_dwordx4 v[29:32], v[65:66], off offset:16
	global_load_dwordx4 v[33:36], v[37:38], off offset:16
	v_add_nc_u32_e32 v10, -1, v8
	s_waitcnt vmcnt(2)
	v_fmac_f32_e32 v19, v21, v25
	v_fmac_f32_e32 v14, v22, v25
	;; [unrolled: 1-line block ×5, first 2 shown]
	v_fma_f32 v9, -v22, v26, v19
	v_fmac_f32_e32 v14, v21, v26
	v_fmac_f32_e32 v15, v40, v25
	v_fma_f32 v7, -v13, v26, v20
	v_fmac_f32_e32 v16, v12, v26
	v_fmac_f32_e32 v9, v23, v27
	;; [unrolled: 1-line block ×3, first 2 shown]
	global_load_dwordx4 v[19:22], v[37:38], off offset:48
	v_fmac_f32_e32 v15, v39, v26
	v_fmac_f32_e32 v7, v41, v27
	v_fma_f32 v67, -v24, v28, v9
	v_fmac_f32_e32 v14, v23, v28
	v_fma_f32 v9, -v40, v26, v18
	s_clause 0x6
	global_load_dwordx4 v[23:26], v[37:38], off offset:32
	global_load_dwordx2 v[12:13], v[47:48], off
	global_load_dwordx2 v[47:48], v[49:50], off
	;; [unrolled: 1-line block ×6, first 2 shown]
	v_lshlrev_b64 v[37:38], 3, v[10:11]
	v_fmac_f32_e32 v16, v42, v27
	v_fmac_f32_e32 v15, v44, v27
	;; [unrolled: 1-line block ×3, first 2 shown]
	v_fma_f32 v7, -v42, v28, v7
	v_add_nc_u32_e32 v10, -8, v8
	v_add_co_u32 v27, vcc_lo, s12, v37
	v_fmac_f32_e32 v16, v41, v28
	v_fma_f32 v18, -v44, v28, v9
	v_fmac_f32_e32 v15, v43, v28
	v_add_co_ci_u32_e64 v28, null, s13, v38, vcc_lo
	global_load_dwordx4 v[37:40], v[65:66], off offset:32
	s_clause 0x3
	global_load_dwordx2 v[57:58], v[59:60], off
	global_load_dwordx2 v[59:60], v[61:62], off
	;; [unrolled: 1-line block ×4, first 2 shown]
	v_lshlrev_b64 v[9:10], 3, v[10:11]
	s_waitcnt vmcnt(13)
	v_fmac_f32_e32 v67, v33, v29
	v_fmac_f32_e32 v14, v34, v29
	v_add_nc_u32_e32 v8, 0x600, v8
	v_add_co_u32 v9, vcc_lo, s12, v9
	v_add_co_ci_u32_e64 v10, null, s13, v10, vcc_lo
	v_fmac_f32_e32 v14, v33, v30
	v_cmp_ge_i32_e32 vcc_lo, v6, v17
	v_fmac_f32_e32 v14, v36, v31
	s_or_b32 s0, vcc_lo, s0
	v_fmac_f32_e32 v14, v35, v32
	s_waitcnt vmcnt(10)
	v_fmac_f32_e32 v7, v12, v29
	v_fmac_f32_e32 v16, v13, v29
	s_waitcnt vmcnt(9)
	v_fmac_f32_e32 v18, v47, v29
	v_fmac_f32_e32 v15, v48, v29
	v_fma_f32 v29, -v34, v30, v67
	v_fma_f32 v7, -v13, v30, v7
	v_fmac_f32_e32 v16, v12, v30
	global_load_dwordx4 v[41:44], v[65:66], off offset:48
	s_clause 0x1
	global_load_dwordx2 v[9:10], v[9:10], off
	global_load_dwordx2 v[12:13], v[45:46], off
	v_fma_f32 v18, -v48, v30, v18
	v_fmac_f32_e32 v15, v47, v30
	v_fmac_f32_e32 v29, v35, v31
	s_waitcnt vmcnt(11)
	v_fmac_f32_e32 v7, v49, v31
	v_fmac_f32_e32 v16, v50, v31
	s_waitcnt vmcnt(10)
	v_fmac_f32_e32 v18, v51, v31
	v_fmac_f32_e32 v15, v52, v31
	v_fma_f32 v29, -v36, v32, v29
	v_fma_f32 v7, -v50, v32, v7
	v_fmac_f32_e32 v16, v49, v32
	v_fma_f32 v18, -v52, v32, v18
	v_fmac_f32_e32 v15, v51, v32
	s_waitcnt vmcnt(7)
	v_fmac_f32_e32 v29, v23, v37
	v_fmac_f32_e32 v14, v24, v37
	;; [unrolled: 1-line block ×6, first 2 shown]
	v_fma_f32 v24, -v24, v38, v29
	v_fmac_f32_e32 v14, v23, v38
	v_fma_f32 v7, -v54, v38, v7
	v_fmac_f32_e32 v16, v53, v38
	;; [unrolled: 2-line block ×3, first 2 shown]
	v_fmac_f32_e32 v24, v25, v39
	v_fmac_f32_e32 v14, v26, v39
	s_waitcnt vmcnt(6)
	v_fmac_f32_e32 v7, v57, v39
	v_fmac_f32_e32 v16, v58, v39
	s_waitcnt vmcnt(5)
	v_fmac_f32_e32 v18, v59, v39
	v_fmac_f32_e32 v15, v60, v39
	v_fma_f32 v23, -v26, v40, v24
	v_fmac_f32_e32 v14, v25, v40
	v_fma_f32 v7, -v58, v40, v7
	;; [unrolled: 2-line block ×3, first 2 shown]
	v_fmac_f32_e32 v15, v59, v40
	s_waitcnt vmcnt(2)
	v_fmac_f32_e32 v23, v19, v41
	v_fmac_f32_e32 v14, v20, v41
	;; [unrolled: 1-line block ×6, first 2 shown]
	v_fma_f32 v20, -v20, v42, v23
	v_fmac_f32_e32 v14, v19, v42
	v_fma_f32 v7, -v62, v42, v7
	v_fmac_f32_e32 v16, v61, v42
	;; [unrolled: 2-line block ×3, first 2 shown]
	v_fmac_f32_e32 v20, v21, v43
	v_fmac_f32_e32 v14, v22, v43
	s_waitcnt vmcnt(1)
	v_fmac_f32_e32 v7, v9, v43
	v_fmac_f32_e32 v16, v10, v43
	s_waitcnt vmcnt(0)
	v_fmac_f32_e32 v18, v12, v43
	v_fmac_f32_e32 v15, v13, v43
	v_fma_f32 v19, -v22, v44, v20
	v_fmac_f32_e32 v14, v21, v44
	v_fma_f32 v20, -v10, v44, v7
	;; [unrolled: 2-line block ×3, first 2 shown]
	v_fmac_f32_e32 v15, v12, v44
	s_andn2_b32 exec_lo, exec_lo, s0
	s_cbranch_execnz .LBB108_13
; %bb.14:
	s_or_b32 exec_lo, exec_lo, s0
.LBB108_15:
	s_or_b32 exec_lo, exec_lo, s1
.LBB108_16:
	v_mbcnt_lo_u32_b32 v6, -1, 0
	v_or_b32_e32 v7, 32, v6
	v_xor_b32_e32 v13, 16, v6
	v_cmp_gt_i32_e32 vcc_lo, 32, v7
	v_cndmask_b32_e32 v7, v6, v7, vcc_lo
	v_cmp_gt_i32_e32 vcc_lo, 32, v13
	v_lshlrev_b32_e32 v7, 2, v7
	v_cndmask_b32_e32 v13, v6, v13, vcc_lo
	ds_bpermute_b32 v8, v7, v19
	ds_bpermute_b32 v9, v7, v14
	;; [unrolled: 1-line block ×6, first 2 shown]
	v_lshlrev_b32_e32 v13, 2, v13
	s_waitcnt lgkmcnt(5)
	v_add_f32_e32 v8, v19, v8
	s_waitcnt lgkmcnt(4)
	v_add_f32_e32 v9, v14, v9
	;; [unrolled: 2-line block ×6, first 2 shown]
	ds_bpermute_b32 v14, v13, v8
	ds_bpermute_b32 v15, v13, v9
	ds_bpermute_b32 v16, v13, v10
	ds_bpermute_b32 v17, v13, v11
	ds_bpermute_b32 v18, v13, v12
	ds_bpermute_b32 v13, v13, v7
	v_xor_b32_e32 v19, 8, v6
	v_cmp_gt_i32_e32 vcc_lo, 32, v19
	v_cndmask_b32_e32 v19, v6, v19, vcc_lo
	s_waitcnt lgkmcnt(5)
	v_add_f32_e32 v8, v8, v14
	v_lshlrev_b32_e32 v19, 2, v19
	s_waitcnt lgkmcnt(4)
	v_add_f32_e32 v9, v9, v15
	s_waitcnt lgkmcnt(3)
	v_add_f32_e32 v10, v10, v16
	s_waitcnt lgkmcnt(2)
	v_add_f32_e32 v11, v11, v17
	s_waitcnt lgkmcnt(1)
	v_add_f32_e32 v12, v12, v18
	s_waitcnt lgkmcnt(0)
	v_add_f32_e32 v7, v7, v13
	ds_bpermute_b32 v13, v19, v8
	ds_bpermute_b32 v14, v19, v9
	ds_bpermute_b32 v15, v19, v10
	ds_bpermute_b32 v16, v19, v11
	ds_bpermute_b32 v17, v19, v12
	ds_bpermute_b32 v18, v19, v7
	v_xor_b32_e32 v19, 4, v6
	v_cmp_gt_i32_e32 vcc_lo, 32, v19
	v_cndmask_b32_e32 v19, v6, v19, vcc_lo
	s_waitcnt lgkmcnt(5)
	v_add_f32_e32 v8, v8, v13
	v_lshlrev_b32_e32 v19, 2, v19
	s_waitcnt lgkmcnt(4)
	v_add_f32_e32 v9, v9, v14
	s_waitcnt lgkmcnt(3)
	v_add_f32_e32 v10, v10, v15
	s_waitcnt lgkmcnt(2)
	v_add_f32_e32 v11, v11, v16
	s_waitcnt lgkmcnt(1)
	v_add_f32_e32 v12, v12, v17
	s_waitcnt lgkmcnt(0)
	v_add_f32_e32 v7, v7, v18
	;; [unrolled: 22-line block ×3, first 2 shown]
	ds_bpermute_b32 v7, v19, v8
	ds_bpermute_b32 v11, v19, v9
	;; [unrolled: 1-line block ×6, first 2 shown]
	v_xor_b32_e32 v19, 1, v6
	v_cmp_gt_i32_e32 vcc_lo, 32, v19
	v_cndmask_b32_e32 v6, v6, v19, vcc_lo
	v_cmp_eq_u32_e32 vcc_lo, 63, v0
	v_lshlrev_b32_e32 v19, 2, v6
	s_waitcnt lgkmcnt(5)
	v_add_f32_e32 v6, v8, v7
	s_waitcnt lgkmcnt(4)
	v_add_f32_e32 v9, v9, v11
	;; [unrolled: 2-line block ×6, first 2 shown]
	ds_bpermute_b32 v10, v19, v6
	ds_bpermute_b32 v15, v19, v9
	;; [unrolled: 1-line block ×6, first 2 shown]
	s_and_b32 exec_lo, exec_lo, vcc_lo
	s_cbranch_execz .LBB108_21
; %bb.17:
	s_load_dwordx2 s[2:3], s[4:5], 0x38
	v_cmp_eq_f32_e32 vcc_lo, 0, v3
	v_cmp_eq_f32_e64 s0, 0, v4
	s_waitcnt lgkmcnt(0)
	v_add_f32_e32 v0, v6, v10
	v_add_f32_e32 v10, v9, v15
	;; [unrolled: 1-line block ×6, first 2 shown]
	s_and_b32 s0, vcc_lo, s0
	s_and_saveexec_b32 s1, s0
	s_xor_b32 s0, exec_lo, s1
	s_cbranch_execz .LBB108_19
; %bb.18:
	v_lshl_add_u32 v3, v5, 1, v5
	v_mul_f32_e64 v11, v10, -v2
	v_mul_f32_e32 v12, v1, v10
	v_mul_f32_e64 v13, v9, -v2
	v_mul_f32_e32 v14, v1, v9
	v_ashrrev_i32_e32 v4, 31, v3
	v_mul_f32_e64 v9, v8, -v2
	v_mul_f32_e32 v10, v1, v8
	v_fmac_f32_e32 v11, v1, v0
	v_fmac_f32_e32 v12, v2, v0
	v_lshlrev_b64 v[3:4], 3, v[3:4]
	v_fmac_f32_e32 v13, v1, v6
	v_fmac_f32_e32 v14, v2, v6
	;; [unrolled: 1-line block ×4, first 2 shown]
                                        ; implicit-def: $vgpr5
                                        ; implicit-def: $vgpr0
                                        ; implicit-def: $vgpr6
                                        ; implicit-def: $vgpr7
                                        ; implicit-def: $vgpr8
                                        ; implicit-def: $vgpr1_vgpr2
	v_add_co_u32 v3, vcc_lo, s2, v3
	v_add_co_ci_u32_e64 v4, null, s3, v4, vcc_lo
	global_store_dwordx4 v[3:4], v[11:14], off
	global_store_dwordx2 v[3:4], v[9:10], off offset:16
                                        ; implicit-def: $vgpr10
                                        ; implicit-def: $vgpr9
                                        ; implicit-def: $vgpr3_vgpr4
.LBB108_19:
	s_andn2_saveexec_b32 s0, s0
	s_cbranch_execz .LBB108_21
; %bb.20:
	v_lshl_add_u32 v11, v5, 1, v5
	v_mul_f32_e64 v15, v10, -v2
	v_mul_f32_e32 v16, v1, v10
	v_mul_f32_e64 v10, v9, -v2
	v_mul_f32_e32 v18, v1, v9
	v_ashrrev_i32_e32 v12, 31, v11
	v_mul_f32_e64 v9, v8, -v2
	v_mul_f32_e32 v5, v1, v8
	v_fmac_f32_e32 v15, v1, v0
	v_fmac_f32_e32 v16, v2, v0
	v_lshlrev_b64 v[11:12], 3, v[11:12]
	v_fmac_f32_e32 v10, v1, v6
	v_fmac_f32_e32 v18, v2, v6
	;; [unrolled: 1-line block ×4, first 2 shown]
	v_add_co_u32 v19, vcc_lo, s2, v11
	v_add_co_ci_u32_e64 v20, null, s3, v12, vcc_lo
	s_clause 0x1
	global_load_dwordx4 v[11:14], v[19:20], off
	global_load_dwordx2 v[21:22], v[19:20], off offset:16
	s_waitcnt vmcnt(1)
	v_fmac_f32_e32 v15, v3, v11
	v_fmac_f32_e32 v16, v4, v11
	v_fmac_f32_e32 v10, v3, v13
	v_fmac_f32_e32 v18, v4, v13
	s_waitcnt vmcnt(0)
	v_fmac_f32_e32 v9, v3, v21
	v_fmac_f32_e32 v5, v4, v21
	v_fma_f32 v15, -v4, v12, v15
	v_fmac_f32_e32 v16, v3, v12
	v_fma_f32 v17, -v4, v14, v10
	;; [unrolled: 2-line block ×3, first 2 shown]
	v_fmac_f32_e32 v5, v3, v22
	global_store_dwordx4 v[19:20], v[15:18], off
	global_store_dwordx2 v[19:20], v[4:5], off offset:16
.LBB108_21:
	s_endpgm
	.section	.rodata,"a",@progbits
	.p2align	6, 0x0
	.amdhsa_kernel _ZN9rocsparseL19gebsrmvn_3xn_kernelILj128ELj8ELj64E21rocsparse_complex_numIfEEEvi20rocsparse_direction_NS_24const_host_device_scalarIT2_EEPKiS8_PKS5_SA_S6_PS5_21rocsparse_index_base_b
		.amdhsa_group_segment_fixed_size 0
		.amdhsa_private_segment_fixed_size 0
		.amdhsa_kernarg_size 72
		.amdhsa_user_sgpr_count 6
		.amdhsa_user_sgpr_private_segment_buffer 1
		.amdhsa_user_sgpr_dispatch_ptr 0
		.amdhsa_user_sgpr_queue_ptr 0
		.amdhsa_user_sgpr_kernarg_segment_ptr 1
		.amdhsa_user_sgpr_dispatch_id 0
		.amdhsa_user_sgpr_flat_scratch_init 0
		.amdhsa_user_sgpr_private_segment_size 0
		.amdhsa_wavefront_size32 1
		.amdhsa_uses_dynamic_stack 0
		.amdhsa_system_sgpr_private_segment_wavefront_offset 0
		.amdhsa_system_sgpr_workgroup_id_x 1
		.amdhsa_system_sgpr_workgroup_id_y 0
		.amdhsa_system_sgpr_workgroup_id_z 0
		.amdhsa_system_sgpr_workgroup_info 0
		.amdhsa_system_vgpr_workitem_id 0
		.amdhsa_next_free_vgpr 68
		.amdhsa_next_free_sgpr 16
		.amdhsa_reserve_vcc 1
		.amdhsa_reserve_flat_scratch 0
		.amdhsa_float_round_mode_32 0
		.amdhsa_float_round_mode_16_64 0
		.amdhsa_float_denorm_mode_32 3
		.amdhsa_float_denorm_mode_16_64 3
		.amdhsa_dx10_clamp 1
		.amdhsa_ieee_mode 1
		.amdhsa_fp16_overflow 0
		.amdhsa_workgroup_processor_mode 1
		.amdhsa_memory_ordered 1
		.amdhsa_forward_progress 1
		.amdhsa_shared_vgpr_count 0
		.amdhsa_exception_fp_ieee_invalid_op 0
		.amdhsa_exception_fp_denorm_src 0
		.amdhsa_exception_fp_ieee_div_zero 0
		.amdhsa_exception_fp_ieee_overflow 0
		.amdhsa_exception_fp_ieee_underflow 0
		.amdhsa_exception_fp_ieee_inexact 0
		.amdhsa_exception_int_div_zero 0
	.end_amdhsa_kernel
	.section	.text._ZN9rocsparseL19gebsrmvn_3xn_kernelILj128ELj8ELj64E21rocsparse_complex_numIfEEEvi20rocsparse_direction_NS_24const_host_device_scalarIT2_EEPKiS8_PKS5_SA_S6_PS5_21rocsparse_index_base_b,"axG",@progbits,_ZN9rocsparseL19gebsrmvn_3xn_kernelILj128ELj8ELj64E21rocsparse_complex_numIfEEEvi20rocsparse_direction_NS_24const_host_device_scalarIT2_EEPKiS8_PKS5_SA_S6_PS5_21rocsparse_index_base_b,comdat
.Lfunc_end108:
	.size	_ZN9rocsparseL19gebsrmvn_3xn_kernelILj128ELj8ELj64E21rocsparse_complex_numIfEEEvi20rocsparse_direction_NS_24const_host_device_scalarIT2_EEPKiS8_PKS5_SA_S6_PS5_21rocsparse_index_base_b, .Lfunc_end108-_ZN9rocsparseL19gebsrmvn_3xn_kernelILj128ELj8ELj64E21rocsparse_complex_numIfEEEvi20rocsparse_direction_NS_24const_host_device_scalarIT2_EEPKiS8_PKS5_SA_S6_PS5_21rocsparse_index_base_b
                                        ; -- End function
	.set _ZN9rocsparseL19gebsrmvn_3xn_kernelILj128ELj8ELj64E21rocsparse_complex_numIfEEEvi20rocsparse_direction_NS_24const_host_device_scalarIT2_EEPKiS8_PKS5_SA_S6_PS5_21rocsparse_index_base_b.num_vgpr, 68
	.set _ZN9rocsparseL19gebsrmvn_3xn_kernelILj128ELj8ELj64E21rocsparse_complex_numIfEEEvi20rocsparse_direction_NS_24const_host_device_scalarIT2_EEPKiS8_PKS5_SA_S6_PS5_21rocsparse_index_base_b.num_agpr, 0
	.set _ZN9rocsparseL19gebsrmvn_3xn_kernelILj128ELj8ELj64E21rocsparse_complex_numIfEEEvi20rocsparse_direction_NS_24const_host_device_scalarIT2_EEPKiS8_PKS5_SA_S6_PS5_21rocsparse_index_base_b.numbered_sgpr, 16
	.set _ZN9rocsparseL19gebsrmvn_3xn_kernelILj128ELj8ELj64E21rocsparse_complex_numIfEEEvi20rocsparse_direction_NS_24const_host_device_scalarIT2_EEPKiS8_PKS5_SA_S6_PS5_21rocsparse_index_base_b.num_named_barrier, 0
	.set _ZN9rocsparseL19gebsrmvn_3xn_kernelILj128ELj8ELj64E21rocsparse_complex_numIfEEEvi20rocsparse_direction_NS_24const_host_device_scalarIT2_EEPKiS8_PKS5_SA_S6_PS5_21rocsparse_index_base_b.private_seg_size, 0
	.set _ZN9rocsparseL19gebsrmvn_3xn_kernelILj128ELj8ELj64E21rocsparse_complex_numIfEEEvi20rocsparse_direction_NS_24const_host_device_scalarIT2_EEPKiS8_PKS5_SA_S6_PS5_21rocsparse_index_base_b.uses_vcc, 1
	.set _ZN9rocsparseL19gebsrmvn_3xn_kernelILj128ELj8ELj64E21rocsparse_complex_numIfEEEvi20rocsparse_direction_NS_24const_host_device_scalarIT2_EEPKiS8_PKS5_SA_S6_PS5_21rocsparse_index_base_b.uses_flat_scratch, 0
	.set _ZN9rocsparseL19gebsrmvn_3xn_kernelILj128ELj8ELj64E21rocsparse_complex_numIfEEEvi20rocsparse_direction_NS_24const_host_device_scalarIT2_EEPKiS8_PKS5_SA_S6_PS5_21rocsparse_index_base_b.has_dyn_sized_stack, 0
	.set _ZN9rocsparseL19gebsrmvn_3xn_kernelILj128ELj8ELj64E21rocsparse_complex_numIfEEEvi20rocsparse_direction_NS_24const_host_device_scalarIT2_EEPKiS8_PKS5_SA_S6_PS5_21rocsparse_index_base_b.has_recursion, 0
	.set _ZN9rocsparseL19gebsrmvn_3xn_kernelILj128ELj8ELj64E21rocsparse_complex_numIfEEEvi20rocsparse_direction_NS_24const_host_device_scalarIT2_EEPKiS8_PKS5_SA_S6_PS5_21rocsparse_index_base_b.has_indirect_call, 0
	.section	.AMDGPU.csdata,"",@progbits
; Kernel info:
; codeLenInByte = 4124
; TotalNumSgprs: 18
; NumVgprs: 68
; ScratchSize: 0
; MemoryBound: 0
; FloatMode: 240
; IeeeMode: 1
; LDSByteSize: 0 bytes/workgroup (compile time only)
; SGPRBlocks: 0
; VGPRBlocks: 8
; NumSGPRsForWavesPerEU: 18
; NumVGPRsForWavesPerEU: 68
; Occupancy: 12
; WaveLimiterHint : 1
; COMPUTE_PGM_RSRC2:SCRATCH_EN: 0
; COMPUTE_PGM_RSRC2:USER_SGPR: 6
; COMPUTE_PGM_RSRC2:TRAP_HANDLER: 0
; COMPUTE_PGM_RSRC2:TGID_X_EN: 1
; COMPUTE_PGM_RSRC2:TGID_Y_EN: 0
; COMPUTE_PGM_RSRC2:TGID_Z_EN: 0
; COMPUTE_PGM_RSRC2:TIDIG_COMP_CNT: 0
	.section	.text._ZN9rocsparseL23gebsrmvn_general_kernelILj48ELj16E21rocsparse_complex_numIfEEEvi20rocsparse_direction_NS_24const_host_device_scalarIT1_EEPKiS8_PKS5_iiSA_S6_PS5_21rocsparse_index_base_b,"axG",@progbits,_ZN9rocsparseL23gebsrmvn_general_kernelILj48ELj16E21rocsparse_complex_numIfEEEvi20rocsparse_direction_NS_24const_host_device_scalarIT1_EEPKiS8_PKS5_iiSA_S6_PS5_21rocsparse_index_base_b,comdat
	.globl	_ZN9rocsparseL23gebsrmvn_general_kernelILj48ELj16E21rocsparse_complex_numIfEEEvi20rocsparse_direction_NS_24const_host_device_scalarIT1_EEPKiS8_PKS5_iiSA_S6_PS5_21rocsparse_index_base_b ; -- Begin function _ZN9rocsparseL23gebsrmvn_general_kernelILj48ELj16E21rocsparse_complex_numIfEEEvi20rocsparse_direction_NS_24const_host_device_scalarIT1_EEPKiS8_PKS5_iiSA_S6_PS5_21rocsparse_index_base_b
	.p2align	8
	.type	_ZN9rocsparseL23gebsrmvn_general_kernelILj48ELj16E21rocsparse_complex_numIfEEEvi20rocsparse_direction_NS_24const_host_device_scalarIT1_EEPKiS8_PKS5_iiSA_S6_PS5_21rocsparse_index_base_b,@function
_ZN9rocsparseL23gebsrmvn_general_kernelILj48ELj16E21rocsparse_complex_numIfEEEvi20rocsparse_direction_NS_24const_host_device_scalarIT1_EEPKiS8_PKS5_iiSA_S6_PS5_21rocsparse_index_base_b: ; @_ZN9rocsparseL23gebsrmvn_general_kernelILj48ELj16E21rocsparse_complex_numIfEEEvi20rocsparse_direction_NS_24const_host_device_scalarIT1_EEPKiS8_PKS5_iiSA_S6_PS5_21rocsparse_index_base_b
; %bb.0:
	s_clause 0x2
	s_load_dwordx2 s[12:13], s[4:5], 0x48
	s_load_dwordx2 s[0:1], s[4:5], 0x8
	;; [unrolled: 1-line block ×3, first 2 shown]
	s_add_u32 s7, s4, 8
	s_addc_u32 s8, s5, 0
	s_add_u32 s9, s4, 56
	s_addc_u32 s10, s5, 0
	s_waitcnt lgkmcnt(0)
	s_bitcmp1_b32 s13, 0
	s_cselect_b32 s0, s7, s0
	s_cselect_b32 s1, s8, s1
	v_mov_b32_e32 v1, s0
	v_mov_b32_e32 v2, s1
	s_cselect_b32 s0, s9, s2
	s_cselect_b32 s1, s10, s3
	v_mov_b32_e32 v3, s0
	v_mov_b32_e32 v4, s1
	flat_load_dwordx2 v[1:2], v[1:2]
	flat_load_dwordx2 v[3:4], v[3:4]
	s_waitcnt vmcnt(1) lgkmcnt(1)
	v_cmp_eq_f32_e32 vcc_lo, 0, v1
	v_cmp_eq_f32_e64 s0, 0, v2
	s_and_b32 s2, vcc_lo, s0
	s_mov_b32 s0, -1
	s_and_saveexec_b32 s1, s2
	s_cbranch_execz .LBB109_2
; %bb.1:
	s_waitcnt vmcnt(0) lgkmcnt(0)
	v_cmp_neq_f32_e32 vcc_lo, 1.0, v3
	v_cmp_neq_f32_e64 s0, 0, v4
	s_or_b32 s0, vcc_lo, s0
	s_orn2_b32 s0, s0, exec_lo
.LBB109_2:
	s_or_b32 exec_lo, exec_lo, s1
	s_and_saveexec_b32 s1, s0
	s_cbranch_execz .LBB109_22
; %bb.3:
	s_load_dwordx2 s[14:15], s[4:5], 0x28
	v_lshrrev_b32_e32 v5, 4, v0
	s_waitcnt lgkmcnt(0)
	v_cmp_gt_i32_e32 vcc_lo, s14, v5
	s_and_b32 exec_lo, exec_lo, vcc_lo
	s_cbranch_execz .LBB109_22
; %bb.4:
	s_clause 0x1
	s_load_dwordx4 s[8:11], s[4:5], 0x10
	s_load_dword s20, s[4:5], 0x4
	v_mbcnt_lo_u32_b32 v6, -1, 0
	s_ashr_i32 s7, s6, 31
	v_and_b32_e32 v0, 15, v0
	s_lshl_b64 s[0:1], s[6:7], 2
	s_mov_b32 s7, 0
	v_xor_b32_e32 v7, 8, v6
	v_xor_b32_e32 v8, 4, v6
	;; [unrolled: 1-line block ×4, first 2 shown]
	s_mul_i32 s6, s14, s6
	v_cmp_gt_i32_e32 vcc_lo, 32, v7
	s_mul_i32 s22, s15, 3
	s_mul_i32 s23, s15, s14
	v_cndmask_b32_e32 v11, v6, v7, vcc_lo
	v_cmp_gt_i32_e32 vcc_lo, 32, v8
	s_waitcnt lgkmcnt(0)
	s_add_u32 s0, s8, s0
	s_addc_u32 s1, s9, s1
	v_cndmask_b32_e32 v8, v6, v8, vcc_lo
	s_load_dwordx2 s[2:3], s[0:1], 0x0
	v_cmp_gt_i32_e32 vcc_lo, 32, v9
	s_clause 0x2
	s_load_dwordx2 s[8:9], s[4:5], 0x20
	s_load_dwordx2 s[16:17], s[4:5], 0x30
	s_load_dwordx2 s[4:5], s[4:5], 0x40
	v_cmp_gt_i32_e64 s0, s15, v0
	v_cmp_eq_u32_e64 s1, 15, v0
	v_cndmask_b32_e32 v9, v6, v9, vcc_lo
	v_cmp_gt_i32_e32 vcc_lo, 32, v10
	v_lshlrev_b32_e32 v12, 2, v9
	v_cndmask_b32_e32 v13, v6, v10, vcc_lo
	s_waitcnt vmcnt(0)
	v_cmp_eq_f32_e32 vcc_lo, 0, v3
	v_lshlrev_b32_e32 v10, 2, v11
	v_lshlrev_b32_e32 v11, 2, v8
	;; [unrolled: 1-line block ×3, first 2 shown]
	s_waitcnt lgkmcnt(0)
	s_sub_i32 s13, s2, s12
	s_sub_i32 s18, s3, s12
	v_mad_u64_u32 v[6:7], null, s14, s13, v[5:6]
	s_cmp_lt_i32 s2, s3
	v_cmp_eq_f32_e64 s2, 0, v4
	s_cselect_b32 s19, -1, 0
	s_cmp_lg_u32 s20, 0
	s_cselect_b32 s20, -1, 0
	v_mul_lo_u32 v14, s15, v6
	s_and_b32 s21, vcc_lo, s2
	s_branch .LBB109_6
.LBB109_5:                              ;   in Loop: Header=BB109_6 Depth=1
	s_or_b32 exec_lo, exec_lo, s2
	v_add_nc_u32_e32 v5, 3, v5
	v_add_nc_u32_e32 v14, s22, v14
	v_cmp_le_i32_e32 vcc_lo, s14, v5
	s_or_b32 s7, vcc_lo, s7
	s_andn2_b32 exec_lo, exec_lo, s7
	s_cbranch_execz .LBB109_22
.LBB109_6:                              ; =>This Loop Header: Depth=1
                                        ;     Child Loop BB109_10 Depth 2
                                        ;       Child Loop BB109_13 Depth 3
	v_mov_b32_e32 v8, 0
	s_waitcnt lgkmcnt(0)
	v_mov_b32_e32 v9, 0
	s_andn2_b32 vcc_lo, exec_lo, s19
	s_cbranch_vccnz .LBB109_17
; %bb.7:                                ;   in Loop: Header=BB109_6 Depth=1
	v_mov_b32_e32 v8, 0
	v_mov_b32_e32 v15, v14
	;; [unrolled: 1-line block ×3, first 2 shown]
	s_mov_b32 s2, s13
	s_branch .LBB109_10
.LBB109_8:                              ;   in Loop: Header=BB109_10 Depth=2
	s_inst_prefetch 0x2
	s_or_b32 exec_lo, exec_lo, s25
.LBB109_9:                              ;   in Loop: Header=BB109_10 Depth=2
	s_or_b32 exec_lo, exec_lo, s24
	v_add_nc_u32_e32 v15, s23, v15
	s_add_i32 s2, s2, 1
	s_cmp_ge_i32 s2, s18
	s_cbranch_scc1 .LBB109_17
.LBB109_10:                             ;   Parent Loop BB109_6 Depth=1
                                        ; =>  This Loop Header: Depth=2
                                        ;       Child Loop BB109_13 Depth 3
	s_and_saveexec_b32 s24, s0
	s_cbranch_execz .LBB109_9
; %bb.11:                               ;   in Loop: Header=BB109_10 Depth=2
	s_ashr_i32 s3, s2, 31
	v_mov_b32_e32 v16, v0
	s_lshl_b64 s[26:27], s[2:3], 2
	s_mov_b32 s25, 0
	s_add_u32 s26, s10, s26
	s_addc_u32 s27, s11, s27
	s_load_dword s3, s[26:27], 0x0
	s_waitcnt lgkmcnt(0)
	s_sub_i32 s26, s3, s12
	s_mul_i32 s3, s2, s15
	s_mul_i32 s26, s26, s15
	s_inst_prefetch 0x1
	s_branch .LBB109_13
	.p2align	6
.LBB109_12:                             ;   in Loop: Header=BB109_13 Depth=3
	v_add_nc_u32_e32 v17, s26, v16
	v_ashrrev_i32_e32 v7, 31, v6
	v_add_nc_u32_e32 v16, 16, v16
	v_ashrrev_i32_e32 v18, 31, v17
	v_lshlrev_b64 v[6:7], 3, v[6:7]
	v_lshlrev_b64 v[17:18], 3, v[17:18]
	v_add_co_u32 v6, vcc_lo, s8, v6
	v_add_co_ci_u32_e64 v7, null, s9, v7, vcc_lo
	v_add_co_u32 v17, vcc_lo, s16, v17
	v_add_co_ci_u32_e64 v18, null, s17, v18, vcc_lo
	v_cmp_le_i32_e32 vcc_lo, s15, v16
	global_load_dwordx2 v[6:7], v[6:7], off
	global_load_dwordx2 v[17:18], v[17:18], off
	s_or_b32 s25, vcc_lo, s25
	s_waitcnt vmcnt(0)
	v_fmac_f32_e32 v9, v6, v17
	v_fmac_f32_e32 v8, v7, v17
	v_fma_f32 v9, -v7, v18, v9
	v_fmac_f32_e32 v8, v6, v18
	s_andn2_b32 exec_lo, exec_lo, s25
	s_cbranch_execz .LBB109_8
.LBB109_13:                             ;   Parent Loop BB109_6 Depth=1
                                        ;     Parent Loop BB109_10 Depth=2
                                        ; =>    This Inner Loop Header: Depth=3
	s_and_b32 vcc_lo, exec_lo, s20
	s_cbranch_vccz .LBB109_15
; %bb.14:                               ;   in Loop: Header=BB109_13 Depth=3
	v_add_nc_u32_e32 v6, s3, v16
	v_mad_u64_u32 v[6:7], null, v6, s14, v[5:6]
	s_cbranch_execnz .LBB109_12
	s_branch .LBB109_16
.LBB109_15:                             ;   in Loop: Header=BB109_13 Depth=3
                                        ; implicit-def: $vgpr6
.LBB109_16:                             ;   in Loop: Header=BB109_13 Depth=3
	v_add_nc_u32_e32 v6, v15, v16
	s_branch .LBB109_12
.LBB109_17:                             ;   in Loop: Header=BB109_6 Depth=1
	ds_bpermute_b32 v6, v10, v9
	ds_bpermute_b32 v7, v10, v8
	s_waitcnt lgkmcnt(1)
	v_add_f32_e32 v6, v9, v6
	s_waitcnt lgkmcnt(0)
	v_add_f32_e32 v7, v8, v7
	ds_bpermute_b32 v8, v11, v6
	ds_bpermute_b32 v9, v11, v7
	s_waitcnt lgkmcnt(1)
	v_add_f32_e32 v6, v6, v8
	s_waitcnt lgkmcnt(0)
	v_add_f32_e32 v7, v7, v9
	;; [unrolled: 6-line block ×3, first 2 shown]
	ds_bpermute_b32 v7, v13, v6
	ds_bpermute_b32 v9, v13, v8
	s_and_saveexec_b32 s2, s1
	s_cbranch_execz .LBB109_5
; %bb.18:                               ;   in Loop: Header=BB109_6 Depth=1
	s_waitcnt lgkmcnt(0)
	v_add_f32_e32 v8, v8, v9
	v_add_f32_e32 v9, v6, v7
	v_mul_f32_e64 v6, v8, -v2
	v_mul_f32_e32 v7, v1, v8
	v_add_nc_u32_e32 v8, s6, v5
	v_fmac_f32_e32 v6, v1, v9
	v_fmac_f32_e32 v7, v2, v9
	v_ashrrev_i32_e32 v9, 31, v8
	s_and_saveexec_b32 s3, s21
	s_xor_b32 s3, exec_lo, s3
	s_cbranch_execz .LBB109_20
; %bb.19:                               ;   in Loop: Header=BB109_6 Depth=1
	v_lshlrev_b64 v[8:9], 3, v[8:9]
	v_add_co_u32 v8, vcc_lo, s4, v8
	v_add_co_ci_u32_e64 v9, null, s5, v9, vcc_lo
	global_store_dwordx2 v[8:9], v[6:7], off
                                        ; implicit-def: $vgpr8
                                        ; implicit-def: $vgpr6
.LBB109_20:                             ;   in Loop: Header=BB109_6 Depth=1
	s_andn2_saveexec_b32 s3, s3
	s_cbranch_execz .LBB109_5
; %bb.21:                               ;   in Loop: Header=BB109_6 Depth=1
	v_lshlrev_b64 v[8:9], 3, v[8:9]
	v_add_co_u32 v8, vcc_lo, s4, v8
	v_add_co_ci_u32_e64 v9, null, s5, v9, vcc_lo
	global_load_dwordx2 v[15:16], v[8:9], off
	s_waitcnt vmcnt(0)
	v_fmac_f32_e32 v6, v3, v15
	v_fmac_f32_e32 v7, v4, v15
	v_fma_f32 v6, -v4, v16, v6
	v_fmac_f32_e32 v7, v3, v16
	global_store_dwordx2 v[8:9], v[6:7], off
	s_branch .LBB109_5
.LBB109_22:
	s_endpgm
	.section	.rodata,"a",@progbits
	.p2align	6, 0x0
	.amdhsa_kernel _ZN9rocsparseL23gebsrmvn_general_kernelILj48ELj16E21rocsparse_complex_numIfEEEvi20rocsparse_direction_NS_24const_host_device_scalarIT1_EEPKiS8_PKS5_iiSA_S6_PS5_21rocsparse_index_base_b
		.amdhsa_group_segment_fixed_size 0
		.amdhsa_private_segment_fixed_size 0
		.amdhsa_kernarg_size 80
		.amdhsa_user_sgpr_count 6
		.amdhsa_user_sgpr_private_segment_buffer 1
		.amdhsa_user_sgpr_dispatch_ptr 0
		.amdhsa_user_sgpr_queue_ptr 0
		.amdhsa_user_sgpr_kernarg_segment_ptr 1
		.amdhsa_user_sgpr_dispatch_id 0
		.amdhsa_user_sgpr_flat_scratch_init 0
		.amdhsa_user_sgpr_private_segment_size 0
		.amdhsa_wavefront_size32 1
		.amdhsa_uses_dynamic_stack 0
		.amdhsa_system_sgpr_private_segment_wavefront_offset 0
		.amdhsa_system_sgpr_workgroup_id_x 1
		.amdhsa_system_sgpr_workgroup_id_y 0
		.amdhsa_system_sgpr_workgroup_id_z 0
		.amdhsa_system_sgpr_workgroup_info 0
		.amdhsa_system_vgpr_workitem_id 0
		.amdhsa_next_free_vgpr 19
		.amdhsa_next_free_sgpr 28
		.amdhsa_reserve_vcc 1
		.amdhsa_reserve_flat_scratch 0
		.amdhsa_float_round_mode_32 0
		.amdhsa_float_round_mode_16_64 0
		.amdhsa_float_denorm_mode_32 3
		.amdhsa_float_denorm_mode_16_64 3
		.amdhsa_dx10_clamp 1
		.amdhsa_ieee_mode 1
		.amdhsa_fp16_overflow 0
		.amdhsa_workgroup_processor_mode 1
		.amdhsa_memory_ordered 1
		.amdhsa_forward_progress 1
		.amdhsa_shared_vgpr_count 0
		.amdhsa_exception_fp_ieee_invalid_op 0
		.amdhsa_exception_fp_denorm_src 0
		.amdhsa_exception_fp_ieee_div_zero 0
		.amdhsa_exception_fp_ieee_overflow 0
		.amdhsa_exception_fp_ieee_underflow 0
		.amdhsa_exception_fp_ieee_inexact 0
		.amdhsa_exception_int_div_zero 0
	.end_amdhsa_kernel
	.section	.text._ZN9rocsparseL23gebsrmvn_general_kernelILj48ELj16E21rocsparse_complex_numIfEEEvi20rocsparse_direction_NS_24const_host_device_scalarIT1_EEPKiS8_PKS5_iiSA_S6_PS5_21rocsparse_index_base_b,"axG",@progbits,_ZN9rocsparseL23gebsrmvn_general_kernelILj48ELj16E21rocsparse_complex_numIfEEEvi20rocsparse_direction_NS_24const_host_device_scalarIT1_EEPKiS8_PKS5_iiSA_S6_PS5_21rocsparse_index_base_b,comdat
.Lfunc_end109:
	.size	_ZN9rocsparseL23gebsrmvn_general_kernelILj48ELj16E21rocsparse_complex_numIfEEEvi20rocsparse_direction_NS_24const_host_device_scalarIT1_EEPKiS8_PKS5_iiSA_S6_PS5_21rocsparse_index_base_b, .Lfunc_end109-_ZN9rocsparseL23gebsrmvn_general_kernelILj48ELj16E21rocsparse_complex_numIfEEEvi20rocsparse_direction_NS_24const_host_device_scalarIT1_EEPKiS8_PKS5_iiSA_S6_PS5_21rocsparse_index_base_b
                                        ; -- End function
	.set _ZN9rocsparseL23gebsrmvn_general_kernelILj48ELj16E21rocsparse_complex_numIfEEEvi20rocsparse_direction_NS_24const_host_device_scalarIT1_EEPKiS8_PKS5_iiSA_S6_PS5_21rocsparse_index_base_b.num_vgpr, 19
	.set _ZN9rocsparseL23gebsrmvn_general_kernelILj48ELj16E21rocsparse_complex_numIfEEEvi20rocsparse_direction_NS_24const_host_device_scalarIT1_EEPKiS8_PKS5_iiSA_S6_PS5_21rocsparse_index_base_b.num_agpr, 0
	.set _ZN9rocsparseL23gebsrmvn_general_kernelILj48ELj16E21rocsparse_complex_numIfEEEvi20rocsparse_direction_NS_24const_host_device_scalarIT1_EEPKiS8_PKS5_iiSA_S6_PS5_21rocsparse_index_base_b.numbered_sgpr, 28
	.set _ZN9rocsparseL23gebsrmvn_general_kernelILj48ELj16E21rocsparse_complex_numIfEEEvi20rocsparse_direction_NS_24const_host_device_scalarIT1_EEPKiS8_PKS5_iiSA_S6_PS5_21rocsparse_index_base_b.num_named_barrier, 0
	.set _ZN9rocsparseL23gebsrmvn_general_kernelILj48ELj16E21rocsparse_complex_numIfEEEvi20rocsparse_direction_NS_24const_host_device_scalarIT1_EEPKiS8_PKS5_iiSA_S6_PS5_21rocsparse_index_base_b.private_seg_size, 0
	.set _ZN9rocsparseL23gebsrmvn_general_kernelILj48ELj16E21rocsparse_complex_numIfEEEvi20rocsparse_direction_NS_24const_host_device_scalarIT1_EEPKiS8_PKS5_iiSA_S6_PS5_21rocsparse_index_base_b.uses_vcc, 1
	.set _ZN9rocsparseL23gebsrmvn_general_kernelILj48ELj16E21rocsparse_complex_numIfEEEvi20rocsparse_direction_NS_24const_host_device_scalarIT1_EEPKiS8_PKS5_iiSA_S6_PS5_21rocsparse_index_base_b.uses_flat_scratch, 0
	.set _ZN9rocsparseL23gebsrmvn_general_kernelILj48ELj16E21rocsparse_complex_numIfEEEvi20rocsparse_direction_NS_24const_host_device_scalarIT1_EEPKiS8_PKS5_iiSA_S6_PS5_21rocsparse_index_base_b.has_dyn_sized_stack, 0
	.set _ZN9rocsparseL23gebsrmvn_general_kernelILj48ELj16E21rocsparse_complex_numIfEEEvi20rocsparse_direction_NS_24const_host_device_scalarIT1_EEPKiS8_PKS5_iiSA_S6_PS5_21rocsparse_index_base_b.has_recursion, 0
	.set _ZN9rocsparseL23gebsrmvn_general_kernelILj48ELj16E21rocsparse_complex_numIfEEEvi20rocsparse_direction_NS_24const_host_device_scalarIT1_EEPKiS8_PKS5_iiSA_S6_PS5_21rocsparse_index_base_b.has_indirect_call, 0
	.section	.AMDGPU.csdata,"",@progbits
; Kernel info:
; codeLenInByte = 1080
; TotalNumSgprs: 30
; NumVgprs: 19
; ScratchSize: 0
; MemoryBound: 0
; FloatMode: 240
; IeeeMode: 1
; LDSByteSize: 0 bytes/workgroup (compile time only)
; SGPRBlocks: 0
; VGPRBlocks: 2
; NumSGPRsForWavesPerEU: 30
; NumVGPRsForWavesPerEU: 19
; Occupancy: 16
; WaveLimiterHint : 1
; COMPUTE_PGM_RSRC2:SCRATCH_EN: 0
; COMPUTE_PGM_RSRC2:USER_SGPR: 6
; COMPUTE_PGM_RSRC2:TRAP_HANDLER: 0
; COMPUTE_PGM_RSRC2:TGID_X_EN: 1
; COMPUTE_PGM_RSRC2:TGID_Y_EN: 0
; COMPUTE_PGM_RSRC2:TGID_Z_EN: 0
; COMPUTE_PGM_RSRC2:TIDIG_COMP_CNT: 0
	.section	.text._ZN9rocsparseL23gebsrmvn_general_kernelILj96ELj32E21rocsparse_complex_numIfEEEvi20rocsparse_direction_NS_24const_host_device_scalarIT1_EEPKiS8_PKS5_iiSA_S6_PS5_21rocsparse_index_base_b,"axG",@progbits,_ZN9rocsparseL23gebsrmvn_general_kernelILj96ELj32E21rocsparse_complex_numIfEEEvi20rocsparse_direction_NS_24const_host_device_scalarIT1_EEPKiS8_PKS5_iiSA_S6_PS5_21rocsparse_index_base_b,comdat
	.globl	_ZN9rocsparseL23gebsrmvn_general_kernelILj96ELj32E21rocsparse_complex_numIfEEEvi20rocsparse_direction_NS_24const_host_device_scalarIT1_EEPKiS8_PKS5_iiSA_S6_PS5_21rocsparse_index_base_b ; -- Begin function _ZN9rocsparseL23gebsrmvn_general_kernelILj96ELj32E21rocsparse_complex_numIfEEEvi20rocsparse_direction_NS_24const_host_device_scalarIT1_EEPKiS8_PKS5_iiSA_S6_PS5_21rocsparse_index_base_b
	.p2align	8
	.type	_ZN9rocsparseL23gebsrmvn_general_kernelILj96ELj32E21rocsparse_complex_numIfEEEvi20rocsparse_direction_NS_24const_host_device_scalarIT1_EEPKiS8_PKS5_iiSA_S6_PS5_21rocsparse_index_base_b,@function
_ZN9rocsparseL23gebsrmvn_general_kernelILj96ELj32E21rocsparse_complex_numIfEEEvi20rocsparse_direction_NS_24const_host_device_scalarIT1_EEPKiS8_PKS5_iiSA_S6_PS5_21rocsparse_index_base_b: ; @_ZN9rocsparseL23gebsrmvn_general_kernelILj96ELj32E21rocsparse_complex_numIfEEEvi20rocsparse_direction_NS_24const_host_device_scalarIT1_EEPKiS8_PKS5_iiSA_S6_PS5_21rocsparse_index_base_b
; %bb.0:
	s_clause 0x2
	s_load_dwordx2 s[12:13], s[4:5], 0x48
	s_load_dwordx2 s[0:1], s[4:5], 0x8
	;; [unrolled: 1-line block ×3, first 2 shown]
	s_add_u32 s7, s4, 8
	s_addc_u32 s8, s5, 0
	s_add_u32 s9, s4, 56
	s_addc_u32 s10, s5, 0
	s_waitcnt lgkmcnt(0)
	s_bitcmp1_b32 s13, 0
	s_cselect_b32 s0, s7, s0
	s_cselect_b32 s1, s8, s1
	v_mov_b32_e32 v1, s0
	v_mov_b32_e32 v2, s1
	s_cselect_b32 s0, s9, s2
	s_cselect_b32 s1, s10, s3
	v_mov_b32_e32 v3, s0
	v_mov_b32_e32 v4, s1
	flat_load_dwordx2 v[1:2], v[1:2]
	flat_load_dwordx2 v[3:4], v[3:4]
	s_waitcnt vmcnt(1) lgkmcnt(1)
	v_cmp_eq_f32_e32 vcc_lo, 0, v1
	v_cmp_eq_f32_e64 s0, 0, v2
	s_and_b32 s2, vcc_lo, s0
	s_mov_b32 s0, -1
	s_and_saveexec_b32 s1, s2
	s_cbranch_execz .LBB110_2
; %bb.1:
	s_waitcnt vmcnt(0) lgkmcnt(0)
	v_cmp_neq_f32_e32 vcc_lo, 1.0, v3
	v_cmp_neq_f32_e64 s0, 0, v4
	s_or_b32 s0, vcc_lo, s0
	s_orn2_b32 s0, s0, exec_lo
.LBB110_2:
	s_or_b32 exec_lo, exec_lo, s1
	s_and_saveexec_b32 s1, s0
	s_cbranch_execz .LBB110_22
; %bb.3:
	s_load_dwordx2 s[14:15], s[4:5], 0x28
	v_lshrrev_b32_e32 v5, 5, v0
	s_waitcnt lgkmcnt(0)
	v_cmp_gt_i32_e32 vcc_lo, s14, v5
	s_and_b32 exec_lo, exec_lo, vcc_lo
	s_cbranch_execz .LBB110_22
; %bb.4:
	s_clause 0x1
	s_load_dwordx4 s[8:11], s[4:5], 0x10
	s_load_dword s20, s[4:5], 0x4
	v_mbcnt_lo_u32_b32 v6, -1, 0
	s_ashr_i32 s7, s6, 31
	v_and_b32_e32 v0, 31, v0
	s_lshl_b64 s[0:1], s[6:7], 2
	s_mov_b32 s7, 0
	v_xor_b32_e32 v7, 16, v6
	v_xor_b32_e32 v8, 8, v6
	;; [unrolled: 1-line block ×5, first 2 shown]
	v_cmp_gt_i32_e32 vcc_lo, 32, v7
	s_mul_i32 s6, s14, s6
	s_mul_i32 s22, s15, 3
	;; [unrolled: 1-line block ×3, first 2 shown]
	v_cndmask_b32_e32 v7, v6, v7, vcc_lo
	v_cmp_gt_i32_e32 vcc_lo, 32, v8
	s_waitcnt lgkmcnt(0)
	s_add_u32 s0, s8, s0
	s_addc_u32 s1, s9, s1
	s_load_dwordx2 s[2:3], s[0:1], 0x0
	s_clause 0x2
	s_load_dwordx2 s[8:9], s[4:5], 0x20
	s_load_dwordx2 s[16:17], s[4:5], 0x30
	;; [unrolled: 1-line block ×3, first 2 shown]
	v_cndmask_b32_e32 v8, v6, v8, vcc_lo
	v_cmp_gt_i32_e32 vcc_lo, 32, v9
	v_cmp_gt_i32_e64 s0, s15, v0
	v_cmp_eq_u32_e64 s1, 31, v0
	v_cndmask_b32_e32 v9, v6, v9, vcc_lo
	v_cmp_gt_i32_e32 vcc_lo, 32, v10
	v_lshlrev_b32_e32 v12, 2, v9
	v_cndmask_b32_e32 v13, v6, v10, vcc_lo
	v_cmp_gt_i32_e32 vcc_lo, 32, v11
	v_lshlrev_b32_e32 v10, 2, v7
	s_waitcnt lgkmcnt(0)
	s_sub_i32 s13, s2, s12
	s_sub_i32 s18, s3, s12
	v_cndmask_b32_e32 v14, v6, v11, vcc_lo
	v_mad_u64_u32 v[6:7], null, s14, s13, v[5:6]
	s_cmp_lt_i32 s2, s3
	s_waitcnt vmcnt(0)
	v_cmp_eq_f32_e32 vcc_lo, 0, v3
	v_cmp_eq_f32_e64 s2, 0, v4
	v_lshlrev_b32_e32 v11, 2, v8
	v_lshlrev_b32_e32 v13, 2, v13
	;; [unrolled: 1-line block ×3, first 2 shown]
	v_mul_lo_u32 v15, s15, v6
	s_cselect_b32 s19, -1, 0
	s_cmp_lg_u32 s20, 0
	s_cselect_b32 s20, -1, 0
	s_and_b32 s21, vcc_lo, s2
	s_branch .LBB110_6
.LBB110_5:                              ;   in Loop: Header=BB110_6 Depth=1
	s_or_b32 exec_lo, exec_lo, s2
	v_add_nc_u32_e32 v5, 3, v5
	v_add_nc_u32_e32 v15, s22, v15
	v_cmp_le_i32_e32 vcc_lo, s14, v5
	s_or_b32 s7, vcc_lo, s7
	s_andn2_b32 exec_lo, exec_lo, s7
	s_cbranch_execz .LBB110_22
.LBB110_6:                              ; =>This Loop Header: Depth=1
                                        ;     Child Loop BB110_10 Depth 2
                                        ;       Child Loop BB110_13 Depth 3
	v_mov_b32_e32 v8, 0
	s_waitcnt lgkmcnt(0)
	v_mov_b32_e32 v9, 0
	s_andn2_b32 vcc_lo, exec_lo, s19
	s_cbranch_vccnz .LBB110_17
; %bb.7:                                ;   in Loop: Header=BB110_6 Depth=1
	v_mov_b32_e32 v8, 0
	v_mov_b32_e32 v16, v15
	v_mov_b32_e32 v9, 0
	s_mov_b32 s2, s13
	s_branch .LBB110_10
.LBB110_8:                              ;   in Loop: Header=BB110_10 Depth=2
	s_inst_prefetch 0x2
	s_or_b32 exec_lo, exec_lo, s25
.LBB110_9:                              ;   in Loop: Header=BB110_10 Depth=2
	s_or_b32 exec_lo, exec_lo, s24
	v_add_nc_u32_e32 v16, s23, v16
	s_add_i32 s2, s2, 1
	s_cmp_ge_i32 s2, s18
	s_cbranch_scc1 .LBB110_17
.LBB110_10:                             ;   Parent Loop BB110_6 Depth=1
                                        ; =>  This Loop Header: Depth=2
                                        ;       Child Loop BB110_13 Depth 3
	s_and_saveexec_b32 s24, s0
	s_cbranch_execz .LBB110_9
; %bb.11:                               ;   in Loop: Header=BB110_10 Depth=2
	s_ashr_i32 s3, s2, 31
	v_mov_b32_e32 v17, v0
	s_lshl_b64 s[26:27], s[2:3], 2
	s_mov_b32 s25, 0
	s_add_u32 s26, s10, s26
	s_addc_u32 s27, s11, s27
	s_load_dword s3, s[26:27], 0x0
	s_waitcnt lgkmcnt(0)
	s_sub_i32 s26, s3, s12
	s_mul_i32 s3, s2, s15
	s_mul_i32 s26, s26, s15
	s_inst_prefetch 0x1
	s_branch .LBB110_13
	.p2align	6
.LBB110_12:                             ;   in Loop: Header=BB110_13 Depth=3
	v_add_nc_u32_e32 v18, s26, v17
	v_ashrrev_i32_e32 v7, 31, v6
	v_add_nc_u32_e32 v17, 32, v17
	v_ashrrev_i32_e32 v19, 31, v18
	v_lshlrev_b64 v[6:7], 3, v[6:7]
	v_lshlrev_b64 v[18:19], 3, v[18:19]
	v_add_co_u32 v6, vcc_lo, s8, v6
	v_add_co_ci_u32_e64 v7, null, s9, v7, vcc_lo
	v_add_co_u32 v18, vcc_lo, s16, v18
	v_add_co_ci_u32_e64 v19, null, s17, v19, vcc_lo
	v_cmp_le_i32_e32 vcc_lo, s15, v17
	global_load_dwordx2 v[6:7], v[6:7], off
	global_load_dwordx2 v[18:19], v[18:19], off
	s_or_b32 s25, vcc_lo, s25
	s_waitcnt vmcnt(0)
	v_fmac_f32_e32 v9, v6, v18
	v_fmac_f32_e32 v8, v7, v18
	v_fma_f32 v9, -v7, v19, v9
	v_fmac_f32_e32 v8, v6, v19
	s_andn2_b32 exec_lo, exec_lo, s25
	s_cbranch_execz .LBB110_8
.LBB110_13:                             ;   Parent Loop BB110_6 Depth=1
                                        ;     Parent Loop BB110_10 Depth=2
                                        ; =>    This Inner Loop Header: Depth=3
	s_and_b32 vcc_lo, exec_lo, s20
	s_cbranch_vccz .LBB110_15
; %bb.14:                               ;   in Loop: Header=BB110_13 Depth=3
	v_add_nc_u32_e32 v6, s3, v17
	v_mad_u64_u32 v[6:7], null, v6, s14, v[5:6]
	s_cbranch_execnz .LBB110_12
	s_branch .LBB110_16
.LBB110_15:                             ;   in Loop: Header=BB110_13 Depth=3
                                        ; implicit-def: $vgpr6
.LBB110_16:                             ;   in Loop: Header=BB110_13 Depth=3
	v_add_nc_u32_e32 v6, v16, v17
	s_branch .LBB110_12
.LBB110_17:                             ;   in Loop: Header=BB110_6 Depth=1
	ds_bpermute_b32 v6, v10, v9
	ds_bpermute_b32 v7, v10, v8
	s_waitcnt lgkmcnt(1)
	v_add_f32_e32 v6, v9, v6
	s_waitcnt lgkmcnt(0)
	v_add_f32_e32 v7, v8, v7
	ds_bpermute_b32 v8, v11, v6
	ds_bpermute_b32 v9, v11, v7
	s_waitcnt lgkmcnt(1)
	v_add_f32_e32 v6, v6, v8
	s_waitcnt lgkmcnt(0)
	v_add_f32_e32 v7, v7, v9
	;; [unrolled: 6-line block ×4, first 2 shown]
	ds_bpermute_b32 v7, v14, v6
	ds_bpermute_b32 v9, v14, v8
	s_and_saveexec_b32 s2, s1
	s_cbranch_execz .LBB110_5
; %bb.18:                               ;   in Loop: Header=BB110_6 Depth=1
	s_waitcnt lgkmcnt(0)
	v_add_f32_e32 v8, v8, v9
	v_add_f32_e32 v9, v6, v7
	v_mul_f32_e64 v6, v8, -v2
	v_mul_f32_e32 v7, v1, v8
	v_add_nc_u32_e32 v8, s6, v5
	v_fmac_f32_e32 v6, v1, v9
	v_fmac_f32_e32 v7, v2, v9
	v_ashrrev_i32_e32 v9, 31, v8
	s_and_saveexec_b32 s3, s21
	s_xor_b32 s3, exec_lo, s3
	s_cbranch_execz .LBB110_20
; %bb.19:                               ;   in Loop: Header=BB110_6 Depth=1
	v_lshlrev_b64 v[8:9], 3, v[8:9]
	v_add_co_u32 v8, vcc_lo, s4, v8
	v_add_co_ci_u32_e64 v9, null, s5, v9, vcc_lo
	global_store_dwordx2 v[8:9], v[6:7], off
                                        ; implicit-def: $vgpr8
                                        ; implicit-def: $vgpr6
.LBB110_20:                             ;   in Loop: Header=BB110_6 Depth=1
	s_andn2_saveexec_b32 s3, s3
	s_cbranch_execz .LBB110_5
; %bb.21:                               ;   in Loop: Header=BB110_6 Depth=1
	v_lshlrev_b64 v[8:9], 3, v[8:9]
	v_add_co_u32 v8, vcc_lo, s4, v8
	v_add_co_ci_u32_e64 v9, null, s5, v9, vcc_lo
	global_load_dwordx2 v[16:17], v[8:9], off
	s_waitcnt vmcnt(0)
	v_fmac_f32_e32 v6, v3, v16
	v_fmac_f32_e32 v7, v4, v16
	v_fma_f32 v6, -v4, v17, v6
	v_fmac_f32_e32 v7, v3, v17
	global_store_dwordx2 v[8:9], v[6:7], off
	s_branch .LBB110_5
.LBB110_22:
	s_endpgm
	.section	.rodata,"a",@progbits
	.p2align	6, 0x0
	.amdhsa_kernel _ZN9rocsparseL23gebsrmvn_general_kernelILj96ELj32E21rocsparse_complex_numIfEEEvi20rocsparse_direction_NS_24const_host_device_scalarIT1_EEPKiS8_PKS5_iiSA_S6_PS5_21rocsparse_index_base_b
		.amdhsa_group_segment_fixed_size 0
		.amdhsa_private_segment_fixed_size 0
		.amdhsa_kernarg_size 80
		.amdhsa_user_sgpr_count 6
		.amdhsa_user_sgpr_private_segment_buffer 1
		.amdhsa_user_sgpr_dispatch_ptr 0
		.amdhsa_user_sgpr_queue_ptr 0
		.amdhsa_user_sgpr_kernarg_segment_ptr 1
		.amdhsa_user_sgpr_dispatch_id 0
		.amdhsa_user_sgpr_flat_scratch_init 0
		.amdhsa_user_sgpr_private_segment_size 0
		.amdhsa_wavefront_size32 1
		.amdhsa_uses_dynamic_stack 0
		.amdhsa_system_sgpr_private_segment_wavefront_offset 0
		.amdhsa_system_sgpr_workgroup_id_x 1
		.amdhsa_system_sgpr_workgroup_id_y 0
		.amdhsa_system_sgpr_workgroup_id_z 0
		.amdhsa_system_sgpr_workgroup_info 0
		.amdhsa_system_vgpr_workitem_id 0
		.amdhsa_next_free_vgpr 20
		.amdhsa_next_free_sgpr 28
		.amdhsa_reserve_vcc 1
		.amdhsa_reserve_flat_scratch 0
		.amdhsa_float_round_mode_32 0
		.amdhsa_float_round_mode_16_64 0
		.amdhsa_float_denorm_mode_32 3
		.amdhsa_float_denorm_mode_16_64 3
		.amdhsa_dx10_clamp 1
		.amdhsa_ieee_mode 1
		.amdhsa_fp16_overflow 0
		.amdhsa_workgroup_processor_mode 1
		.amdhsa_memory_ordered 1
		.amdhsa_forward_progress 1
		.amdhsa_shared_vgpr_count 0
		.amdhsa_exception_fp_ieee_invalid_op 0
		.amdhsa_exception_fp_denorm_src 0
		.amdhsa_exception_fp_ieee_div_zero 0
		.amdhsa_exception_fp_ieee_overflow 0
		.amdhsa_exception_fp_ieee_underflow 0
		.amdhsa_exception_fp_ieee_inexact 0
		.amdhsa_exception_int_div_zero 0
	.end_amdhsa_kernel
	.section	.text._ZN9rocsparseL23gebsrmvn_general_kernelILj96ELj32E21rocsparse_complex_numIfEEEvi20rocsparse_direction_NS_24const_host_device_scalarIT1_EEPKiS8_PKS5_iiSA_S6_PS5_21rocsparse_index_base_b,"axG",@progbits,_ZN9rocsparseL23gebsrmvn_general_kernelILj96ELj32E21rocsparse_complex_numIfEEEvi20rocsparse_direction_NS_24const_host_device_scalarIT1_EEPKiS8_PKS5_iiSA_S6_PS5_21rocsparse_index_base_b,comdat
.Lfunc_end110:
	.size	_ZN9rocsparseL23gebsrmvn_general_kernelILj96ELj32E21rocsparse_complex_numIfEEEvi20rocsparse_direction_NS_24const_host_device_scalarIT1_EEPKiS8_PKS5_iiSA_S6_PS5_21rocsparse_index_base_b, .Lfunc_end110-_ZN9rocsparseL23gebsrmvn_general_kernelILj96ELj32E21rocsparse_complex_numIfEEEvi20rocsparse_direction_NS_24const_host_device_scalarIT1_EEPKiS8_PKS5_iiSA_S6_PS5_21rocsparse_index_base_b
                                        ; -- End function
	.set _ZN9rocsparseL23gebsrmvn_general_kernelILj96ELj32E21rocsparse_complex_numIfEEEvi20rocsparse_direction_NS_24const_host_device_scalarIT1_EEPKiS8_PKS5_iiSA_S6_PS5_21rocsparse_index_base_b.num_vgpr, 20
	.set _ZN9rocsparseL23gebsrmvn_general_kernelILj96ELj32E21rocsparse_complex_numIfEEEvi20rocsparse_direction_NS_24const_host_device_scalarIT1_EEPKiS8_PKS5_iiSA_S6_PS5_21rocsparse_index_base_b.num_agpr, 0
	.set _ZN9rocsparseL23gebsrmvn_general_kernelILj96ELj32E21rocsparse_complex_numIfEEEvi20rocsparse_direction_NS_24const_host_device_scalarIT1_EEPKiS8_PKS5_iiSA_S6_PS5_21rocsparse_index_base_b.numbered_sgpr, 28
	.set _ZN9rocsparseL23gebsrmvn_general_kernelILj96ELj32E21rocsparse_complex_numIfEEEvi20rocsparse_direction_NS_24const_host_device_scalarIT1_EEPKiS8_PKS5_iiSA_S6_PS5_21rocsparse_index_base_b.num_named_barrier, 0
	.set _ZN9rocsparseL23gebsrmvn_general_kernelILj96ELj32E21rocsparse_complex_numIfEEEvi20rocsparse_direction_NS_24const_host_device_scalarIT1_EEPKiS8_PKS5_iiSA_S6_PS5_21rocsparse_index_base_b.private_seg_size, 0
	.set _ZN9rocsparseL23gebsrmvn_general_kernelILj96ELj32E21rocsparse_complex_numIfEEEvi20rocsparse_direction_NS_24const_host_device_scalarIT1_EEPKiS8_PKS5_iiSA_S6_PS5_21rocsparse_index_base_b.uses_vcc, 1
	.set _ZN9rocsparseL23gebsrmvn_general_kernelILj96ELj32E21rocsparse_complex_numIfEEEvi20rocsparse_direction_NS_24const_host_device_scalarIT1_EEPKiS8_PKS5_iiSA_S6_PS5_21rocsparse_index_base_b.uses_flat_scratch, 0
	.set _ZN9rocsparseL23gebsrmvn_general_kernelILj96ELj32E21rocsparse_complex_numIfEEEvi20rocsparse_direction_NS_24const_host_device_scalarIT1_EEPKiS8_PKS5_iiSA_S6_PS5_21rocsparse_index_base_b.has_dyn_sized_stack, 0
	.set _ZN9rocsparseL23gebsrmvn_general_kernelILj96ELj32E21rocsparse_complex_numIfEEEvi20rocsparse_direction_NS_24const_host_device_scalarIT1_EEPKiS8_PKS5_iiSA_S6_PS5_21rocsparse_index_base_b.has_recursion, 0
	.set _ZN9rocsparseL23gebsrmvn_general_kernelILj96ELj32E21rocsparse_complex_numIfEEEvi20rocsparse_direction_NS_24const_host_device_scalarIT1_EEPKiS8_PKS5_iiSA_S6_PS5_21rocsparse_index_base_b.has_indirect_call, 0
	.section	.AMDGPU.csdata,"",@progbits
; Kernel info:
; codeLenInByte = 1112
; TotalNumSgprs: 30
; NumVgprs: 20
; ScratchSize: 0
; MemoryBound: 0
; FloatMode: 240
; IeeeMode: 1
; LDSByteSize: 0 bytes/workgroup (compile time only)
; SGPRBlocks: 0
; VGPRBlocks: 2
; NumSGPRsForWavesPerEU: 30
; NumVGPRsForWavesPerEU: 20
; Occupancy: 16
; WaveLimiterHint : 1
; COMPUTE_PGM_RSRC2:SCRATCH_EN: 0
; COMPUTE_PGM_RSRC2:USER_SGPR: 6
; COMPUTE_PGM_RSRC2:TRAP_HANDLER: 0
; COMPUTE_PGM_RSRC2:TGID_X_EN: 1
; COMPUTE_PGM_RSRC2:TGID_Y_EN: 0
; COMPUTE_PGM_RSRC2:TGID_Z_EN: 0
; COMPUTE_PGM_RSRC2:TIDIG_COMP_CNT: 0
	.section	.text._ZN9rocsparseL19gebsrmvn_3xn_kernelILj128ELj1ELj4E21rocsparse_complex_numIdEEEvi20rocsparse_direction_NS_24const_host_device_scalarIT2_EEPKiS8_PKS5_SA_S6_PS5_21rocsparse_index_base_b,"axG",@progbits,_ZN9rocsparseL19gebsrmvn_3xn_kernelILj128ELj1ELj4E21rocsparse_complex_numIdEEEvi20rocsparse_direction_NS_24const_host_device_scalarIT2_EEPKiS8_PKS5_SA_S6_PS5_21rocsparse_index_base_b,comdat
	.globl	_ZN9rocsparseL19gebsrmvn_3xn_kernelILj128ELj1ELj4E21rocsparse_complex_numIdEEEvi20rocsparse_direction_NS_24const_host_device_scalarIT2_EEPKiS8_PKS5_SA_S6_PS5_21rocsparse_index_base_b ; -- Begin function _ZN9rocsparseL19gebsrmvn_3xn_kernelILj128ELj1ELj4E21rocsparse_complex_numIdEEEvi20rocsparse_direction_NS_24const_host_device_scalarIT2_EEPKiS8_PKS5_SA_S6_PS5_21rocsparse_index_base_b
	.p2align	8
	.type	_ZN9rocsparseL19gebsrmvn_3xn_kernelILj128ELj1ELj4E21rocsparse_complex_numIdEEEvi20rocsparse_direction_NS_24const_host_device_scalarIT2_EEPKiS8_PKS5_SA_S6_PS5_21rocsparse_index_base_b,@function
_ZN9rocsparseL19gebsrmvn_3xn_kernelILj128ELj1ELj4E21rocsparse_complex_numIdEEEvi20rocsparse_direction_NS_24const_host_device_scalarIT2_EEPKiS8_PKS5_SA_S6_PS5_21rocsparse_index_base_b: ; @_ZN9rocsparseL19gebsrmvn_3xn_kernelILj128ELj1ELj4E21rocsparse_complex_numIdEEEvi20rocsparse_direction_NS_24const_host_device_scalarIT2_EEPKiS8_PKS5_SA_S6_PS5_21rocsparse_index_base_b
; %bb.0:
	s_clause 0x1
	s_load_dwordx2 s[2:3], s[4:5], 0x50
	s_load_dwordx2 s[0:1], s[4:5], 0x8
	s_add_u32 s7, s4, 8
	s_addc_u32 s10, s5, 0
	s_add_u32 s11, s4, 56
	s_addc_u32 s12, s5, 0
	s_load_dwordx2 s[8:9], s[4:5], 0x38
	s_waitcnt lgkmcnt(0)
	s_bitcmp1_b32 s3, 0
	s_cselect_b32 s0, s7, s0
	s_cselect_b32 s1, s10, s1
	v_mov_b32_e32 v1, s0
	v_mov_b32_e32 v2, s1
	s_cselect_b32 s0, s11, s8
	s_cselect_b32 s1, s12, s9
	v_mov_b32_e32 v5, s0
	v_mov_b32_e32 v6, s1
	flat_load_dwordx4 v[1:4], v[1:2]
	flat_load_dwordx4 v[5:8], v[5:6]
	s_waitcnt vmcnt(1) lgkmcnt(1)
	v_cmp_eq_f64_e32 vcc_lo, 0, v[1:2]
	v_cmp_eq_f64_e64 s0, 0, v[3:4]
	s_and_b32 s3, vcc_lo, s0
	s_mov_b32 s0, -1
	s_and_saveexec_b32 s1, s3
	s_cbranch_execz .LBB111_2
; %bb.1:
	s_waitcnt vmcnt(0) lgkmcnt(0)
	v_cmp_neq_f64_e32 vcc_lo, 1.0, v[5:6]
	v_cmp_neq_f64_e64 s0, 0, v[7:8]
	s_or_b32 s0, vcc_lo, s0
	s_orn2_b32 s0, s0, exec_lo
.LBB111_2:
	s_or_b32 exec_lo, exec_lo, s1
	s_and_saveexec_b32 s1, s0
	s_cbranch_execz .LBB111_21
; %bb.3:
	s_load_dwordx2 s[0:1], s[4:5], 0x0
	v_lshrrev_b32_e32 v9, 2, v0
	v_lshl_or_b32 v9, s6, 5, v9
	s_waitcnt lgkmcnt(0)
	v_cmp_gt_i32_e32 vcc_lo, s0, v9
	s_and_b32 exec_lo, exec_lo, vcc_lo
	s_cbranch_execz .LBB111_21
; %bb.4:
	s_load_dwordx8 s[8:15], s[4:5], 0x18
	v_ashrrev_i32_e32 v10, 31, v9
	v_and_b32_e32 v0, 3, v0
	s_cmp_lg_u32 s1, 0
	v_lshlrev_b64 v[10:11], 2, v[9:10]
	s_waitcnt lgkmcnt(0)
	v_add_co_u32 v10, vcc_lo, s8, v10
	v_add_co_ci_u32_e64 v11, null, s9, v11, vcc_lo
	global_load_dwordx2 v[10:11], v[10:11], off
	s_waitcnt vmcnt(0)
	v_subrev_nc_u32_e32 v10, s2, v10
	v_subrev_nc_u32_e32 v27, s2, v11
	v_add_nc_u32_e32 v22, v10, v0
	v_cmp_lt_i32_e64 s0, v22, v27
	s_cbranch_scc0 .LBB111_10
; %bb.5:
	v_mov_b32_e32 v10, 0
	v_mov_b32_e32 v16, 0
	;; [unrolled: 1-line block ×12, first 2 shown]
	s_and_saveexec_b32 s1, s0
	s_cbranch_execz .LBB111_9
; %bb.6:
	v_mov_b32_e32 v10, 0
	v_mov_b32_e32 v16, 0
	;; [unrolled: 1-line block ×6, first 2 shown]
	v_lshl_add_u32 v23, v22, 1, v22
	v_mov_b32_e32 v11, 0
	v_mov_b32_e32 v24, 0
	;; [unrolled: 1-line block ×8, first 2 shown]
	s_mov_b32 s3, 0
.LBB111_7:                              ; =>This Inner Loop Header: Depth=1
	v_ashrrev_i32_e32 v26, 31, v25
	v_add_nc_u32_e32 v30, 2, v23
	v_mov_b32_e32 v31, v24
	v_lshlrev_b64 v[32:33], 4, v[23:24]
	v_mov_b32_e32 v41, v24
	v_lshlrev_b64 v[28:29], 2, v[25:26]
	v_add_nc_u32_e32 v25, 4, v25
	v_lshlrev_b64 v[30:31], 4, v[30:31]
	v_add_co_u32 v28, vcc_lo, s10, v28
	v_add_co_ci_u32_e64 v29, null, s11, v29, vcc_lo
	v_add_co_u32 v32, vcc_lo, s12, v32
	v_add_co_ci_u32_e64 v33, null, s13, v33, vcc_lo
	global_load_dword v26, v[28:29], off
	v_add_nc_u32_e32 v28, 1, v23
	v_mov_b32_e32 v29, v24
	v_add_nc_u32_e32 v23, 12, v23
	v_lshlrev_b64 v[28:29], 4, v[28:29]
	v_add_co_u32 v34, vcc_lo, s12, v28
	v_add_co_ci_u32_e64 v35, null, s13, v29, vcc_lo
	v_add_co_u32 v36, vcc_lo, s12, v30
	v_add_co_ci_u32_e64 v37, null, s13, v31, vcc_lo
	s_clause 0x2
	global_load_dwordx4 v[28:31], v[32:33], off
	global_load_dwordx4 v[32:35], v[34:35], off
	global_load_dwordx4 v[36:39], v[36:37], off
	s_waitcnt vmcnt(3)
	v_subrev_nc_u32_e32 v40, s2, v26
	v_lshlrev_b64 v[40:41], 4, v[40:41]
	v_add_co_u32 v40, vcc_lo, s14, v40
	v_add_co_ci_u32_e64 v41, null, s15, v41, vcc_lo
	v_cmp_ge_i32_e32 vcc_lo, v25, v27
	global_load_dwordx4 v[40:43], v[40:41], off
	s_or_b32 s3, vcc_lo, s3
	s_waitcnt vmcnt(0)
	v_fma_f64 v[16:17], v[28:29], v[40:41], v[16:17]
	v_fma_f64 v[10:11], v[30:31], v[40:41], v[10:11]
	;; [unrolled: 1-line block ×6, first 2 shown]
	v_fma_f64 v[16:17], -v[30:31], v[42:43], v[16:17]
	v_fma_f64 v[10:11], v[28:29], v[42:43], v[10:11]
	v_fma_f64 v[20:21], -v[34:35], v[42:43], v[20:21]
	v_fma_f64 v[18:19], v[32:33], v[42:43], v[18:19]
	;; [unrolled: 2-line block ×3, first 2 shown]
	s_andn2_b32 exec_lo, exec_lo, s3
	s_cbranch_execnz .LBB111_7
; %bb.8:
	s_or_b32 exec_lo, exec_lo, s3
.LBB111_9:
	s_or_b32 exec_lo, exec_lo, s1
	s_cbranch_execz .LBB111_11
	s_branch .LBB111_16
.LBB111_10:
                                        ; implicit-def: $vgpr10_vgpr11
                                        ; implicit-def: $vgpr16_vgpr17
                                        ; implicit-def: $vgpr12_vgpr13
                                        ; implicit-def: $vgpr14_vgpr15
                                        ; implicit-def: $vgpr20_vgpr21
                                        ; implicit-def: $vgpr18_vgpr19
.LBB111_11:
	v_mov_b32_e32 v10, 0
	v_mov_b32_e32 v16, 0
	;; [unrolled: 1-line block ×12, first 2 shown]
	s_and_saveexec_b32 s1, s0
	s_cbranch_execz .LBB111_15
; %bb.12:
	v_mov_b32_e32 v10, 0
	v_mov_b32_e32 v16, 0
	;; [unrolled: 1-line block ×6, first 2 shown]
	v_lshl_add_u32 v24, v22, 1, v22
	v_mov_b32_e32 v11, 0
	v_mov_b32_e32 v17, 0
	;; [unrolled: 1-line block ×7, first 2 shown]
	s_mov_b32 s0, 0
.LBB111_13:                             ; =>This Inner Loop Header: Depth=1
	v_ashrrev_i32_e32 v23, 31, v22
	v_add_nc_u32_e32 v30, 2, v24
	v_mov_b32_e32 v31, v25
	v_lshlrev_b64 v[32:33], 4, v[24:25]
	v_mov_b32_e32 v41, v25
	v_lshlrev_b64 v[28:29], 2, v[22:23]
	v_add_nc_u32_e32 v22, 4, v22
	v_lshlrev_b64 v[30:31], 4, v[30:31]
	v_add_co_u32 v28, vcc_lo, s10, v28
	v_add_co_ci_u32_e64 v29, null, s11, v29, vcc_lo
	v_add_co_u32 v32, vcc_lo, s12, v32
	v_add_co_ci_u32_e64 v33, null, s13, v33, vcc_lo
	global_load_dword v23, v[28:29], off
	v_add_nc_u32_e32 v28, 1, v24
	v_mov_b32_e32 v29, v25
	v_add_nc_u32_e32 v24, 12, v24
	v_lshlrev_b64 v[28:29], 4, v[28:29]
	v_add_co_u32 v34, vcc_lo, s12, v28
	v_add_co_ci_u32_e64 v35, null, s13, v29, vcc_lo
	v_add_co_u32 v36, vcc_lo, s12, v30
	v_add_co_ci_u32_e64 v37, null, s13, v31, vcc_lo
	s_clause 0x2
	global_load_dwordx4 v[28:31], v[32:33], off
	global_load_dwordx4 v[32:35], v[34:35], off
	;; [unrolled: 1-line block ×3, first 2 shown]
	s_waitcnt vmcnt(3)
	v_subrev_nc_u32_e32 v40, s2, v23
	v_lshlrev_b64 v[40:41], 4, v[40:41]
	v_add_co_u32 v40, vcc_lo, s14, v40
	v_add_co_ci_u32_e64 v41, null, s15, v41, vcc_lo
	v_cmp_ge_i32_e32 vcc_lo, v22, v27
	global_load_dwordx4 v[40:43], v[40:41], off
	s_or_b32 s0, vcc_lo, s0
	s_waitcnt vmcnt(0)
	v_fma_f64 v[16:17], v[28:29], v[40:41], v[16:17]
	v_fma_f64 v[10:11], v[30:31], v[40:41], v[10:11]
	;; [unrolled: 1-line block ×6, first 2 shown]
	v_fma_f64 v[16:17], -v[30:31], v[42:43], v[16:17]
	v_fma_f64 v[10:11], v[28:29], v[42:43], v[10:11]
	v_fma_f64 v[20:21], -v[34:35], v[42:43], v[20:21]
	v_fma_f64 v[18:19], v[32:33], v[42:43], v[18:19]
	;; [unrolled: 2-line block ×3, first 2 shown]
	s_andn2_b32 exec_lo, exec_lo, s0
	s_cbranch_execnz .LBB111_13
; %bb.14:
	s_or_b32 exec_lo, exec_lo, s0
.LBB111_15:
	s_or_b32 exec_lo, exec_lo, s1
.LBB111_16:
	v_mbcnt_lo_u32_b32 v38, -1, 0
	v_xor_b32_e32 v22, 2, v38
	v_cmp_gt_i32_e32 vcc_lo, 32, v22
	v_cndmask_b32_e32 v22, v38, v22, vcc_lo
	v_lshlrev_b32_e32 v26, 2, v22
	ds_bpermute_b32 v22, v26, v16
	ds_bpermute_b32 v23, v26, v17
	;; [unrolled: 1-line block ×12, first 2 shown]
	s_waitcnt lgkmcnt(10)
	v_add_f64 v[28:29], v[16:17], v[22:23]
	s_waitcnt lgkmcnt(8)
	v_add_f64 v[26:27], v[10:11], v[24:25]
	v_xor_b32_e32 v10, 1, v38
	s_waitcnt lgkmcnt(6)
	v_add_f64 v[24:25], v[20:21], v[30:31]
	s_waitcnt lgkmcnt(4)
	v_add_f64 v[18:19], v[18:19], v[32:33]
	;; [unrolled: 2-line block ×3, first 2 shown]
	v_cmp_gt_i32_e32 vcc_lo, 32, v10
	s_waitcnt lgkmcnt(0)
	v_add_f64 v[22:23], v[14:15], v[36:37]
	v_cndmask_b32_e32 v10, v38, v10, vcc_lo
	v_cmp_eq_u32_e32 vcc_lo, 3, v0
	v_lshlrev_b32_e32 v31, 2, v10
	ds_bpermute_b32 v10, v31, v28
	ds_bpermute_b32 v11, v31, v29
	ds_bpermute_b32 v20, v31, v26
	ds_bpermute_b32 v21, v31, v27
	ds_bpermute_b32 v12, v31, v24
	ds_bpermute_b32 v13, v31, v25
	ds_bpermute_b32 v32, v31, v18
	ds_bpermute_b32 v33, v31, v19
	ds_bpermute_b32 v14, v31, v16
	ds_bpermute_b32 v15, v31, v17
	ds_bpermute_b32 v30, v31, v22
	ds_bpermute_b32 v31, v31, v23
	s_and_b32 exec_lo, exec_lo, vcc_lo
	s_cbranch_execz .LBB111_21
; %bb.17:
	v_cmp_eq_f64_e32 vcc_lo, 0, v[5:6]
	v_cmp_eq_f64_e64 s0, 0, v[7:8]
	s_waitcnt lgkmcnt(10)
	v_add_f64 v[10:11], v[28:29], v[10:11]
	s_waitcnt lgkmcnt(8)
	v_add_f64 v[20:21], v[26:27], v[20:21]
	;; [unrolled: 2-line block ×6, first 2 shown]
	s_load_dwordx2 s[2:3], s[4:5], 0x48
	s_and_b32 s0, vcc_lo, s0
	s_and_saveexec_b32 s1, s0
	s_xor_b32 s0, exec_lo, s1
	s_cbranch_execz .LBB111_19
; %bb.18:
	v_mul_f64 v[5:6], v[20:21], -v[3:4]
	v_mul_f64 v[7:8], v[1:2], v[20:21]
	v_mul_f64 v[20:21], v[18:19], -v[3:4]
	v_mul_f64 v[18:19], v[1:2], v[18:19]
	;; [unrolled: 2-line block ×3, first 2 shown]
	v_lshl_add_u32 v24, v9, 1, v9
	v_ashrrev_i32_e32 v25, 31, v24
	v_fma_f64 v[5:6], v[1:2], v[10:11], v[5:6]
	v_fma_f64 v[7:8], v[3:4], v[10:11], v[7:8]
	;; [unrolled: 1-line block ×6, first 2 shown]
	v_lshlrev_b64 v[13:14], 4, v[24:25]
                                        ; implicit-def: $vgpr20_vgpr21
                                        ; implicit-def: $vgpr18_vgpr19
                                        ; implicit-def: $vgpr16_vgpr17
	s_waitcnt lgkmcnt(0)
	v_add_co_u32 v13, vcc_lo, s2, v13
	v_add_co_ci_u32_e64 v14, null, s3, v14, vcc_lo
	global_store_dwordx4 v[13:14], v[5:8], off
	global_store_dwordx4 v[13:14], v[9:12], off offset:16
	global_store_dwordx4 v[13:14], v[0:3], off offset:32
                                        ; implicit-def: $vgpr9
                                        ; implicit-def: $vgpr10_vgpr11
                                        ; implicit-def: $vgpr12_vgpr13
                                        ; implicit-def: $vgpr14_vgpr15
                                        ; implicit-def: $vgpr7_vgpr8
                                        ; implicit-def: $vgpr3_vgpr4
.LBB111_19:
	s_andn2_saveexec_b32 s0, s0
	s_cbranch_execz .LBB111_21
; %bb.20:
	v_lshl_add_u32 v22, v9, 1, v9
	v_mul_f64 v[36:37], v[20:21], -v[3:4]
	v_mul_f64 v[20:21], v[1:2], v[20:21]
	v_mul_f64 v[38:39], v[18:19], -v[3:4]
	v_mul_f64 v[18:19], v[1:2], v[18:19]
	v_ashrrev_i32_e32 v23, 31, v22
	v_mul_f64 v[40:41], v[16:17], -v[3:4]
	v_mul_f64 v[16:17], v[1:2], v[16:17]
	v_lshlrev_b64 v[22:23], 4, v[22:23]
	s_waitcnt lgkmcnt(0)
	v_add_co_u32 v34, vcc_lo, s2, v22
	v_add_co_ci_u32_e64 v35, null, s3, v23, vcc_lo
	s_clause 0x2
	global_load_dwordx4 v[22:25], v[34:35], off
	global_load_dwordx4 v[26:29], v[34:35], off offset:16
	global_load_dwordx4 v[30:33], v[34:35], off offset:32
	v_fma_f64 v[36:37], v[1:2], v[10:11], v[36:37]
	v_fma_f64 v[9:10], v[3:4], v[10:11], v[20:21]
	;; [unrolled: 1-line block ×6, first 2 shown]
	s_waitcnt vmcnt(2)
	v_fma_f64 v[13:14], v[5:6], v[22:23], v[36:37]
	v_fma_f64 v[9:10], v[7:8], v[22:23], v[9:10]
	s_waitcnt vmcnt(1)
	v_fma_f64 v[15:16], v[5:6], v[26:27], v[20:21]
	v_fma_f64 v[11:12], v[7:8], v[26:27], v[11:12]
	;; [unrolled: 3-line block ×3, first 2 shown]
	v_fma_f64 v[0:1], -v[7:8], v[24:25], v[13:14]
	v_fma_f64 v[2:3], v[5:6], v[24:25], v[9:10]
	v_fma_f64 v[9:10], -v[7:8], v[28:29], v[15:16]
	v_fma_f64 v[11:12], v[5:6], v[28:29], v[11:12]
	v_fma_f64 v[13:14], -v[7:8], v[32:33], v[17:18]
	v_fma_f64 v[15:16], v[5:6], v[32:33], v[19:20]
	global_store_dwordx4 v[34:35], v[0:3], off
	global_store_dwordx4 v[34:35], v[9:12], off offset:16
	global_store_dwordx4 v[34:35], v[13:16], off offset:32
.LBB111_21:
	s_endpgm
	.section	.rodata,"a",@progbits
	.p2align	6, 0x0
	.amdhsa_kernel _ZN9rocsparseL19gebsrmvn_3xn_kernelILj128ELj1ELj4E21rocsparse_complex_numIdEEEvi20rocsparse_direction_NS_24const_host_device_scalarIT2_EEPKiS8_PKS5_SA_S6_PS5_21rocsparse_index_base_b
		.amdhsa_group_segment_fixed_size 0
		.amdhsa_private_segment_fixed_size 0
		.amdhsa_kernarg_size 88
		.amdhsa_user_sgpr_count 6
		.amdhsa_user_sgpr_private_segment_buffer 1
		.amdhsa_user_sgpr_dispatch_ptr 0
		.amdhsa_user_sgpr_queue_ptr 0
		.amdhsa_user_sgpr_kernarg_segment_ptr 1
		.amdhsa_user_sgpr_dispatch_id 0
		.amdhsa_user_sgpr_flat_scratch_init 0
		.amdhsa_user_sgpr_private_segment_size 0
		.amdhsa_wavefront_size32 1
		.amdhsa_uses_dynamic_stack 0
		.amdhsa_system_sgpr_private_segment_wavefront_offset 0
		.amdhsa_system_sgpr_workgroup_id_x 1
		.amdhsa_system_sgpr_workgroup_id_y 0
		.amdhsa_system_sgpr_workgroup_id_z 0
		.amdhsa_system_sgpr_workgroup_info 0
		.amdhsa_system_vgpr_workitem_id 0
		.amdhsa_next_free_vgpr 44
		.amdhsa_next_free_sgpr 16
		.amdhsa_reserve_vcc 1
		.amdhsa_reserve_flat_scratch 0
		.amdhsa_float_round_mode_32 0
		.amdhsa_float_round_mode_16_64 0
		.amdhsa_float_denorm_mode_32 3
		.amdhsa_float_denorm_mode_16_64 3
		.amdhsa_dx10_clamp 1
		.amdhsa_ieee_mode 1
		.amdhsa_fp16_overflow 0
		.amdhsa_workgroup_processor_mode 1
		.amdhsa_memory_ordered 1
		.amdhsa_forward_progress 1
		.amdhsa_shared_vgpr_count 0
		.amdhsa_exception_fp_ieee_invalid_op 0
		.amdhsa_exception_fp_denorm_src 0
		.amdhsa_exception_fp_ieee_div_zero 0
		.amdhsa_exception_fp_ieee_overflow 0
		.amdhsa_exception_fp_ieee_underflow 0
		.amdhsa_exception_fp_ieee_inexact 0
		.amdhsa_exception_int_div_zero 0
	.end_amdhsa_kernel
	.section	.text._ZN9rocsparseL19gebsrmvn_3xn_kernelILj128ELj1ELj4E21rocsparse_complex_numIdEEEvi20rocsparse_direction_NS_24const_host_device_scalarIT2_EEPKiS8_PKS5_SA_S6_PS5_21rocsparse_index_base_b,"axG",@progbits,_ZN9rocsparseL19gebsrmvn_3xn_kernelILj128ELj1ELj4E21rocsparse_complex_numIdEEEvi20rocsparse_direction_NS_24const_host_device_scalarIT2_EEPKiS8_PKS5_SA_S6_PS5_21rocsparse_index_base_b,comdat
.Lfunc_end111:
	.size	_ZN9rocsparseL19gebsrmvn_3xn_kernelILj128ELj1ELj4E21rocsparse_complex_numIdEEEvi20rocsparse_direction_NS_24const_host_device_scalarIT2_EEPKiS8_PKS5_SA_S6_PS5_21rocsparse_index_base_b, .Lfunc_end111-_ZN9rocsparseL19gebsrmvn_3xn_kernelILj128ELj1ELj4E21rocsparse_complex_numIdEEEvi20rocsparse_direction_NS_24const_host_device_scalarIT2_EEPKiS8_PKS5_SA_S6_PS5_21rocsparse_index_base_b
                                        ; -- End function
	.set _ZN9rocsparseL19gebsrmvn_3xn_kernelILj128ELj1ELj4E21rocsparse_complex_numIdEEEvi20rocsparse_direction_NS_24const_host_device_scalarIT2_EEPKiS8_PKS5_SA_S6_PS5_21rocsparse_index_base_b.num_vgpr, 44
	.set _ZN9rocsparseL19gebsrmvn_3xn_kernelILj128ELj1ELj4E21rocsparse_complex_numIdEEEvi20rocsparse_direction_NS_24const_host_device_scalarIT2_EEPKiS8_PKS5_SA_S6_PS5_21rocsparse_index_base_b.num_agpr, 0
	.set _ZN9rocsparseL19gebsrmvn_3xn_kernelILj128ELj1ELj4E21rocsparse_complex_numIdEEEvi20rocsparse_direction_NS_24const_host_device_scalarIT2_EEPKiS8_PKS5_SA_S6_PS5_21rocsparse_index_base_b.numbered_sgpr, 16
	.set _ZN9rocsparseL19gebsrmvn_3xn_kernelILj128ELj1ELj4E21rocsparse_complex_numIdEEEvi20rocsparse_direction_NS_24const_host_device_scalarIT2_EEPKiS8_PKS5_SA_S6_PS5_21rocsparse_index_base_b.num_named_barrier, 0
	.set _ZN9rocsparseL19gebsrmvn_3xn_kernelILj128ELj1ELj4E21rocsparse_complex_numIdEEEvi20rocsparse_direction_NS_24const_host_device_scalarIT2_EEPKiS8_PKS5_SA_S6_PS5_21rocsparse_index_base_b.private_seg_size, 0
	.set _ZN9rocsparseL19gebsrmvn_3xn_kernelILj128ELj1ELj4E21rocsparse_complex_numIdEEEvi20rocsparse_direction_NS_24const_host_device_scalarIT2_EEPKiS8_PKS5_SA_S6_PS5_21rocsparse_index_base_b.uses_vcc, 1
	.set _ZN9rocsparseL19gebsrmvn_3xn_kernelILj128ELj1ELj4E21rocsparse_complex_numIdEEEvi20rocsparse_direction_NS_24const_host_device_scalarIT2_EEPKiS8_PKS5_SA_S6_PS5_21rocsparse_index_base_b.uses_flat_scratch, 0
	.set _ZN9rocsparseL19gebsrmvn_3xn_kernelILj128ELj1ELj4E21rocsparse_complex_numIdEEEvi20rocsparse_direction_NS_24const_host_device_scalarIT2_EEPKiS8_PKS5_SA_S6_PS5_21rocsparse_index_base_b.has_dyn_sized_stack, 0
	.set _ZN9rocsparseL19gebsrmvn_3xn_kernelILj128ELj1ELj4E21rocsparse_complex_numIdEEEvi20rocsparse_direction_NS_24const_host_device_scalarIT2_EEPKiS8_PKS5_SA_S6_PS5_21rocsparse_index_base_b.has_recursion, 0
	.set _ZN9rocsparseL19gebsrmvn_3xn_kernelILj128ELj1ELj4E21rocsparse_complex_numIdEEEvi20rocsparse_direction_NS_24const_host_device_scalarIT2_EEPKiS8_PKS5_SA_S6_PS5_21rocsparse_index_base_b.has_indirect_call, 0
	.section	.AMDGPU.csdata,"",@progbits
; Kernel info:
; codeLenInByte = 2088
; TotalNumSgprs: 18
; NumVgprs: 44
; ScratchSize: 0
; MemoryBound: 0
; FloatMode: 240
; IeeeMode: 1
; LDSByteSize: 0 bytes/workgroup (compile time only)
; SGPRBlocks: 0
; VGPRBlocks: 5
; NumSGPRsForWavesPerEU: 18
; NumVGPRsForWavesPerEU: 44
; Occupancy: 16
; WaveLimiterHint : 1
; COMPUTE_PGM_RSRC2:SCRATCH_EN: 0
; COMPUTE_PGM_RSRC2:USER_SGPR: 6
; COMPUTE_PGM_RSRC2:TRAP_HANDLER: 0
; COMPUTE_PGM_RSRC2:TGID_X_EN: 1
; COMPUTE_PGM_RSRC2:TGID_Y_EN: 0
; COMPUTE_PGM_RSRC2:TGID_Z_EN: 0
; COMPUTE_PGM_RSRC2:TIDIG_COMP_CNT: 0
	.section	.text._ZN9rocsparseL19gebsrmvn_3xn_kernelILj128ELj1ELj8E21rocsparse_complex_numIdEEEvi20rocsparse_direction_NS_24const_host_device_scalarIT2_EEPKiS8_PKS5_SA_S6_PS5_21rocsparse_index_base_b,"axG",@progbits,_ZN9rocsparseL19gebsrmvn_3xn_kernelILj128ELj1ELj8E21rocsparse_complex_numIdEEEvi20rocsparse_direction_NS_24const_host_device_scalarIT2_EEPKiS8_PKS5_SA_S6_PS5_21rocsparse_index_base_b,comdat
	.globl	_ZN9rocsparseL19gebsrmvn_3xn_kernelILj128ELj1ELj8E21rocsparse_complex_numIdEEEvi20rocsparse_direction_NS_24const_host_device_scalarIT2_EEPKiS8_PKS5_SA_S6_PS5_21rocsparse_index_base_b ; -- Begin function _ZN9rocsparseL19gebsrmvn_3xn_kernelILj128ELj1ELj8E21rocsparse_complex_numIdEEEvi20rocsparse_direction_NS_24const_host_device_scalarIT2_EEPKiS8_PKS5_SA_S6_PS5_21rocsparse_index_base_b
	.p2align	8
	.type	_ZN9rocsparseL19gebsrmvn_3xn_kernelILj128ELj1ELj8E21rocsparse_complex_numIdEEEvi20rocsparse_direction_NS_24const_host_device_scalarIT2_EEPKiS8_PKS5_SA_S6_PS5_21rocsparse_index_base_b,@function
_ZN9rocsparseL19gebsrmvn_3xn_kernelILj128ELj1ELj8E21rocsparse_complex_numIdEEEvi20rocsparse_direction_NS_24const_host_device_scalarIT2_EEPKiS8_PKS5_SA_S6_PS5_21rocsparse_index_base_b: ; @_ZN9rocsparseL19gebsrmvn_3xn_kernelILj128ELj1ELj8E21rocsparse_complex_numIdEEEvi20rocsparse_direction_NS_24const_host_device_scalarIT2_EEPKiS8_PKS5_SA_S6_PS5_21rocsparse_index_base_b
; %bb.0:
	s_clause 0x1
	s_load_dwordx2 s[2:3], s[4:5], 0x50
	s_load_dwordx2 s[0:1], s[4:5], 0x8
	s_add_u32 s7, s4, 8
	s_addc_u32 s10, s5, 0
	s_add_u32 s11, s4, 56
	s_addc_u32 s12, s5, 0
	s_load_dwordx2 s[8:9], s[4:5], 0x38
	s_waitcnt lgkmcnt(0)
	s_bitcmp1_b32 s3, 0
	s_cselect_b32 s0, s7, s0
	s_cselect_b32 s1, s10, s1
	v_mov_b32_e32 v1, s0
	v_mov_b32_e32 v2, s1
	s_cselect_b32 s0, s11, s8
	s_cselect_b32 s1, s12, s9
	v_mov_b32_e32 v5, s0
	v_mov_b32_e32 v6, s1
	flat_load_dwordx4 v[1:4], v[1:2]
	flat_load_dwordx4 v[5:8], v[5:6]
	s_waitcnt vmcnt(1) lgkmcnt(1)
	v_cmp_eq_f64_e32 vcc_lo, 0, v[1:2]
	v_cmp_eq_f64_e64 s0, 0, v[3:4]
	s_and_b32 s3, vcc_lo, s0
	s_mov_b32 s0, -1
	s_and_saveexec_b32 s1, s3
	s_cbranch_execz .LBB112_2
; %bb.1:
	s_waitcnt vmcnt(0) lgkmcnt(0)
	v_cmp_neq_f64_e32 vcc_lo, 1.0, v[5:6]
	v_cmp_neq_f64_e64 s0, 0, v[7:8]
	s_or_b32 s0, vcc_lo, s0
	s_orn2_b32 s0, s0, exec_lo
.LBB112_2:
	s_or_b32 exec_lo, exec_lo, s1
	s_and_saveexec_b32 s1, s0
	s_cbranch_execz .LBB112_21
; %bb.3:
	s_load_dwordx2 s[0:1], s[4:5], 0x0
	v_lshrrev_b32_e32 v9, 3, v0
	v_lshl_or_b32 v9, s6, 4, v9
	s_waitcnt lgkmcnt(0)
	v_cmp_gt_i32_e32 vcc_lo, s0, v9
	s_and_b32 exec_lo, exec_lo, vcc_lo
	s_cbranch_execz .LBB112_21
; %bb.4:
	s_load_dwordx8 s[8:15], s[4:5], 0x18
	v_ashrrev_i32_e32 v10, 31, v9
	v_and_b32_e32 v0, 7, v0
	s_cmp_lg_u32 s1, 0
	v_lshlrev_b64 v[10:11], 2, v[9:10]
	s_waitcnt lgkmcnt(0)
	v_add_co_u32 v10, vcc_lo, s8, v10
	v_add_co_ci_u32_e64 v11, null, s9, v11, vcc_lo
	global_load_dwordx2 v[10:11], v[10:11], off
	s_waitcnt vmcnt(0)
	v_subrev_nc_u32_e32 v10, s2, v10
	v_subrev_nc_u32_e32 v27, s2, v11
	v_add_nc_u32_e32 v22, v10, v0
	v_cmp_lt_i32_e64 s0, v22, v27
	s_cbranch_scc0 .LBB112_10
; %bb.5:
	v_mov_b32_e32 v10, 0
	v_mov_b32_e32 v16, 0
	;; [unrolled: 1-line block ×12, first 2 shown]
	s_and_saveexec_b32 s1, s0
	s_cbranch_execz .LBB112_9
; %bb.6:
	v_mov_b32_e32 v10, 0
	v_mov_b32_e32 v16, 0
	;; [unrolled: 1-line block ×6, first 2 shown]
	v_lshl_add_u32 v23, v22, 1, v22
	v_mov_b32_e32 v11, 0
	v_mov_b32_e32 v24, 0
	;; [unrolled: 1-line block ×8, first 2 shown]
	s_mov_b32 s3, 0
.LBB112_7:                              ; =>This Inner Loop Header: Depth=1
	v_ashrrev_i32_e32 v26, 31, v25
	v_add_nc_u32_e32 v30, 2, v23
	v_mov_b32_e32 v31, v24
	v_lshlrev_b64 v[32:33], 4, v[23:24]
	v_mov_b32_e32 v41, v24
	v_lshlrev_b64 v[28:29], 2, v[25:26]
	v_add_nc_u32_e32 v25, 8, v25
	v_lshlrev_b64 v[30:31], 4, v[30:31]
	v_add_co_u32 v28, vcc_lo, s10, v28
	v_add_co_ci_u32_e64 v29, null, s11, v29, vcc_lo
	v_add_co_u32 v32, vcc_lo, s12, v32
	v_add_co_ci_u32_e64 v33, null, s13, v33, vcc_lo
	global_load_dword v26, v[28:29], off
	v_add_nc_u32_e32 v28, 1, v23
	v_mov_b32_e32 v29, v24
	v_add_nc_u32_e32 v23, 24, v23
	v_lshlrev_b64 v[28:29], 4, v[28:29]
	v_add_co_u32 v34, vcc_lo, s12, v28
	v_add_co_ci_u32_e64 v35, null, s13, v29, vcc_lo
	v_add_co_u32 v36, vcc_lo, s12, v30
	v_add_co_ci_u32_e64 v37, null, s13, v31, vcc_lo
	s_clause 0x2
	global_load_dwordx4 v[28:31], v[32:33], off
	global_load_dwordx4 v[32:35], v[34:35], off
	;; [unrolled: 1-line block ×3, first 2 shown]
	s_waitcnt vmcnt(3)
	v_subrev_nc_u32_e32 v40, s2, v26
	v_lshlrev_b64 v[40:41], 4, v[40:41]
	v_add_co_u32 v40, vcc_lo, s14, v40
	v_add_co_ci_u32_e64 v41, null, s15, v41, vcc_lo
	v_cmp_ge_i32_e32 vcc_lo, v25, v27
	global_load_dwordx4 v[40:43], v[40:41], off
	s_or_b32 s3, vcc_lo, s3
	s_waitcnt vmcnt(0)
	v_fma_f64 v[16:17], v[28:29], v[40:41], v[16:17]
	v_fma_f64 v[10:11], v[30:31], v[40:41], v[10:11]
	;; [unrolled: 1-line block ×6, first 2 shown]
	v_fma_f64 v[16:17], -v[30:31], v[42:43], v[16:17]
	v_fma_f64 v[10:11], v[28:29], v[42:43], v[10:11]
	v_fma_f64 v[20:21], -v[34:35], v[42:43], v[20:21]
	v_fma_f64 v[18:19], v[32:33], v[42:43], v[18:19]
	;; [unrolled: 2-line block ×3, first 2 shown]
	s_andn2_b32 exec_lo, exec_lo, s3
	s_cbranch_execnz .LBB112_7
; %bb.8:
	s_or_b32 exec_lo, exec_lo, s3
.LBB112_9:
	s_or_b32 exec_lo, exec_lo, s1
	s_cbranch_execz .LBB112_11
	s_branch .LBB112_16
.LBB112_10:
                                        ; implicit-def: $vgpr10_vgpr11
                                        ; implicit-def: $vgpr16_vgpr17
                                        ; implicit-def: $vgpr12_vgpr13
                                        ; implicit-def: $vgpr14_vgpr15
                                        ; implicit-def: $vgpr20_vgpr21
                                        ; implicit-def: $vgpr18_vgpr19
.LBB112_11:
	v_mov_b32_e32 v10, 0
	v_mov_b32_e32 v16, 0
	;; [unrolled: 1-line block ×12, first 2 shown]
	s_and_saveexec_b32 s1, s0
	s_cbranch_execz .LBB112_15
; %bb.12:
	v_mov_b32_e32 v10, 0
	v_mov_b32_e32 v16, 0
	;; [unrolled: 1-line block ×6, first 2 shown]
	v_lshl_add_u32 v24, v22, 1, v22
	v_mov_b32_e32 v11, 0
	v_mov_b32_e32 v17, 0
	;; [unrolled: 1-line block ×7, first 2 shown]
	s_mov_b32 s0, 0
.LBB112_13:                             ; =>This Inner Loop Header: Depth=1
	v_ashrrev_i32_e32 v23, 31, v22
	v_add_nc_u32_e32 v30, 2, v24
	v_mov_b32_e32 v31, v25
	v_lshlrev_b64 v[32:33], 4, v[24:25]
	v_mov_b32_e32 v41, v25
	v_lshlrev_b64 v[28:29], 2, v[22:23]
	v_add_nc_u32_e32 v22, 8, v22
	v_lshlrev_b64 v[30:31], 4, v[30:31]
	v_add_co_u32 v28, vcc_lo, s10, v28
	v_add_co_ci_u32_e64 v29, null, s11, v29, vcc_lo
	v_add_co_u32 v32, vcc_lo, s12, v32
	v_add_co_ci_u32_e64 v33, null, s13, v33, vcc_lo
	global_load_dword v23, v[28:29], off
	v_add_nc_u32_e32 v28, 1, v24
	v_mov_b32_e32 v29, v25
	v_add_nc_u32_e32 v24, 24, v24
	v_lshlrev_b64 v[28:29], 4, v[28:29]
	v_add_co_u32 v34, vcc_lo, s12, v28
	v_add_co_ci_u32_e64 v35, null, s13, v29, vcc_lo
	v_add_co_u32 v36, vcc_lo, s12, v30
	v_add_co_ci_u32_e64 v37, null, s13, v31, vcc_lo
	s_clause 0x2
	global_load_dwordx4 v[28:31], v[32:33], off
	global_load_dwordx4 v[32:35], v[34:35], off
	;; [unrolled: 1-line block ×3, first 2 shown]
	s_waitcnt vmcnt(3)
	v_subrev_nc_u32_e32 v40, s2, v23
	v_lshlrev_b64 v[40:41], 4, v[40:41]
	v_add_co_u32 v40, vcc_lo, s14, v40
	v_add_co_ci_u32_e64 v41, null, s15, v41, vcc_lo
	v_cmp_ge_i32_e32 vcc_lo, v22, v27
	global_load_dwordx4 v[40:43], v[40:41], off
	s_or_b32 s0, vcc_lo, s0
	s_waitcnt vmcnt(0)
	v_fma_f64 v[16:17], v[28:29], v[40:41], v[16:17]
	v_fma_f64 v[10:11], v[30:31], v[40:41], v[10:11]
	v_fma_f64 v[20:21], v[32:33], v[40:41], v[20:21]
	v_fma_f64 v[18:19], v[34:35], v[40:41], v[18:19]
	v_fma_f64 v[12:13], v[36:37], v[40:41], v[12:13]
	v_fma_f64 v[14:15], v[38:39], v[40:41], v[14:15]
	v_fma_f64 v[16:17], -v[30:31], v[42:43], v[16:17]
	v_fma_f64 v[10:11], v[28:29], v[42:43], v[10:11]
	v_fma_f64 v[20:21], -v[34:35], v[42:43], v[20:21]
	v_fma_f64 v[18:19], v[32:33], v[42:43], v[18:19]
	;; [unrolled: 2-line block ×3, first 2 shown]
	s_andn2_b32 exec_lo, exec_lo, s0
	s_cbranch_execnz .LBB112_13
; %bb.14:
	s_or_b32 exec_lo, exec_lo, s0
.LBB112_15:
	s_or_b32 exec_lo, exec_lo, s1
.LBB112_16:
	v_mbcnt_lo_u32_b32 v36, -1, 0
	v_xor_b32_e32 v22, 4, v36
	v_cmp_gt_i32_e32 vcc_lo, 32, v22
	v_cndmask_b32_e32 v22, v36, v22, vcc_lo
	v_lshlrev_b32_e32 v33, 2, v22
	ds_bpermute_b32 v22, v33, v16
	ds_bpermute_b32 v23, v33, v17
	;; [unrolled: 1-line block ×12, first 2 shown]
	s_waitcnt lgkmcnt(10)
	v_add_f64 v[16:17], v[16:17], v[22:23]
	s_waitcnt lgkmcnt(8)
	v_add_f64 v[22:23], v[10:11], v[24:25]
	v_xor_b32_e32 v10, 2, v36
	s_waitcnt lgkmcnt(6)
	v_add_f64 v[24:25], v[20:21], v[26:27]
	s_waitcnt lgkmcnt(4)
	v_add_f64 v[18:19], v[18:19], v[28:29]
	;; [unrolled: 2-line block ×3, first 2 shown]
	v_cmp_gt_i32_e32 vcc_lo, 32, v10
	s_waitcnt lgkmcnt(0)
	v_add_f64 v[28:29], v[14:15], v[32:33]
	v_cndmask_b32_e32 v10, v36, v10, vcc_lo
	v_lshlrev_b32_e32 v20, 2, v10
	ds_bpermute_b32 v10, v20, v16
	ds_bpermute_b32 v11, v20, v17
	;; [unrolled: 1-line block ×12, first 2 shown]
	s_waitcnt lgkmcnt(10)
	v_add_f64 v[10:11], v[16:17], v[10:11]
	s_waitcnt lgkmcnt(8)
	v_add_f64 v[20:21], v[22:23], v[12:13]
	v_xor_b32_e32 v22, 1, v36
	s_waitcnt lgkmcnt(6)
	v_add_f64 v[12:13], v[24:25], v[14:15]
	s_waitcnt lgkmcnt(4)
	v_add_f64 v[18:19], v[18:19], v[30:31]
	;; [unrolled: 2-line block ×3, first 2 shown]
	v_cmp_gt_i32_e32 vcc_lo, 32, v22
	s_waitcnt lgkmcnt(0)
	v_add_f64 v[16:17], v[28:29], v[34:35]
	v_cndmask_b32_e32 v22, v36, v22, vcc_lo
	v_cmp_eq_u32_e32 vcc_lo, 7, v0
	v_lshlrev_b32_e32 v25, 2, v22
	ds_bpermute_b32 v32, v25, v10
	ds_bpermute_b32 v33, v25, v11
	;; [unrolled: 1-line block ×12, first 2 shown]
	s_and_b32 exec_lo, exec_lo, vcc_lo
	s_cbranch_execz .LBB112_21
; %bb.17:
	v_cmp_eq_f64_e32 vcc_lo, 0, v[5:6]
	v_cmp_eq_f64_e64 s0, 0, v[7:8]
	s_waitcnt lgkmcnt(10)
	v_add_f64 v[10:11], v[10:11], v[32:33]
	s_waitcnt lgkmcnt(8)
	v_add_f64 v[20:21], v[20:21], v[30:31]
	;; [unrolled: 2-line block ×6, first 2 shown]
	s_load_dwordx2 s[2:3], s[4:5], 0x48
	s_and_b32 s0, vcc_lo, s0
	s_and_saveexec_b32 s1, s0
	s_xor_b32 s0, exec_lo, s1
	s_cbranch_execz .LBB112_19
; %bb.18:
	v_mul_f64 v[5:6], v[20:21], -v[3:4]
	v_mul_f64 v[7:8], v[1:2], v[20:21]
	v_mul_f64 v[20:21], v[18:19], -v[3:4]
	v_mul_f64 v[18:19], v[1:2], v[18:19]
	;; [unrolled: 2-line block ×3, first 2 shown]
	v_lshl_add_u32 v24, v9, 1, v9
	v_ashrrev_i32_e32 v25, 31, v24
	v_fma_f64 v[5:6], v[1:2], v[10:11], v[5:6]
	v_fma_f64 v[7:8], v[3:4], v[10:11], v[7:8]
	;; [unrolled: 1-line block ×6, first 2 shown]
	v_lshlrev_b64 v[13:14], 4, v[24:25]
                                        ; implicit-def: $vgpr20_vgpr21
                                        ; implicit-def: $vgpr18_vgpr19
                                        ; implicit-def: $vgpr16_vgpr17
	s_waitcnt lgkmcnt(0)
	v_add_co_u32 v13, vcc_lo, s2, v13
	v_add_co_ci_u32_e64 v14, null, s3, v14, vcc_lo
	global_store_dwordx4 v[13:14], v[5:8], off
	global_store_dwordx4 v[13:14], v[9:12], off offset:16
	global_store_dwordx4 v[13:14], v[0:3], off offset:32
                                        ; implicit-def: $vgpr9
                                        ; implicit-def: $vgpr10_vgpr11
                                        ; implicit-def: $vgpr12_vgpr13
                                        ; implicit-def: $vgpr14_vgpr15
                                        ; implicit-def: $vgpr7_vgpr8
                                        ; implicit-def: $vgpr3_vgpr4
.LBB112_19:
	s_andn2_saveexec_b32 s0, s0
	s_cbranch_execz .LBB112_21
; %bb.20:
	v_lshl_add_u32 v22, v9, 1, v9
	v_mul_f64 v[36:37], v[20:21], -v[3:4]
	v_mul_f64 v[20:21], v[1:2], v[20:21]
	v_mul_f64 v[38:39], v[18:19], -v[3:4]
	v_mul_f64 v[18:19], v[1:2], v[18:19]
	v_ashrrev_i32_e32 v23, 31, v22
	v_mul_f64 v[40:41], v[16:17], -v[3:4]
	v_mul_f64 v[16:17], v[1:2], v[16:17]
	v_lshlrev_b64 v[22:23], 4, v[22:23]
	s_waitcnt lgkmcnt(0)
	v_add_co_u32 v34, vcc_lo, s2, v22
	v_add_co_ci_u32_e64 v35, null, s3, v23, vcc_lo
	s_clause 0x2
	global_load_dwordx4 v[22:25], v[34:35], off
	global_load_dwordx4 v[26:29], v[34:35], off offset:16
	global_load_dwordx4 v[30:33], v[34:35], off offset:32
	v_fma_f64 v[36:37], v[1:2], v[10:11], v[36:37]
	v_fma_f64 v[9:10], v[3:4], v[10:11], v[20:21]
	;; [unrolled: 1-line block ×6, first 2 shown]
	s_waitcnt vmcnt(2)
	v_fma_f64 v[13:14], v[5:6], v[22:23], v[36:37]
	v_fma_f64 v[9:10], v[7:8], v[22:23], v[9:10]
	s_waitcnt vmcnt(1)
	v_fma_f64 v[15:16], v[5:6], v[26:27], v[20:21]
	v_fma_f64 v[11:12], v[7:8], v[26:27], v[11:12]
	;; [unrolled: 3-line block ×3, first 2 shown]
	v_fma_f64 v[0:1], -v[7:8], v[24:25], v[13:14]
	v_fma_f64 v[2:3], v[5:6], v[24:25], v[9:10]
	v_fma_f64 v[9:10], -v[7:8], v[28:29], v[15:16]
	v_fma_f64 v[11:12], v[5:6], v[28:29], v[11:12]
	;; [unrolled: 2-line block ×3, first 2 shown]
	global_store_dwordx4 v[34:35], v[0:3], off
	global_store_dwordx4 v[34:35], v[9:12], off offset:16
	global_store_dwordx4 v[34:35], v[13:16], off offset:32
.LBB112_21:
	s_endpgm
	.section	.rodata,"a",@progbits
	.p2align	6, 0x0
	.amdhsa_kernel _ZN9rocsparseL19gebsrmvn_3xn_kernelILj128ELj1ELj8E21rocsparse_complex_numIdEEEvi20rocsparse_direction_NS_24const_host_device_scalarIT2_EEPKiS8_PKS5_SA_S6_PS5_21rocsparse_index_base_b
		.amdhsa_group_segment_fixed_size 0
		.amdhsa_private_segment_fixed_size 0
		.amdhsa_kernarg_size 88
		.amdhsa_user_sgpr_count 6
		.amdhsa_user_sgpr_private_segment_buffer 1
		.amdhsa_user_sgpr_dispatch_ptr 0
		.amdhsa_user_sgpr_queue_ptr 0
		.amdhsa_user_sgpr_kernarg_segment_ptr 1
		.amdhsa_user_sgpr_dispatch_id 0
		.amdhsa_user_sgpr_flat_scratch_init 0
		.amdhsa_user_sgpr_private_segment_size 0
		.amdhsa_wavefront_size32 1
		.amdhsa_uses_dynamic_stack 0
		.amdhsa_system_sgpr_private_segment_wavefront_offset 0
		.amdhsa_system_sgpr_workgroup_id_x 1
		.amdhsa_system_sgpr_workgroup_id_y 0
		.amdhsa_system_sgpr_workgroup_id_z 0
		.amdhsa_system_sgpr_workgroup_info 0
		.amdhsa_system_vgpr_workitem_id 0
		.amdhsa_next_free_vgpr 44
		.amdhsa_next_free_sgpr 16
		.amdhsa_reserve_vcc 1
		.amdhsa_reserve_flat_scratch 0
		.amdhsa_float_round_mode_32 0
		.amdhsa_float_round_mode_16_64 0
		.amdhsa_float_denorm_mode_32 3
		.amdhsa_float_denorm_mode_16_64 3
		.amdhsa_dx10_clamp 1
		.amdhsa_ieee_mode 1
		.amdhsa_fp16_overflow 0
		.amdhsa_workgroup_processor_mode 1
		.amdhsa_memory_ordered 1
		.amdhsa_forward_progress 1
		.amdhsa_shared_vgpr_count 0
		.amdhsa_exception_fp_ieee_invalid_op 0
		.amdhsa_exception_fp_denorm_src 0
		.amdhsa_exception_fp_ieee_div_zero 0
		.amdhsa_exception_fp_ieee_overflow 0
		.amdhsa_exception_fp_ieee_underflow 0
		.amdhsa_exception_fp_ieee_inexact 0
		.amdhsa_exception_int_div_zero 0
	.end_amdhsa_kernel
	.section	.text._ZN9rocsparseL19gebsrmvn_3xn_kernelILj128ELj1ELj8E21rocsparse_complex_numIdEEEvi20rocsparse_direction_NS_24const_host_device_scalarIT2_EEPKiS8_PKS5_SA_S6_PS5_21rocsparse_index_base_b,"axG",@progbits,_ZN9rocsparseL19gebsrmvn_3xn_kernelILj128ELj1ELj8E21rocsparse_complex_numIdEEEvi20rocsparse_direction_NS_24const_host_device_scalarIT2_EEPKiS8_PKS5_SA_S6_PS5_21rocsparse_index_base_b,comdat
.Lfunc_end112:
	.size	_ZN9rocsparseL19gebsrmvn_3xn_kernelILj128ELj1ELj8E21rocsparse_complex_numIdEEEvi20rocsparse_direction_NS_24const_host_device_scalarIT2_EEPKiS8_PKS5_SA_S6_PS5_21rocsparse_index_base_b, .Lfunc_end112-_ZN9rocsparseL19gebsrmvn_3xn_kernelILj128ELj1ELj8E21rocsparse_complex_numIdEEEvi20rocsparse_direction_NS_24const_host_device_scalarIT2_EEPKiS8_PKS5_SA_S6_PS5_21rocsparse_index_base_b
                                        ; -- End function
	.set _ZN9rocsparseL19gebsrmvn_3xn_kernelILj128ELj1ELj8E21rocsparse_complex_numIdEEEvi20rocsparse_direction_NS_24const_host_device_scalarIT2_EEPKiS8_PKS5_SA_S6_PS5_21rocsparse_index_base_b.num_vgpr, 44
	.set _ZN9rocsparseL19gebsrmvn_3xn_kernelILj128ELj1ELj8E21rocsparse_complex_numIdEEEvi20rocsparse_direction_NS_24const_host_device_scalarIT2_EEPKiS8_PKS5_SA_S6_PS5_21rocsparse_index_base_b.num_agpr, 0
	.set _ZN9rocsparseL19gebsrmvn_3xn_kernelILj128ELj1ELj8E21rocsparse_complex_numIdEEEvi20rocsparse_direction_NS_24const_host_device_scalarIT2_EEPKiS8_PKS5_SA_S6_PS5_21rocsparse_index_base_b.numbered_sgpr, 16
	.set _ZN9rocsparseL19gebsrmvn_3xn_kernelILj128ELj1ELj8E21rocsparse_complex_numIdEEEvi20rocsparse_direction_NS_24const_host_device_scalarIT2_EEPKiS8_PKS5_SA_S6_PS5_21rocsparse_index_base_b.num_named_barrier, 0
	.set _ZN9rocsparseL19gebsrmvn_3xn_kernelILj128ELj1ELj8E21rocsparse_complex_numIdEEEvi20rocsparse_direction_NS_24const_host_device_scalarIT2_EEPKiS8_PKS5_SA_S6_PS5_21rocsparse_index_base_b.private_seg_size, 0
	.set _ZN9rocsparseL19gebsrmvn_3xn_kernelILj128ELj1ELj8E21rocsparse_complex_numIdEEEvi20rocsparse_direction_NS_24const_host_device_scalarIT2_EEPKiS8_PKS5_SA_S6_PS5_21rocsparse_index_base_b.uses_vcc, 1
	.set _ZN9rocsparseL19gebsrmvn_3xn_kernelILj128ELj1ELj8E21rocsparse_complex_numIdEEEvi20rocsparse_direction_NS_24const_host_device_scalarIT2_EEPKiS8_PKS5_SA_S6_PS5_21rocsparse_index_base_b.uses_flat_scratch, 0
	.set _ZN9rocsparseL19gebsrmvn_3xn_kernelILj128ELj1ELj8E21rocsparse_complex_numIdEEEvi20rocsparse_direction_NS_24const_host_device_scalarIT2_EEPKiS8_PKS5_SA_S6_PS5_21rocsparse_index_base_b.has_dyn_sized_stack, 0
	.set _ZN9rocsparseL19gebsrmvn_3xn_kernelILj128ELj1ELj8E21rocsparse_complex_numIdEEEvi20rocsparse_direction_NS_24const_host_device_scalarIT2_EEPKiS8_PKS5_SA_S6_PS5_21rocsparse_index_base_b.has_recursion, 0
	.set _ZN9rocsparseL19gebsrmvn_3xn_kernelILj128ELj1ELj8E21rocsparse_complex_numIdEEEvi20rocsparse_direction_NS_24const_host_device_scalarIT2_EEPKiS8_PKS5_SA_S6_PS5_21rocsparse_index_base_b.has_indirect_call, 0
	.section	.AMDGPU.csdata,"",@progbits
; Kernel info:
; codeLenInByte = 2272
; TotalNumSgprs: 18
; NumVgprs: 44
; ScratchSize: 0
; MemoryBound: 0
; FloatMode: 240
; IeeeMode: 1
; LDSByteSize: 0 bytes/workgroup (compile time only)
; SGPRBlocks: 0
; VGPRBlocks: 5
; NumSGPRsForWavesPerEU: 18
; NumVGPRsForWavesPerEU: 44
; Occupancy: 16
; WaveLimiterHint : 1
; COMPUTE_PGM_RSRC2:SCRATCH_EN: 0
; COMPUTE_PGM_RSRC2:USER_SGPR: 6
; COMPUTE_PGM_RSRC2:TRAP_HANDLER: 0
; COMPUTE_PGM_RSRC2:TGID_X_EN: 1
; COMPUTE_PGM_RSRC2:TGID_Y_EN: 0
; COMPUTE_PGM_RSRC2:TGID_Z_EN: 0
; COMPUTE_PGM_RSRC2:TIDIG_COMP_CNT: 0
	.section	.text._ZN9rocsparseL19gebsrmvn_3xn_kernelILj128ELj1ELj16E21rocsparse_complex_numIdEEEvi20rocsparse_direction_NS_24const_host_device_scalarIT2_EEPKiS8_PKS5_SA_S6_PS5_21rocsparse_index_base_b,"axG",@progbits,_ZN9rocsparseL19gebsrmvn_3xn_kernelILj128ELj1ELj16E21rocsparse_complex_numIdEEEvi20rocsparse_direction_NS_24const_host_device_scalarIT2_EEPKiS8_PKS5_SA_S6_PS5_21rocsparse_index_base_b,comdat
	.globl	_ZN9rocsparseL19gebsrmvn_3xn_kernelILj128ELj1ELj16E21rocsparse_complex_numIdEEEvi20rocsparse_direction_NS_24const_host_device_scalarIT2_EEPKiS8_PKS5_SA_S6_PS5_21rocsparse_index_base_b ; -- Begin function _ZN9rocsparseL19gebsrmvn_3xn_kernelILj128ELj1ELj16E21rocsparse_complex_numIdEEEvi20rocsparse_direction_NS_24const_host_device_scalarIT2_EEPKiS8_PKS5_SA_S6_PS5_21rocsparse_index_base_b
	.p2align	8
	.type	_ZN9rocsparseL19gebsrmvn_3xn_kernelILj128ELj1ELj16E21rocsparse_complex_numIdEEEvi20rocsparse_direction_NS_24const_host_device_scalarIT2_EEPKiS8_PKS5_SA_S6_PS5_21rocsparse_index_base_b,@function
_ZN9rocsparseL19gebsrmvn_3xn_kernelILj128ELj1ELj16E21rocsparse_complex_numIdEEEvi20rocsparse_direction_NS_24const_host_device_scalarIT2_EEPKiS8_PKS5_SA_S6_PS5_21rocsparse_index_base_b: ; @_ZN9rocsparseL19gebsrmvn_3xn_kernelILj128ELj1ELj16E21rocsparse_complex_numIdEEEvi20rocsparse_direction_NS_24const_host_device_scalarIT2_EEPKiS8_PKS5_SA_S6_PS5_21rocsparse_index_base_b
; %bb.0:
	s_clause 0x1
	s_load_dwordx2 s[2:3], s[4:5], 0x50
	s_load_dwordx2 s[0:1], s[4:5], 0x8
	s_add_u32 s7, s4, 8
	s_addc_u32 s10, s5, 0
	s_add_u32 s11, s4, 56
	s_addc_u32 s12, s5, 0
	s_load_dwordx2 s[8:9], s[4:5], 0x38
	s_waitcnt lgkmcnt(0)
	s_bitcmp1_b32 s3, 0
	s_cselect_b32 s0, s7, s0
	s_cselect_b32 s1, s10, s1
	v_mov_b32_e32 v1, s0
	v_mov_b32_e32 v2, s1
	s_cselect_b32 s0, s11, s8
	s_cselect_b32 s1, s12, s9
	v_mov_b32_e32 v5, s0
	v_mov_b32_e32 v6, s1
	flat_load_dwordx4 v[1:4], v[1:2]
	flat_load_dwordx4 v[5:8], v[5:6]
	s_waitcnt vmcnt(1) lgkmcnt(1)
	v_cmp_eq_f64_e32 vcc_lo, 0, v[1:2]
	v_cmp_eq_f64_e64 s0, 0, v[3:4]
	s_and_b32 s3, vcc_lo, s0
	s_mov_b32 s0, -1
	s_and_saveexec_b32 s1, s3
	s_cbranch_execz .LBB113_2
; %bb.1:
	s_waitcnt vmcnt(0) lgkmcnt(0)
	v_cmp_neq_f64_e32 vcc_lo, 1.0, v[5:6]
	v_cmp_neq_f64_e64 s0, 0, v[7:8]
	s_or_b32 s0, vcc_lo, s0
	s_orn2_b32 s0, s0, exec_lo
.LBB113_2:
	s_or_b32 exec_lo, exec_lo, s1
	s_and_saveexec_b32 s1, s0
	s_cbranch_execz .LBB113_21
; %bb.3:
	s_load_dwordx2 s[0:1], s[4:5], 0x0
	v_lshrrev_b32_e32 v9, 4, v0
	v_lshl_or_b32 v9, s6, 3, v9
	s_waitcnt lgkmcnt(0)
	v_cmp_gt_i32_e32 vcc_lo, s0, v9
	s_and_b32 exec_lo, exec_lo, vcc_lo
	s_cbranch_execz .LBB113_21
; %bb.4:
	s_load_dwordx8 s[8:15], s[4:5], 0x18
	v_ashrrev_i32_e32 v10, 31, v9
	v_and_b32_e32 v0, 15, v0
	s_cmp_lg_u32 s1, 0
	v_lshlrev_b64 v[10:11], 2, v[9:10]
	s_waitcnt lgkmcnt(0)
	v_add_co_u32 v10, vcc_lo, s8, v10
	v_add_co_ci_u32_e64 v11, null, s9, v11, vcc_lo
	global_load_dwordx2 v[10:11], v[10:11], off
	s_waitcnt vmcnt(0)
	v_subrev_nc_u32_e32 v10, s2, v10
	v_subrev_nc_u32_e32 v27, s2, v11
	v_add_nc_u32_e32 v22, v10, v0
	v_cmp_lt_i32_e64 s0, v22, v27
	s_cbranch_scc0 .LBB113_10
; %bb.5:
	v_mov_b32_e32 v10, 0
	v_mov_b32_e32 v16, 0
	;; [unrolled: 1-line block ×12, first 2 shown]
	s_and_saveexec_b32 s1, s0
	s_cbranch_execz .LBB113_9
; %bb.6:
	v_mov_b32_e32 v10, 0
	v_mov_b32_e32 v16, 0
	;; [unrolled: 1-line block ×6, first 2 shown]
	v_lshl_add_u32 v23, v22, 1, v22
	v_mov_b32_e32 v11, 0
	v_mov_b32_e32 v24, 0
	;; [unrolled: 1-line block ×8, first 2 shown]
	s_mov_b32 s3, 0
.LBB113_7:                              ; =>This Inner Loop Header: Depth=1
	v_ashrrev_i32_e32 v26, 31, v25
	v_add_nc_u32_e32 v30, 2, v23
	v_mov_b32_e32 v31, v24
	v_lshlrev_b64 v[32:33], 4, v[23:24]
	v_mov_b32_e32 v41, v24
	v_lshlrev_b64 v[28:29], 2, v[25:26]
	v_add_nc_u32_e32 v25, 16, v25
	v_lshlrev_b64 v[30:31], 4, v[30:31]
	v_add_co_u32 v28, vcc_lo, s10, v28
	v_add_co_ci_u32_e64 v29, null, s11, v29, vcc_lo
	v_add_co_u32 v32, vcc_lo, s12, v32
	v_add_co_ci_u32_e64 v33, null, s13, v33, vcc_lo
	global_load_dword v26, v[28:29], off
	v_add_nc_u32_e32 v28, 1, v23
	v_mov_b32_e32 v29, v24
	v_add_nc_u32_e32 v23, 48, v23
	v_lshlrev_b64 v[28:29], 4, v[28:29]
	v_add_co_u32 v34, vcc_lo, s12, v28
	v_add_co_ci_u32_e64 v35, null, s13, v29, vcc_lo
	v_add_co_u32 v36, vcc_lo, s12, v30
	v_add_co_ci_u32_e64 v37, null, s13, v31, vcc_lo
	s_clause 0x2
	global_load_dwordx4 v[28:31], v[32:33], off
	global_load_dwordx4 v[32:35], v[34:35], off
	global_load_dwordx4 v[36:39], v[36:37], off
	s_waitcnt vmcnt(3)
	v_subrev_nc_u32_e32 v40, s2, v26
	v_lshlrev_b64 v[40:41], 4, v[40:41]
	v_add_co_u32 v40, vcc_lo, s14, v40
	v_add_co_ci_u32_e64 v41, null, s15, v41, vcc_lo
	v_cmp_ge_i32_e32 vcc_lo, v25, v27
	global_load_dwordx4 v[40:43], v[40:41], off
	s_or_b32 s3, vcc_lo, s3
	s_waitcnt vmcnt(0)
	v_fma_f64 v[16:17], v[28:29], v[40:41], v[16:17]
	v_fma_f64 v[10:11], v[30:31], v[40:41], v[10:11]
	;; [unrolled: 1-line block ×6, first 2 shown]
	v_fma_f64 v[16:17], -v[30:31], v[42:43], v[16:17]
	v_fma_f64 v[10:11], v[28:29], v[42:43], v[10:11]
	v_fma_f64 v[20:21], -v[34:35], v[42:43], v[20:21]
	v_fma_f64 v[18:19], v[32:33], v[42:43], v[18:19]
	v_fma_f64 v[12:13], -v[38:39], v[42:43], v[12:13]
	v_fma_f64 v[14:15], v[36:37], v[42:43], v[14:15]
	s_andn2_b32 exec_lo, exec_lo, s3
	s_cbranch_execnz .LBB113_7
; %bb.8:
	s_or_b32 exec_lo, exec_lo, s3
.LBB113_9:
	s_or_b32 exec_lo, exec_lo, s1
	s_cbranch_execz .LBB113_11
	s_branch .LBB113_16
.LBB113_10:
                                        ; implicit-def: $vgpr10_vgpr11
                                        ; implicit-def: $vgpr16_vgpr17
                                        ; implicit-def: $vgpr12_vgpr13
                                        ; implicit-def: $vgpr14_vgpr15
                                        ; implicit-def: $vgpr20_vgpr21
                                        ; implicit-def: $vgpr18_vgpr19
.LBB113_11:
	v_mov_b32_e32 v10, 0
	v_mov_b32_e32 v16, 0
	;; [unrolled: 1-line block ×12, first 2 shown]
	s_and_saveexec_b32 s1, s0
	s_cbranch_execz .LBB113_15
; %bb.12:
	v_mov_b32_e32 v10, 0
	v_mov_b32_e32 v16, 0
	;; [unrolled: 1-line block ×6, first 2 shown]
	v_lshl_add_u32 v24, v22, 1, v22
	v_mov_b32_e32 v11, 0
	v_mov_b32_e32 v17, 0
	v_mov_b32_e32 v13, 0
	v_mov_b32_e32 v15, 0
	v_mov_b32_e32 v21, 0
	v_mov_b32_e32 v19, 0
	v_mov_b32_e32 v25, 0
	s_mov_b32 s0, 0
.LBB113_13:                             ; =>This Inner Loop Header: Depth=1
	v_ashrrev_i32_e32 v23, 31, v22
	v_add_nc_u32_e32 v30, 2, v24
	v_mov_b32_e32 v31, v25
	v_lshlrev_b64 v[32:33], 4, v[24:25]
	v_mov_b32_e32 v41, v25
	v_lshlrev_b64 v[28:29], 2, v[22:23]
	v_add_nc_u32_e32 v22, 16, v22
	v_lshlrev_b64 v[30:31], 4, v[30:31]
	v_add_co_u32 v28, vcc_lo, s10, v28
	v_add_co_ci_u32_e64 v29, null, s11, v29, vcc_lo
	v_add_co_u32 v32, vcc_lo, s12, v32
	v_add_co_ci_u32_e64 v33, null, s13, v33, vcc_lo
	global_load_dword v23, v[28:29], off
	v_add_nc_u32_e32 v28, 1, v24
	v_mov_b32_e32 v29, v25
	v_add_nc_u32_e32 v24, 48, v24
	v_lshlrev_b64 v[28:29], 4, v[28:29]
	v_add_co_u32 v34, vcc_lo, s12, v28
	v_add_co_ci_u32_e64 v35, null, s13, v29, vcc_lo
	v_add_co_u32 v36, vcc_lo, s12, v30
	v_add_co_ci_u32_e64 v37, null, s13, v31, vcc_lo
	s_clause 0x2
	global_load_dwordx4 v[28:31], v[32:33], off
	global_load_dwordx4 v[32:35], v[34:35], off
	;; [unrolled: 1-line block ×3, first 2 shown]
	s_waitcnt vmcnt(3)
	v_subrev_nc_u32_e32 v40, s2, v23
	v_lshlrev_b64 v[40:41], 4, v[40:41]
	v_add_co_u32 v40, vcc_lo, s14, v40
	v_add_co_ci_u32_e64 v41, null, s15, v41, vcc_lo
	v_cmp_ge_i32_e32 vcc_lo, v22, v27
	global_load_dwordx4 v[40:43], v[40:41], off
	s_or_b32 s0, vcc_lo, s0
	s_waitcnt vmcnt(0)
	v_fma_f64 v[16:17], v[28:29], v[40:41], v[16:17]
	v_fma_f64 v[10:11], v[30:31], v[40:41], v[10:11]
	;; [unrolled: 1-line block ×6, first 2 shown]
	v_fma_f64 v[16:17], -v[30:31], v[42:43], v[16:17]
	v_fma_f64 v[10:11], v[28:29], v[42:43], v[10:11]
	v_fma_f64 v[20:21], -v[34:35], v[42:43], v[20:21]
	v_fma_f64 v[18:19], v[32:33], v[42:43], v[18:19]
	v_fma_f64 v[12:13], -v[38:39], v[42:43], v[12:13]
	v_fma_f64 v[14:15], v[36:37], v[42:43], v[14:15]
	s_andn2_b32 exec_lo, exec_lo, s0
	s_cbranch_execnz .LBB113_13
; %bb.14:
	s_or_b32 exec_lo, exec_lo, s0
.LBB113_15:
	s_or_b32 exec_lo, exec_lo, s1
.LBB113_16:
	v_mbcnt_lo_u32_b32 v36, -1, 0
	v_xor_b32_e32 v22, 8, v36
	v_cmp_gt_i32_e32 vcc_lo, 32, v22
	v_cndmask_b32_e32 v22, v36, v22, vcc_lo
	v_lshlrev_b32_e32 v33, 2, v22
	ds_bpermute_b32 v22, v33, v16
	ds_bpermute_b32 v23, v33, v17
	;; [unrolled: 1-line block ×12, first 2 shown]
	s_waitcnt lgkmcnt(10)
	v_add_f64 v[16:17], v[16:17], v[22:23]
	v_xor_b32_e32 v22, 4, v36
	s_waitcnt lgkmcnt(8)
	v_add_f64 v[10:11], v[10:11], v[24:25]
	s_waitcnt lgkmcnt(6)
	v_add_f64 v[20:21], v[20:21], v[26:27]
	;; [unrolled: 2-line block ×3, first 2 shown]
	v_cmp_gt_i32_e32 vcc_lo, 32, v22
	s_waitcnt lgkmcnt(2)
	v_add_f64 v[12:13], v[12:13], v[30:31]
	s_waitcnt lgkmcnt(0)
	v_add_f64 v[14:15], v[14:15], v[32:33]
	v_cndmask_b32_e32 v22, v36, v22, vcc_lo
	v_lshlrev_b32_e32 v33, 2, v22
	ds_bpermute_b32 v22, v33, v16
	ds_bpermute_b32 v23, v33, v17
	;; [unrolled: 1-line block ×12, first 2 shown]
	s_waitcnt lgkmcnt(10)
	v_add_f64 v[16:17], v[16:17], v[22:23]
	s_waitcnt lgkmcnt(8)
	v_add_f64 v[22:23], v[10:11], v[24:25]
	v_xor_b32_e32 v10, 2, v36
	s_waitcnt lgkmcnt(6)
	v_add_f64 v[24:25], v[20:21], v[26:27]
	s_waitcnt lgkmcnt(4)
	v_add_f64 v[18:19], v[18:19], v[28:29]
	;; [unrolled: 2-line block ×3, first 2 shown]
	v_cmp_gt_i32_e32 vcc_lo, 32, v10
	s_waitcnt lgkmcnt(0)
	v_add_f64 v[28:29], v[14:15], v[32:33]
	v_cndmask_b32_e32 v10, v36, v10, vcc_lo
	v_lshlrev_b32_e32 v20, 2, v10
	ds_bpermute_b32 v10, v20, v16
	ds_bpermute_b32 v11, v20, v17
	;; [unrolled: 1-line block ×12, first 2 shown]
	s_waitcnt lgkmcnt(10)
	v_add_f64 v[10:11], v[16:17], v[10:11]
	s_waitcnt lgkmcnt(8)
	v_add_f64 v[20:21], v[22:23], v[12:13]
	v_xor_b32_e32 v22, 1, v36
	s_waitcnt lgkmcnt(6)
	v_add_f64 v[12:13], v[24:25], v[14:15]
	s_waitcnt lgkmcnt(4)
	v_add_f64 v[18:19], v[18:19], v[30:31]
	;; [unrolled: 2-line block ×3, first 2 shown]
	v_cmp_gt_i32_e32 vcc_lo, 32, v22
	s_waitcnt lgkmcnt(0)
	v_add_f64 v[16:17], v[28:29], v[34:35]
	v_cndmask_b32_e32 v22, v36, v22, vcc_lo
	v_cmp_eq_u32_e32 vcc_lo, 15, v0
	v_lshlrev_b32_e32 v25, 2, v22
	ds_bpermute_b32 v32, v25, v10
	ds_bpermute_b32 v33, v25, v11
	;; [unrolled: 1-line block ×12, first 2 shown]
	s_and_b32 exec_lo, exec_lo, vcc_lo
	s_cbranch_execz .LBB113_21
; %bb.17:
	v_cmp_eq_f64_e32 vcc_lo, 0, v[5:6]
	v_cmp_eq_f64_e64 s0, 0, v[7:8]
	s_waitcnt lgkmcnt(10)
	v_add_f64 v[10:11], v[10:11], v[32:33]
	s_waitcnt lgkmcnt(8)
	v_add_f64 v[20:21], v[20:21], v[30:31]
	s_waitcnt lgkmcnt(6)
	v_add_f64 v[12:13], v[12:13], v[28:29]
	s_waitcnt lgkmcnt(4)
	v_add_f64 v[18:19], v[18:19], v[26:27]
	s_waitcnt lgkmcnt(2)
	v_add_f64 v[14:15], v[14:15], v[22:23]
	s_waitcnt lgkmcnt(0)
	v_add_f64 v[16:17], v[16:17], v[24:25]
	s_load_dwordx2 s[2:3], s[4:5], 0x48
	s_and_b32 s0, vcc_lo, s0
	s_and_saveexec_b32 s1, s0
	s_xor_b32 s0, exec_lo, s1
	s_cbranch_execz .LBB113_19
; %bb.18:
	v_mul_f64 v[5:6], v[20:21], -v[3:4]
	v_mul_f64 v[7:8], v[1:2], v[20:21]
	v_mul_f64 v[20:21], v[18:19], -v[3:4]
	v_mul_f64 v[18:19], v[1:2], v[18:19]
	;; [unrolled: 2-line block ×3, first 2 shown]
	v_lshl_add_u32 v24, v9, 1, v9
	v_ashrrev_i32_e32 v25, 31, v24
	v_fma_f64 v[5:6], v[1:2], v[10:11], v[5:6]
	v_fma_f64 v[7:8], v[3:4], v[10:11], v[7:8]
	;; [unrolled: 1-line block ×6, first 2 shown]
	v_lshlrev_b64 v[13:14], 4, v[24:25]
                                        ; implicit-def: $vgpr20_vgpr21
                                        ; implicit-def: $vgpr18_vgpr19
                                        ; implicit-def: $vgpr16_vgpr17
	s_waitcnt lgkmcnt(0)
	v_add_co_u32 v13, vcc_lo, s2, v13
	v_add_co_ci_u32_e64 v14, null, s3, v14, vcc_lo
	global_store_dwordx4 v[13:14], v[5:8], off
	global_store_dwordx4 v[13:14], v[9:12], off offset:16
	global_store_dwordx4 v[13:14], v[0:3], off offset:32
                                        ; implicit-def: $vgpr9
                                        ; implicit-def: $vgpr10_vgpr11
                                        ; implicit-def: $vgpr12_vgpr13
                                        ; implicit-def: $vgpr14_vgpr15
                                        ; implicit-def: $vgpr7_vgpr8
                                        ; implicit-def: $vgpr3_vgpr4
.LBB113_19:
	s_andn2_saveexec_b32 s0, s0
	s_cbranch_execz .LBB113_21
; %bb.20:
	v_lshl_add_u32 v22, v9, 1, v9
	v_mul_f64 v[36:37], v[20:21], -v[3:4]
	v_mul_f64 v[20:21], v[1:2], v[20:21]
	v_mul_f64 v[38:39], v[18:19], -v[3:4]
	v_mul_f64 v[18:19], v[1:2], v[18:19]
	v_ashrrev_i32_e32 v23, 31, v22
	v_mul_f64 v[40:41], v[16:17], -v[3:4]
	v_mul_f64 v[16:17], v[1:2], v[16:17]
	v_lshlrev_b64 v[22:23], 4, v[22:23]
	s_waitcnt lgkmcnt(0)
	v_add_co_u32 v34, vcc_lo, s2, v22
	v_add_co_ci_u32_e64 v35, null, s3, v23, vcc_lo
	s_clause 0x2
	global_load_dwordx4 v[22:25], v[34:35], off
	global_load_dwordx4 v[26:29], v[34:35], off offset:16
	global_load_dwordx4 v[30:33], v[34:35], off offset:32
	v_fma_f64 v[36:37], v[1:2], v[10:11], v[36:37]
	v_fma_f64 v[9:10], v[3:4], v[10:11], v[20:21]
	;; [unrolled: 1-line block ×6, first 2 shown]
	s_waitcnt vmcnt(2)
	v_fma_f64 v[13:14], v[5:6], v[22:23], v[36:37]
	v_fma_f64 v[9:10], v[7:8], v[22:23], v[9:10]
	s_waitcnt vmcnt(1)
	v_fma_f64 v[15:16], v[5:6], v[26:27], v[20:21]
	v_fma_f64 v[11:12], v[7:8], v[26:27], v[11:12]
	;; [unrolled: 3-line block ×3, first 2 shown]
	v_fma_f64 v[0:1], -v[7:8], v[24:25], v[13:14]
	v_fma_f64 v[2:3], v[5:6], v[24:25], v[9:10]
	v_fma_f64 v[9:10], -v[7:8], v[28:29], v[15:16]
	v_fma_f64 v[11:12], v[5:6], v[28:29], v[11:12]
	;; [unrolled: 2-line block ×3, first 2 shown]
	global_store_dwordx4 v[34:35], v[0:3], off
	global_store_dwordx4 v[34:35], v[9:12], off offset:16
	global_store_dwordx4 v[34:35], v[13:16], off offset:32
.LBB113_21:
	s_endpgm
	.section	.rodata,"a",@progbits
	.p2align	6, 0x0
	.amdhsa_kernel _ZN9rocsparseL19gebsrmvn_3xn_kernelILj128ELj1ELj16E21rocsparse_complex_numIdEEEvi20rocsparse_direction_NS_24const_host_device_scalarIT2_EEPKiS8_PKS5_SA_S6_PS5_21rocsparse_index_base_b
		.amdhsa_group_segment_fixed_size 0
		.amdhsa_private_segment_fixed_size 0
		.amdhsa_kernarg_size 88
		.amdhsa_user_sgpr_count 6
		.amdhsa_user_sgpr_private_segment_buffer 1
		.amdhsa_user_sgpr_dispatch_ptr 0
		.amdhsa_user_sgpr_queue_ptr 0
		.amdhsa_user_sgpr_kernarg_segment_ptr 1
		.amdhsa_user_sgpr_dispatch_id 0
		.amdhsa_user_sgpr_flat_scratch_init 0
		.amdhsa_user_sgpr_private_segment_size 0
		.amdhsa_wavefront_size32 1
		.amdhsa_uses_dynamic_stack 0
		.amdhsa_system_sgpr_private_segment_wavefront_offset 0
		.amdhsa_system_sgpr_workgroup_id_x 1
		.amdhsa_system_sgpr_workgroup_id_y 0
		.amdhsa_system_sgpr_workgroup_id_z 0
		.amdhsa_system_sgpr_workgroup_info 0
		.amdhsa_system_vgpr_workitem_id 0
		.amdhsa_next_free_vgpr 44
		.amdhsa_next_free_sgpr 16
		.amdhsa_reserve_vcc 1
		.amdhsa_reserve_flat_scratch 0
		.amdhsa_float_round_mode_32 0
		.amdhsa_float_round_mode_16_64 0
		.amdhsa_float_denorm_mode_32 3
		.amdhsa_float_denorm_mode_16_64 3
		.amdhsa_dx10_clamp 1
		.amdhsa_ieee_mode 1
		.amdhsa_fp16_overflow 0
		.amdhsa_workgroup_processor_mode 1
		.amdhsa_memory_ordered 1
		.amdhsa_forward_progress 1
		.amdhsa_shared_vgpr_count 0
		.amdhsa_exception_fp_ieee_invalid_op 0
		.amdhsa_exception_fp_denorm_src 0
		.amdhsa_exception_fp_ieee_div_zero 0
		.amdhsa_exception_fp_ieee_overflow 0
		.amdhsa_exception_fp_ieee_underflow 0
		.amdhsa_exception_fp_ieee_inexact 0
		.amdhsa_exception_int_div_zero 0
	.end_amdhsa_kernel
	.section	.text._ZN9rocsparseL19gebsrmvn_3xn_kernelILj128ELj1ELj16E21rocsparse_complex_numIdEEEvi20rocsparse_direction_NS_24const_host_device_scalarIT2_EEPKiS8_PKS5_SA_S6_PS5_21rocsparse_index_base_b,"axG",@progbits,_ZN9rocsparseL19gebsrmvn_3xn_kernelILj128ELj1ELj16E21rocsparse_complex_numIdEEEvi20rocsparse_direction_NS_24const_host_device_scalarIT2_EEPKiS8_PKS5_SA_S6_PS5_21rocsparse_index_base_b,comdat
.Lfunc_end113:
	.size	_ZN9rocsparseL19gebsrmvn_3xn_kernelILj128ELj1ELj16E21rocsparse_complex_numIdEEEvi20rocsparse_direction_NS_24const_host_device_scalarIT2_EEPKiS8_PKS5_SA_S6_PS5_21rocsparse_index_base_b, .Lfunc_end113-_ZN9rocsparseL19gebsrmvn_3xn_kernelILj128ELj1ELj16E21rocsparse_complex_numIdEEEvi20rocsparse_direction_NS_24const_host_device_scalarIT2_EEPKiS8_PKS5_SA_S6_PS5_21rocsparse_index_base_b
                                        ; -- End function
	.set _ZN9rocsparseL19gebsrmvn_3xn_kernelILj128ELj1ELj16E21rocsparse_complex_numIdEEEvi20rocsparse_direction_NS_24const_host_device_scalarIT2_EEPKiS8_PKS5_SA_S6_PS5_21rocsparse_index_base_b.num_vgpr, 44
	.set _ZN9rocsparseL19gebsrmvn_3xn_kernelILj128ELj1ELj16E21rocsparse_complex_numIdEEEvi20rocsparse_direction_NS_24const_host_device_scalarIT2_EEPKiS8_PKS5_SA_S6_PS5_21rocsparse_index_base_b.num_agpr, 0
	.set _ZN9rocsparseL19gebsrmvn_3xn_kernelILj128ELj1ELj16E21rocsparse_complex_numIdEEEvi20rocsparse_direction_NS_24const_host_device_scalarIT2_EEPKiS8_PKS5_SA_S6_PS5_21rocsparse_index_base_b.numbered_sgpr, 16
	.set _ZN9rocsparseL19gebsrmvn_3xn_kernelILj128ELj1ELj16E21rocsparse_complex_numIdEEEvi20rocsparse_direction_NS_24const_host_device_scalarIT2_EEPKiS8_PKS5_SA_S6_PS5_21rocsparse_index_base_b.num_named_barrier, 0
	.set _ZN9rocsparseL19gebsrmvn_3xn_kernelILj128ELj1ELj16E21rocsparse_complex_numIdEEEvi20rocsparse_direction_NS_24const_host_device_scalarIT2_EEPKiS8_PKS5_SA_S6_PS5_21rocsparse_index_base_b.private_seg_size, 0
	.set _ZN9rocsparseL19gebsrmvn_3xn_kernelILj128ELj1ELj16E21rocsparse_complex_numIdEEEvi20rocsparse_direction_NS_24const_host_device_scalarIT2_EEPKiS8_PKS5_SA_S6_PS5_21rocsparse_index_base_b.uses_vcc, 1
	.set _ZN9rocsparseL19gebsrmvn_3xn_kernelILj128ELj1ELj16E21rocsparse_complex_numIdEEEvi20rocsparse_direction_NS_24const_host_device_scalarIT2_EEPKiS8_PKS5_SA_S6_PS5_21rocsparse_index_base_b.uses_flat_scratch, 0
	.set _ZN9rocsparseL19gebsrmvn_3xn_kernelILj128ELj1ELj16E21rocsparse_complex_numIdEEEvi20rocsparse_direction_NS_24const_host_device_scalarIT2_EEPKiS8_PKS5_SA_S6_PS5_21rocsparse_index_base_b.has_dyn_sized_stack, 0
	.set _ZN9rocsparseL19gebsrmvn_3xn_kernelILj128ELj1ELj16E21rocsparse_complex_numIdEEEvi20rocsparse_direction_NS_24const_host_device_scalarIT2_EEPKiS8_PKS5_SA_S6_PS5_21rocsparse_index_base_b.has_recursion, 0
	.set _ZN9rocsparseL19gebsrmvn_3xn_kernelILj128ELj1ELj16E21rocsparse_complex_numIdEEEvi20rocsparse_direction_NS_24const_host_device_scalarIT2_EEPKiS8_PKS5_SA_S6_PS5_21rocsparse_index_base_b.has_indirect_call, 0
	.section	.AMDGPU.csdata,"",@progbits
; Kernel info:
; codeLenInByte = 2456
; TotalNumSgprs: 18
; NumVgprs: 44
; ScratchSize: 0
; MemoryBound: 0
; FloatMode: 240
; IeeeMode: 1
; LDSByteSize: 0 bytes/workgroup (compile time only)
; SGPRBlocks: 0
; VGPRBlocks: 5
; NumSGPRsForWavesPerEU: 18
; NumVGPRsForWavesPerEU: 44
; Occupancy: 16
; WaveLimiterHint : 1
; COMPUTE_PGM_RSRC2:SCRATCH_EN: 0
; COMPUTE_PGM_RSRC2:USER_SGPR: 6
; COMPUTE_PGM_RSRC2:TRAP_HANDLER: 0
; COMPUTE_PGM_RSRC2:TGID_X_EN: 1
; COMPUTE_PGM_RSRC2:TGID_Y_EN: 0
; COMPUTE_PGM_RSRC2:TGID_Z_EN: 0
; COMPUTE_PGM_RSRC2:TIDIG_COMP_CNT: 0
	.section	.text._ZN9rocsparseL19gebsrmvn_3xn_kernelILj128ELj1ELj32E21rocsparse_complex_numIdEEEvi20rocsparse_direction_NS_24const_host_device_scalarIT2_EEPKiS8_PKS5_SA_S6_PS5_21rocsparse_index_base_b,"axG",@progbits,_ZN9rocsparseL19gebsrmvn_3xn_kernelILj128ELj1ELj32E21rocsparse_complex_numIdEEEvi20rocsparse_direction_NS_24const_host_device_scalarIT2_EEPKiS8_PKS5_SA_S6_PS5_21rocsparse_index_base_b,comdat
	.globl	_ZN9rocsparseL19gebsrmvn_3xn_kernelILj128ELj1ELj32E21rocsparse_complex_numIdEEEvi20rocsparse_direction_NS_24const_host_device_scalarIT2_EEPKiS8_PKS5_SA_S6_PS5_21rocsparse_index_base_b ; -- Begin function _ZN9rocsparseL19gebsrmvn_3xn_kernelILj128ELj1ELj32E21rocsparse_complex_numIdEEEvi20rocsparse_direction_NS_24const_host_device_scalarIT2_EEPKiS8_PKS5_SA_S6_PS5_21rocsparse_index_base_b
	.p2align	8
	.type	_ZN9rocsparseL19gebsrmvn_3xn_kernelILj128ELj1ELj32E21rocsparse_complex_numIdEEEvi20rocsparse_direction_NS_24const_host_device_scalarIT2_EEPKiS8_PKS5_SA_S6_PS5_21rocsparse_index_base_b,@function
_ZN9rocsparseL19gebsrmvn_3xn_kernelILj128ELj1ELj32E21rocsparse_complex_numIdEEEvi20rocsparse_direction_NS_24const_host_device_scalarIT2_EEPKiS8_PKS5_SA_S6_PS5_21rocsparse_index_base_b: ; @_ZN9rocsparseL19gebsrmvn_3xn_kernelILj128ELj1ELj32E21rocsparse_complex_numIdEEEvi20rocsparse_direction_NS_24const_host_device_scalarIT2_EEPKiS8_PKS5_SA_S6_PS5_21rocsparse_index_base_b
; %bb.0:
	s_clause 0x1
	s_load_dwordx2 s[2:3], s[4:5], 0x50
	s_load_dwordx2 s[0:1], s[4:5], 0x8
	s_add_u32 s7, s4, 8
	s_addc_u32 s10, s5, 0
	s_add_u32 s11, s4, 56
	s_addc_u32 s12, s5, 0
	s_load_dwordx2 s[8:9], s[4:5], 0x38
	s_waitcnt lgkmcnt(0)
	s_bitcmp1_b32 s3, 0
	s_cselect_b32 s0, s7, s0
	s_cselect_b32 s1, s10, s1
	v_mov_b32_e32 v1, s0
	v_mov_b32_e32 v2, s1
	s_cselect_b32 s0, s11, s8
	s_cselect_b32 s1, s12, s9
	v_mov_b32_e32 v5, s0
	v_mov_b32_e32 v6, s1
	flat_load_dwordx4 v[1:4], v[1:2]
	flat_load_dwordx4 v[5:8], v[5:6]
	s_waitcnt vmcnt(1) lgkmcnt(1)
	v_cmp_eq_f64_e32 vcc_lo, 0, v[1:2]
	v_cmp_eq_f64_e64 s0, 0, v[3:4]
	s_and_b32 s3, vcc_lo, s0
	s_mov_b32 s0, -1
	s_and_saveexec_b32 s1, s3
	s_cbranch_execz .LBB114_2
; %bb.1:
	s_waitcnt vmcnt(0) lgkmcnt(0)
	v_cmp_neq_f64_e32 vcc_lo, 1.0, v[5:6]
	v_cmp_neq_f64_e64 s0, 0, v[7:8]
	s_or_b32 s0, vcc_lo, s0
	s_orn2_b32 s0, s0, exec_lo
.LBB114_2:
	s_or_b32 exec_lo, exec_lo, s1
	s_and_saveexec_b32 s1, s0
	s_cbranch_execz .LBB114_21
; %bb.3:
	s_load_dwordx2 s[0:1], s[4:5], 0x0
	v_lshrrev_b32_e32 v9, 5, v0
	v_lshl_or_b32 v9, s6, 2, v9
	s_waitcnt lgkmcnt(0)
	v_cmp_gt_i32_e32 vcc_lo, s0, v9
	s_and_b32 exec_lo, exec_lo, vcc_lo
	s_cbranch_execz .LBB114_21
; %bb.4:
	s_load_dwordx8 s[8:15], s[4:5], 0x18
	v_ashrrev_i32_e32 v10, 31, v9
	v_and_b32_e32 v0, 31, v0
	s_cmp_lg_u32 s1, 0
	v_lshlrev_b64 v[10:11], 2, v[9:10]
	s_waitcnt lgkmcnt(0)
	v_add_co_u32 v10, vcc_lo, s8, v10
	v_add_co_ci_u32_e64 v11, null, s9, v11, vcc_lo
	global_load_dwordx2 v[10:11], v[10:11], off
	s_waitcnt vmcnt(0)
	v_subrev_nc_u32_e32 v10, s2, v10
	v_subrev_nc_u32_e32 v27, s2, v11
	v_add_nc_u32_e32 v22, v10, v0
	v_cmp_lt_i32_e64 s0, v22, v27
	s_cbranch_scc0 .LBB114_10
; %bb.5:
	v_mov_b32_e32 v10, 0
	v_mov_b32_e32 v16, 0
	;; [unrolled: 1-line block ×12, first 2 shown]
	s_and_saveexec_b32 s1, s0
	s_cbranch_execz .LBB114_9
; %bb.6:
	v_mov_b32_e32 v10, 0
	v_mov_b32_e32 v16, 0
	;; [unrolled: 1-line block ×6, first 2 shown]
	v_lshl_add_u32 v23, v22, 1, v22
	v_mov_b32_e32 v11, 0
	v_mov_b32_e32 v24, 0
	;; [unrolled: 1-line block ×8, first 2 shown]
	s_mov_b32 s3, 0
.LBB114_7:                              ; =>This Inner Loop Header: Depth=1
	v_ashrrev_i32_e32 v26, 31, v25
	v_add_nc_u32_e32 v30, 2, v23
	v_mov_b32_e32 v31, v24
	v_lshlrev_b64 v[32:33], 4, v[23:24]
	v_mov_b32_e32 v41, v24
	v_lshlrev_b64 v[28:29], 2, v[25:26]
	v_add_nc_u32_e32 v25, 32, v25
	v_lshlrev_b64 v[30:31], 4, v[30:31]
	v_add_co_u32 v28, vcc_lo, s10, v28
	v_add_co_ci_u32_e64 v29, null, s11, v29, vcc_lo
	v_add_co_u32 v32, vcc_lo, s12, v32
	v_add_co_ci_u32_e64 v33, null, s13, v33, vcc_lo
	global_load_dword v26, v[28:29], off
	v_add_nc_u32_e32 v28, 1, v23
	v_mov_b32_e32 v29, v24
	v_add_nc_u32_e32 v23, 0x60, v23
	v_lshlrev_b64 v[28:29], 4, v[28:29]
	v_add_co_u32 v34, vcc_lo, s12, v28
	v_add_co_ci_u32_e64 v35, null, s13, v29, vcc_lo
	v_add_co_u32 v36, vcc_lo, s12, v30
	v_add_co_ci_u32_e64 v37, null, s13, v31, vcc_lo
	s_clause 0x2
	global_load_dwordx4 v[28:31], v[32:33], off
	global_load_dwordx4 v[32:35], v[34:35], off
	;; [unrolled: 1-line block ×3, first 2 shown]
	s_waitcnt vmcnt(3)
	v_subrev_nc_u32_e32 v40, s2, v26
	v_lshlrev_b64 v[40:41], 4, v[40:41]
	v_add_co_u32 v40, vcc_lo, s14, v40
	v_add_co_ci_u32_e64 v41, null, s15, v41, vcc_lo
	v_cmp_ge_i32_e32 vcc_lo, v25, v27
	global_load_dwordx4 v[40:43], v[40:41], off
	s_or_b32 s3, vcc_lo, s3
	s_waitcnt vmcnt(0)
	v_fma_f64 v[16:17], v[28:29], v[40:41], v[16:17]
	v_fma_f64 v[10:11], v[30:31], v[40:41], v[10:11]
	;; [unrolled: 1-line block ×6, first 2 shown]
	v_fma_f64 v[16:17], -v[30:31], v[42:43], v[16:17]
	v_fma_f64 v[10:11], v[28:29], v[42:43], v[10:11]
	v_fma_f64 v[20:21], -v[34:35], v[42:43], v[20:21]
	v_fma_f64 v[18:19], v[32:33], v[42:43], v[18:19]
	;; [unrolled: 2-line block ×3, first 2 shown]
	s_andn2_b32 exec_lo, exec_lo, s3
	s_cbranch_execnz .LBB114_7
; %bb.8:
	s_or_b32 exec_lo, exec_lo, s3
.LBB114_9:
	s_or_b32 exec_lo, exec_lo, s1
	s_cbranch_execz .LBB114_11
	s_branch .LBB114_16
.LBB114_10:
                                        ; implicit-def: $vgpr10_vgpr11
                                        ; implicit-def: $vgpr16_vgpr17
                                        ; implicit-def: $vgpr12_vgpr13
                                        ; implicit-def: $vgpr14_vgpr15
                                        ; implicit-def: $vgpr20_vgpr21
                                        ; implicit-def: $vgpr18_vgpr19
.LBB114_11:
	v_mov_b32_e32 v10, 0
	v_mov_b32_e32 v16, 0
	;; [unrolled: 1-line block ×12, first 2 shown]
	s_and_saveexec_b32 s1, s0
	s_cbranch_execz .LBB114_15
; %bb.12:
	v_mov_b32_e32 v10, 0
	v_mov_b32_e32 v16, 0
	;; [unrolled: 1-line block ×6, first 2 shown]
	v_lshl_add_u32 v24, v22, 1, v22
	v_mov_b32_e32 v11, 0
	v_mov_b32_e32 v17, 0
	;; [unrolled: 1-line block ×7, first 2 shown]
	s_mov_b32 s0, 0
.LBB114_13:                             ; =>This Inner Loop Header: Depth=1
	v_ashrrev_i32_e32 v23, 31, v22
	v_add_nc_u32_e32 v30, 2, v24
	v_mov_b32_e32 v31, v25
	v_lshlrev_b64 v[32:33], 4, v[24:25]
	v_mov_b32_e32 v41, v25
	v_lshlrev_b64 v[28:29], 2, v[22:23]
	v_add_nc_u32_e32 v22, 32, v22
	v_lshlrev_b64 v[30:31], 4, v[30:31]
	v_add_co_u32 v28, vcc_lo, s10, v28
	v_add_co_ci_u32_e64 v29, null, s11, v29, vcc_lo
	v_add_co_u32 v32, vcc_lo, s12, v32
	v_add_co_ci_u32_e64 v33, null, s13, v33, vcc_lo
	global_load_dword v23, v[28:29], off
	v_add_nc_u32_e32 v28, 1, v24
	v_mov_b32_e32 v29, v25
	v_add_nc_u32_e32 v24, 0x60, v24
	v_lshlrev_b64 v[28:29], 4, v[28:29]
	v_add_co_u32 v34, vcc_lo, s12, v28
	v_add_co_ci_u32_e64 v35, null, s13, v29, vcc_lo
	v_add_co_u32 v36, vcc_lo, s12, v30
	v_add_co_ci_u32_e64 v37, null, s13, v31, vcc_lo
	s_clause 0x2
	global_load_dwordx4 v[28:31], v[32:33], off
	global_load_dwordx4 v[32:35], v[34:35], off
	;; [unrolled: 1-line block ×3, first 2 shown]
	s_waitcnt vmcnt(3)
	v_subrev_nc_u32_e32 v40, s2, v23
	v_lshlrev_b64 v[40:41], 4, v[40:41]
	v_add_co_u32 v40, vcc_lo, s14, v40
	v_add_co_ci_u32_e64 v41, null, s15, v41, vcc_lo
	v_cmp_ge_i32_e32 vcc_lo, v22, v27
	global_load_dwordx4 v[40:43], v[40:41], off
	s_or_b32 s0, vcc_lo, s0
	s_waitcnt vmcnt(0)
	v_fma_f64 v[16:17], v[28:29], v[40:41], v[16:17]
	v_fma_f64 v[10:11], v[30:31], v[40:41], v[10:11]
	;; [unrolled: 1-line block ×6, first 2 shown]
	v_fma_f64 v[16:17], -v[30:31], v[42:43], v[16:17]
	v_fma_f64 v[10:11], v[28:29], v[42:43], v[10:11]
	v_fma_f64 v[20:21], -v[34:35], v[42:43], v[20:21]
	v_fma_f64 v[18:19], v[32:33], v[42:43], v[18:19]
	;; [unrolled: 2-line block ×3, first 2 shown]
	s_andn2_b32 exec_lo, exec_lo, s0
	s_cbranch_execnz .LBB114_13
; %bb.14:
	s_or_b32 exec_lo, exec_lo, s0
.LBB114_15:
	s_or_b32 exec_lo, exec_lo, s1
.LBB114_16:
	v_mbcnt_lo_u32_b32 v36, -1, 0
	v_xor_b32_e32 v22, 16, v36
	v_cmp_gt_i32_e32 vcc_lo, 32, v22
	v_cndmask_b32_e32 v22, v36, v22, vcc_lo
	v_lshlrev_b32_e32 v33, 2, v22
	ds_bpermute_b32 v22, v33, v16
	ds_bpermute_b32 v23, v33, v17
	;; [unrolled: 1-line block ×12, first 2 shown]
	s_waitcnt lgkmcnt(10)
	v_add_f64 v[16:17], v[16:17], v[22:23]
	v_xor_b32_e32 v22, 8, v36
	s_waitcnt lgkmcnt(8)
	v_add_f64 v[10:11], v[10:11], v[24:25]
	s_waitcnt lgkmcnt(6)
	v_add_f64 v[20:21], v[20:21], v[26:27]
	;; [unrolled: 2-line block ×3, first 2 shown]
	v_cmp_gt_i32_e32 vcc_lo, 32, v22
	s_waitcnt lgkmcnt(2)
	v_add_f64 v[12:13], v[12:13], v[30:31]
	s_waitcnt lgkmcnt(0)
	v_add_f64 v[14:15], v[14:15], v[32:33]
	v_cndmask_b32_e32 v22, v36, v22, vcc_lo
	v_lshlrev_b32_e32 v33, 2, v22
	ds_bpermute_b32 v22, v33, v16
	ds_bpermute_b32 v23, v33, v17
	;; [unrolled: 1-line block ×12, first 2 shown]
	s_waitcnt lgkmcnt(10)
	v_add_f64 v[16:17], v[16:17], v[22:23]
	v_xor_b32_e32 v22, 4, v36
	s_waitcnt lgkmcnt(8)
	v_add_f64 v[10:11], v[10:11], v[24:25]
	s_waitcnt lgkmcnt(6)
	v_add_f64 v[20:21], v[20:21], v[26:27]
	;; [unrolled: 2-line block ×3, first 2 shown]
	v_cmp_gt_i32_e32 vcc_lo, 32, v22
	s_waitcnt lgkmcnt(2)
	v_add_f64 v[12:13], v[12:13], v[30:31]
	s_waitcnt lgkmcnt(0)
	v_add_f64 v[14:15], v[14:15], v[32:33]
	v_cndmask_b32_e32 v22, v36, v22, vcc_lo
	v_lshlrev_b32_e32 v33, 2, v22
	ds_bpermute_b32 v22, v33, v16
	ds_bpermute_b32 v23, v33, v17
	;; [unrolled: 1-line block ×12, first 2 shown]
	s_waitcnt lgkmcnt(10)
	v_add_f64 v[16:17], v[16:17], v[22:23]
	s_waitcnt lgkmcnt(8)
	v_add_f64 v[22:23], v[10:11], v[24:25]
	v_xor_b32_e32 v10, 2, v36
	s_waitcnt lgkmcnt(6)
	v_add_f64 v[24:25], v[20:21], v[26:27]
	s_waitcnt lgkmcnt(4)
	v_add_f64 v[18:19], v[18:19], v[28:29]
	;; [unrolled: 2-line block ×3, first 2 shown]
	v_cmp_gt_i32_e32 vcc_lo, 32, v10
	s_waitcnt lgkmcnt(0)
	v_add_f64 v[28:29], v[14:15], v[32:33]
	v_cndmask_b32_e32 v10, v36, v10, vcc_lo
	v_lshlrev_b32_e32 v20, 2, v10
	ds_bpermute_b32 v10, v20, v16
	ds_bpermute_b32 v11, v20, v17
	;; [unrolled: 1-line block ×12, first 2 shown]
	s_waitcnt lgkmcnt(10)
	v_add_f64 v[10:11], v[16:17], v[10:11]
	s_waitcnt lgkmcnt(8)
	v_add_f64 v[20:21], v[22:23], v[12:13]
	v_xor_b32_e32 v22, 1, v36
	s_waitcnt lgkmcnt(6)
	v_add_f64 v[12:13], v[24:25], v[14:15]
	s_waitcnt lgkmcnt(4)
	v_add_f64 v[18:19], v[18:19], v[30:31]
	;; [unrolled: 2-line block ×3, first 2 shown]
	v_cmp_gt_i32_e32 vcc_lo, 32, v22
	s_waitcnt lgkmcnt(0)
	v_add_f64 v[16:17], v[28:29], v[34:35]
	v_cndmask_b32_e32 v22, v36, v22, vcc_lo
	v_cmp_eq_u32_e32 vcc_lo, 31, v0
	v_lshlrev_b32_e32 v25, 2, v22
	ds_bpermute_b32 v32, v25, v10
	ds_bpermute_b32 v33, v25, v11
	ds_bpermute_b32 v30, v25, v20
	ds_bpermute_b32 v31, v25, v21
	ds_bpermute_b32 v28, v25, v12
	ds_bpermute_b32 v29, v25, v13
	ds_bpermute_b32 v26, v25, v18
	ds_bpermute_b32 v27, v25, v19
	ds_bpermute_b32 v22, v25, v14
	ds_bpermute_b32 v23, v25, v15
	ds_bpermute_b32 v24, v25, v16
	ds_bpermute_b32 v25, v25, v17
	s_and_b32 exec_lo, exec_lo, vcc_lo
	s_cbranch_execz .LBB114_21
; %bb.17:
	v_cmp_eq_f64_e32 vcc_lo, 0, v[5:6]
	v_cmp_eq_f64_e64 s0, 0, v[7:8]
	s_waitcnt lgkmcnt(10)
	v_add_f64 v[10:11], v[10:11], v[32:33]
	s_waitcnt lgkmcnt(8)
	v_add_f64 v[20:21], v[20:21], v[30:31]
	;; [unrolled: 2-line block ×6, first 2 shown]
	s_load_dwordx2 s[2:3], s[4:5], 0x48
	s_and_b32 s0, vcc_lo, s0
	s_and_saveexec_b32 s1, s0
	s_xor_b32 s0, exec_lo, s1
	s_cbranch_execz .LBB114_19
; %bb.18:
	v_mul_f64 v[5:6], v[20:21], -v[3:4]
	v_mul_f64 v[7:8], v[1:2], v[20:21]
	v_mul_f64 v[20:21], v[18:19], -v[3:4]
	v_mul_f64 v[18:19], v[1:2], v[18:19]
	v_mul_f64 v[22:23], v[16:17], -v[3:4]
	v_mul_f64 v[16:17], v[1:2], v[16:17]
	v_lshl_add_u32 v24, v9, 1, v9
	v_ashrrev_i32_e32 v25, 31, v24
	v_fma_f64 v[5:6], v[1:2], v[10:11], v[5:6]
	v_fma_f64 v[7:8], v[3:4], v[10:11], v[7:8]
	;; [unrolled: 1-line block ×6, first 2 shown]
	v_lshlrev_b64 v[13:14], 4, v[24:25]
                                        ; implicit-def: $vgpr20_vgpr21
                                        ; implicit-def: $vgpr18_vgpr19
                                        ; implicit-def: $vgpr16_vgpr17
	s_waitcnt lgkmcnt(0)
	v_add_co_u32 v13, vcc_lo, s2, v13
	v_add_co_ci_u32_e64 v14, null, s3, v14, vcc_lo
	global_store_dwordx4 v[13:14], v[5:8], off
	global_store_dwordx4 v[13:14], v[9:12], off offset:16
	global_store_dwordx4 v[13:14], v[0:3], off offset:32
                                        ; implicit-def: $vgpr9
                                        ; implicit-def: $vgpr10_vgpr11
                                        ; implicit-def: $vgpr12_vgpr13
                                        ; implicit-def: $vgpr14_vgpr15
                                        ; implicit-def: $vgpr7_vgpr8
                                        ; implicit-def: $vgpr3_vgpr4
.LBB114_19:
	s_andn2_saveexec_b32 s0, s0
	s_cbranch_execz .LBB114_21
; %bb.20:
	v_lshl_add_u32 v22, v9, 1, v9
	v_mul_f64 v[36:37], v[20:21], -v[3:4]
	v_mul_f64 v[20:21], v[1:2], v[20:21]
	v_mul_f64 v[38:39], v[18:19], -v[3:4]
	v_mul_f64 v[18:19], v[1:2], v[18:19]
	v_ashrrev_i32_e32 v23, 31, v22
	v_mul_f64 v[40:41], v[16:17], -v[3:4]
	v_mul_f64 v[16:17], v[1:2], v[16:17]
	v_lshlrev_b64 v[22:23], 4, v[22:23]
	s_waitcnt lgkmcnt(0)
	v_add_co_u32 v34, vcc_lo, s2, v22
	v_add_co_ci_u32_e64 v35, null, s3, v23, vcc_lo
	s_clause 0x2
	global_load_dwordx4 v[22:25], v[34:35], off
	global_load_dwordx4 v[26:29], v[34:35], off offset:16
	global_load_dwordx4 v[30:33], v[34:35], off offset:32
	v_fma_f64 v[36:37], v[1:2], v[10:11], v[36:37]
	v_fma_f64 v[9:10], v[3:4], v[10:11], v[20:21]
	;; [unrolled: 1-line block ×6, first 2 shown]
	s_waitcnt vmcnt(2)
	v_fma_f64 v[13:14], v[5:6], v[22:23], v[36:37]
	v_fma_f64 v[9:10], v[7:8], v[22:23], v[9:10]
	s_waitcnt vmcnt(1)
	v_fma_f64 v[15:16], v[5:6], v[26:27], v[20:21]
	v_fma_f64 v[11:12], v[7:8], v[26:27], v[11:12]
	;; [unrolled: 3-line block ×3, first 2 shown]
	v_fma_f64 v[0:1], -v[7:8], v[24:25], v[13:14]
	v_fma_f64 v[2:3], v[5:6], v[24:25], v[9:10]
	v_fma_f64 v[9:10], -v[7:8], v[28:29], v[15:16]
	v_fma_f64 v[11:12], v[5:6], v[28:29], v[11:12]
	;; [unrolled: 2-line block ×3, first 2 shown]
	global_store_dwordx4 v[34:35], v[0:3], off
	global_store_dwordx4 v[34:35], v[9:12], off offset:16
	global_store_dwordx4 v[34:35], v[13:16], off offset:32
.LBB114_21:
	s_endpgm
	.section	.rodata,"a",@progbits
	.p2align	6, 0x0
	.amdhsa_kernel _ZN9rocsparseL19gebsrmvn_3xn_kernelILj128ELj1ELj32E21rocsparse_complex_numIdEEEvi20rocsparse_direction_NS_24const_host_device_scalarIT2_EEPKiS8_PKS5_SA_S6_PS5_21rocsparse_index_base_b
		.amdhsa_group_segment_fixed_size 0
		.amdhsa_private_segment_fixed_size 0
		.amdhsa_kernarg_size 88
		.amdhsa_user_sgpr_count 6
		.amdhsa_user_sgpr_private_segment_buffer 1
		.amdhsa_user_sgpr_dispatch_ptr 0
		.amdhsa_user_sgpr_queue_ptr 0
		.amdhsa_user_sgpr_kernarg_segment_ptr 1
		.amdhsa_user_sgpr_dispatch_id 0
		.amdhsa_user_sgpr_flat_scratch_init 0
		.amdhsa_user_sgpr_private_segment_size 0
		.amdhsa_wavefront_size32 1
		.amdhsa_uses_dynamic_stack 0
		.amdhsa_system_sgpr_private_segment_wavefront_offset 0
		.amdhsa_system_sgpr_workgroup_id_x 1
		.amdhsa_system_sgpr_workgroup_id_y 0
		.amdhsa_system_sgpr_workgroup_id_z 0
		.amdhsa_system_sgpr_workgroup_info 0
		.amdhsa_system_vgpr_workitem_id 0
		.amdhsa_next_free_vgpr 44
		.amdhsa_next_free_sgpr 16
		.amdhsa_reserve_vcc 1
		.amdhsa_reserve_flat_scratch 0
		.amdhsa_float_round_mode_32 0
		.amdhsa_float_round_mode_16_64 0
		.amdhsa_float_denorm_mode_32 3
		.amdhsa_float_denorm_mode_16_64 3
		.amdhsa_dx10_clamp 1
		.amdhsa_ieee_mode 1
		.amdhsa_fp16_overflow 0
		.amdhsa_workgroup_processor_mode 1
		.amdhsa_memory_ordered 1
		.amdhsa_forward_progress 1
		.amdhsa_shared_vgpr_count 0
		.amdhsa_exception_fp_ieee_invalid_op 0
		.amdhsa_exception_fp_denorm_src 0
		.amdhsa_exception_fp_ieee_div_zero 0
		.amdhsa_exception_fp_ieee_overflow 0
		.amdhsa_exception_fp_ieee_underflow 0
		.amdhsa_exception_fp_ieee_inexact 0
		.amdhsa_exception_int_div_zero 0
	.end_amdhsa_kernel
	.section	.text._ZN9rocsparseL19gebsrmvn_3xn_kernelILj128ELj1ELj32E21rocsparse_complex_numIdEEEvi20rocsparse_direction_NS_24const_host_device_scalarIT2_EEPKiS8_PKS5_SA_S6_PS5_21rocsparse_index_base_b,"axG",@progbits,_ZN9rocsparseL19gebsrmvn_3xn_kernelILj128ELj1ELj32E21rocsparse_complex_numIdEEEvi20rocsparse_direction_NS_24const_host_device_scalarIT2_EEPKiS8_PKS5_SA_S6_PS5_21rocsparse_index_base_b,comdat
.Lfunc_end114:
	.size	_ZN9rocsparseL19gebsrmvn_3xn_kernelILj128ELj1ELj32E21rocsparse_complex_numIdEEEvi20rocsparse_direction_NS_24const_host_device_scalarIT2_EEPKiS8_PKS5_SA_S6_PS5_21rocsparse_index_base_b, .Lfunc_end114-_ZN9rocsparseL19gebsrmvn_3xn_kernelILj128ELj1ELj32E21rocsparse_complex_numIdEEEvi20rocsparse_direction_NS_24const_host_device_scalarIT2_EEPKiS8_PKS5_SA_S6_PS5_21rocsparse_index_base_b
                                        ; -- End function
	.set _ZN9rocsparseL19gebsrmvn_3xn_kernelILj128ELj1ELj32E21rocsparse_complex_numIdEEEvi20rocsparse_direction_NS_24const_host_device_scalarIT2_EEPKiS8_PKS5_SA_S6_PS5_21rocsparse_index_base_b.num_vgpr, 44
	.set _ZN9rocsparseL19gebsrmvn_3xn_kernelILj128ELj1ELj32E21rocsparse_complex_numIdEEEvi20rocsparse_direction_NS_24const_host_device_scalarIT2_EEPKiS8_PKS5_SA_S6_PS5_21rocsparse_index_base_b.num_agpr, 0
	.set _ZN9rocsparseL19gebsrmvn_3xn_kernelILj128ELj1ELj32E21rocsparse_complex_numIdEEEvi20rocsparse_direction_NS_24const_host_device_scalarIT2_EEPKiS8_PKS5_SA_S6_PS5_21rocsparse_index_base_b.numbered_sgpr, 16
	.set _ZN9rocsparseL19gebsrmvn_3xn_kernelILj128ELj1ELj32E21rocsparse_complex_numIdEEEvi20rocsparse_direction_NS_24const_host_device_scalarIT2_EEPKiS8_PKS5_SA_S6_PS5_21rocsparse_index_base_b.num_named_barrier, 0
	.set _ZN9rocsparseL19gebsrmvn_3xn_kernelILj128ELj1ELj32E21rocsparse_complex_numIdEEEvi20rocsparse_direction_NS_24const_host_device_scalarIT2_EEPKiS8_PKS5_SA_S6_PS5_21rocsparse_index_base_b.private_seg_size, 0
	.set _ZN9rocsparseL19gebsrmvn_3xn_kernelILj128ELj1ELj32E21rocsparse_complex_numIdEEEvi20rocsparse_direction_NS_24const_host_device_scalarIT2_EEPKiS8_PKS5_SA_S6_PS5_21rocsparse_index_base_b.uses_vcc, 1
	.set _ZN9rocsparseL19gebsrmvn_3xn_kernelILj128ELj1ELj32E21rocsparse_complex_numIdEEEvi20rocsparse_direction_NS_24const_host_device_scalarIT2_EEPKiS8_PKS5_SA_S6_PS5_21rocsparse_index_base_b.uses_flat_scratch, 0
	.set _ZN9rocsparseL19gebsrmvn_3xn_kernelILj128ELj1ELj32E21rocsparse_complex_numIdEEEvi20rocsparse_direction_NS_24const_host_device_scalarIT2_EEPKiS8_PKS5_SA_S6_PS5_21rocsparse_index_base_b.has_dyn_sized_stack, 0
	.set _ZN9rocsparseL19gebsrmvn_3xn_kernelILj128ELj1ELj32E21rocsparse_complex_numIdEEEvi20rocsparse_direction_NS_24const_host_device_scalarIT2_EEPKiS8_PKS5_SA_S6_PS5_21rocsparse_index_base_b.has_recursion, 0
	.set _ZN9rocsparseL19gebsrmvn_3xn_kernelILj128ELj1ELj32E21rocsparse_complex_numIdEEEvi20rocsparse_direction_NS_24const_host_device_scalarIT2_EEPKiS8_PKS5_SA_S6_PS5_21rocsparse_index_base_b.has_indirect_call, 0
	.section	.AMDGPU.csdata,"",@progbits
; Kernel info:
; codeLenInByte = 2648
; TotalNumSgprs: 18
; NumVgprs: 44
; ScratchSize: 0
; MemoryBound: 0
; FloatMode: 240
; IeeeMode: 1
; LDSByteSize: 0 bytes/workgroup (compile time only)
; SGPRBlocks: 0
; VGPRBlocks: 5
; NumSGPRsForWavesPerEU: 18
; NumVGPRsForWavesPerEU: 44
; Occupancy: 16
; WaveLimiterHint : 1
; COMPUTE_PGM_RSRC2:SCRATCH_EN: 0
; COMPUTE_PGM_RSRC2:USER_SGPR: 6
; COMPUTE_PGM_RSRC2:TRAP_HANDLER: 0
; COMPUTE_PGM_RSRC2:TGID_X_EN: 1
; COMPUTE_PGM_RSRC2:TGID_Y_EN: 0
; COMPUTE_PGM_RSRC2:TGID_Z_EN: 0
; COMPUTE_PGM_RSRC2:TIDIG_COMP_CNT: 0
	.section	.text._ZN9rocsparseL19gebsrmvn_3xn_kernelILj128ELj1ELj64E21rocsparse_complex_numIdEEEvi20rocsparse_direction_NS_24const_host_device_scalarIT2_EEPKiS8_PKS5_SA_S6_PS5_21rocsparse_index_base_b,"axG",@progbits,_ZN9rocsparseL19gebsrmvn_3xn_kernelILj128ELj1ELj64E21rocsparse_complex_numIdEEEvi20rocsparse_direction_NS_24const_host_device_scalarIT2_EEPKiS8_PKS5_SA_S6_PS5_21rocsparse_index_base_b,comdat
	.globl	_ZN9rocsparseL19gebsrmvn_3xn_kernelILj128ELj1ELj64E21rocsparse_complex_numIdEEEvi20rocsparse_direction_NS_24const_host_device_scalarIT2_EEPKiS8_PKS5_SA_S6_PS5_21rocsparse_index_base_b ; -- Begin function _ZN9rocsparseL19gebsrmvn_3xn_kernelILj128ELj1ELj64E21rocsparse_complex_numIdEEEvi20rocsparse_direction_NS_24const_host_device_scalarIT2_EEPKiS8_PKS5_SA_S6_PS5_21rocsparse_index_base_b
	.p2align	8
	.type	_ZN9rocsparseL19gebsrmvn_3xn_kernelILj128ELj1ELj64E21rocsparse_complex_numIdEEEvi20rocsparse_direction_NS_24const_host_device_scalarIT2_EEPKiS8_PKS5_SA_S6_PS5_21rocsparse_index_base_b,@function
_ZN9rocsparseL19gebsrmvn_3xn_kernelILj128ELj1ELj64E21rocsparse_complex_numIdEEEvi20rocsparse_direction_NS_24const_host_device_scalarIT2_EEPKiS8_PKS5_SA_S6_PS5_21rocsparse_index_base_b: ; @_ZN9rocsparseL19gebsrmvn_3xn_kernelILj128ELj1ELj64E21rocsparse_complex_numIdEEEvi20rocsparse_direction_NS_24const_host_device_scalarIT2_EEPKiS8_PKS5_SA_S6_PS5_21rocsparse_index_base_b
; %bb.0:
	s_clause 0x1
	s_load_dwordx2 s[2:3], s[4:5], 0x50
	s_load_dwordx2 s[0:1], s[4:5], 0x8
	s_add_u32 s7, s4, 8
	s_addc_u32 s10, s5, 0
	s_add_u32 s11, s4, 56
	s_addc_u32 s12, s5, 0
	s_load_dwordx2 s[8:9], s[4:5], 0x38
	s_waitcnt lgkmcnt(0)
	s_bitcmp1_b32 s3, 0
	s_cselect_b32 s0, s7, s0
	s_cselect_b32 s1, s10, s1
	v_mov_b32_e32 v1, s0
	v_mov_b32_e32 v2, s1
	s_cselect_b32 s0, s11, s8
	s_cselect_b32 s1, s12, s9
	v_mov_b32_e32 v5, s0
	v_mov_b32_e32 v6, s1
	flat_load_dwordx4 v[1:4], v[1:2]
	flat_load_dwordx4 v[5:8], v[5:6]
	s_waitcnt vmcnt(1) lgkmcnt(1)
	v_cmp_eq_f64_e32 vcc_lo, 0, v[1:2]
	v_cmp_eq_f64_e64 s0, 0, v[3:4]
	s_and_b32 s3, vcc_lo, s0
	s_mov_b32 s0, -1
	s_and_saveexec_b32 s1, s3
	s_cbranch_execz .LBB115_2
; %bb.1:
	s_waitcnt vmcnt(0) lgkmcnt(0)
	v_cmp_neq_f64_e32 vcc_lo, 1.0, v[5:6]
	v_cmp_neq_f64_e64 s0, 0, v[7:8]
	s_or_b32 s0, vcc_lo, s0
	s_orn2_b32 s0, s0, exec_lo
.LBB115_2:
	s_or_b32 exec_lo, exec_lo, s1
	s_and_saveexec_b32 s1, s0
	s_cbranch_execz .LBB115_21
; %bb.3:
	s_load_dwordx2 s[0:1], s[4:5], 0x0
	v_lshrrev_b32_e32 v9, 6, v0
	v_lshl_or_b32 v9, s6, 1, v9
	s_waitcnt lgkmcnt(0)
	v_cmp_gt_i32_e32 vcc_lo, s0, v9
	s_and_b32 exec_lo, exec_lo, vcc_lo
	s_cbranch_execz .LBB115_21
; %bb.4:
	s_load_dwordx8 s[8:15], s[4:5], 0x18
	v_ashrrev_i32_e32 v10, 31, v9
	v_and_b32_e32 v0, 63, v0
	s_cmp_lg_u32 s1, 0
	v_lshlrev_b64 v[10:11], 2, v[9:10]
	s_waitcnt lgkmcnt(0)
	v_add_co_u32 v10, vcc_lo, s8, v10
	v_add_co_ci_u32_e64 v11, null, s9, v11, vcc_lo
	global_load_dwordx2 v[10:11], v[10:11], off
	s_waitcnt vmcnt(0)
	v_subrev_nc_u32_e32 v10, s2, v10
	v_subrev_nc_u32_e32 v27, s2, v11
	v_add_nc_u32_e32 v22, v10, v0
	v_cmp_lt_i32_e64 s0, v22, v27
	s_cbranch_scc0 .LBB115_10
; %bb.5:
	v_mov_b32_e32 v10, 0
	v_mov_b32_e32 v16, 0
	;; [unrolled: 1-line block ×12, first 2 shown]
	s_and_saveexec_b32 s1, s0
	s_cbranch_execz .LBB115_9
; %bb.6:
	v_mov_b32_e32 v10, 0
	v_mov_b32_e32 v16, 0
	;; [unrolled: 1-line block ×6, first 2 shown]
	v_lshl_add_u32 v23, v22, 1, v22
	v_mov_b32_e32 v11, 0
	v_mov_b32_e32 v24, 0
	;; [unrolled: 1-line block ×8, first 2 shown]
	s_mov_b32 s3, 0
.LBB115_7:                              ; =>This Inner Loop Header: Depth=1
	v_ashrrev_i32_e32 v26, 31, v25
	v_add_nc_u32_e32 v30, 2, v23
	v_mov_b32_e32 v31, v24
	v_lshlrev_b64 v[32:33], 4, v[23:24]
	v_mov_b32_e32 v41, v24
	v_lshlrev_b64 v[28:29], 2, v[25:26]
	v_add_nc_u32_e32 v25, 64, v25
	v_lshlrev_b64 v[30:31], 4, v[30:31]
	v_add_co_u32 v28, vcc_lo, s10, v28
	v_add_co_ci_u32_e64 v29, null, s11, v29, vcc_lo
	v_add_co_u32 v32, vcc_lo, s12, v32
	v_add_co_ci_u32_e64 v33, null, s13, v33, vcc_lo
	global_load_dword v26, v[28:29], off
	v_add_nc_u32_e32 v28, 1, v23
	v_mov_b32_e32 v29, v24
	v_add_nc_u32_e32 v23, 0xc0, v23
	v_lshlrev_b64 v[28:29], 4, v[28:29]
	v_add_co_u32 v34, vcc_lo, s12, v28
	v_add_co_ci_u32_e64 v35, null, s13, v29, vcc_lo
	v_add_co_u32 v36, vcc_lo, s12, v30
	v_add_co_ci_u32_e64 v37, null, s13, v31, vcc_lo
	s_clause 0x2
	global_load_dwordx4 v[28:31], v[32:33], off
	global_load_dwordx4 v[32:35], v[34:35], off
	;; [unrolled: 1-line block ×3, first 2 shown]
	s_waitcnt vmcnt(3)
	v_subrev_nc_u32_e32 v40, s2, v26
	v_lshlrev_b64 v[40:41], 4, v[40:41]
	v_add_co_u32 v40, vcc_lo, s14, v40
	v_add_co_ci_u32_e64 v41, null, s15, v41, vcc_lo
	v_cmp_ge_i32_e32 vcc_lo, v25, v27
	global_load_dwordx4 v[40:43], v[40:41], off
	s_or_b32 s3, vcc_lo, s3
	s_waitcnt vmcnt(0)
	v_fma_f64 v[16:17], v[28:29], v[40:41], v[16:17]
	v_fma_f64 v[10:11], v[30:31], v[40:41], v[10:11]
	;; [unrolled: 1-line block ×6, first 2 shown]
	v_fma_f64 v[16:17], -v[30:31], v[42:43], v[16:17]
	v_fma_f64 v[10:11], v[28:29], v[42:43], v[10:11]
	v_fma_f64 v[20:21], -v[34:35], v[42:43], v[20:21]
	v_fma_f64 v[18:19], v[32:33], v[42:43], v[18:19]
	;; [unrolled: 2-line block ×3, first 2 shown]
	s_andn2_b32 exec_lo, exec_lo, s3
	s_cbranch_execnz .LBB115_7
; %bb.8:
	s_or_b32 exec_lo, exec_lo, s3
.LBB115_9:
	s_or_b32 exec_lo, exec_lo, s1
	s_cbranch_execz .LBB115_11
	s_branch .LBB115_16
.LBB115_10:
                                        ; implicit-def: $vgpr10_vgpr11
                                        ; implicit-def: $vgpr16_vgpr17
                                        ; implicit-def: $vgpr12_vgpr13
                                        ; implicit-def: $vgpr14_vgpr15
                                        ; implicit-def: $vgpr20_vgpr21
                                        ; implicit-def: $vgpr18_vgpr19
.LBB115_11:
	v_mov_b32_e32 v10, 0
	v_mov_b32_e32 v16, 0
	;; [unrolled: 1-line block ×12, first 2 shown]
	s_and_saveexec_b32 s1, s0
	s_cbranch_execz .LBB115_15
; %bb.12:
	v_mov_b32_e32 v10, 0
	v_mov_b32_e32 v16, 0
	;; [unrolled: 1-line block ×6, first 2 shown]
	v_lshl_add_u32 v24, v22, 1, v22
	v_mov_b32_e32 v11, 0
	v_mov_b32_e32 v17, 0
	;; [unrolled: 1-line block ×7, first 2 shown]
	s_mov_b32 s0, 0
.LBB115_13:                             ; =>This Inner Loop Header: Depth=1
	v_ashrrev_i32_e32 v23, 31, v22
	v_add_nc_u32_e32 v30, 2, v24
	v_mov_b32_e32 v31, v25
	v_lshlrev_b64 v[32:33], 4, v[24:25]
	v_mov_b32_e32 v41, v25
	v_lshlrev_b64 v[28:29], 2, v[22:23]
	v_add_nc_u32_e32 v22, 64, v22
	v_lshlrev_b64 v[30:31], 4, v[30:31]
	v_add_co_u32 v28, vcc_lo, s10, v28
	v_add_co_ci_u32_e64 v29, null, s11, v29, vcc_lo
	v_add_co_u32 v32, vcc_lo, s12, v32
	v_add_co_ci_u32_e64 v33, null, s13, v33, vcc_lo
	global_load_dword v23, v[28:29], off
	v_add_nc_u32_e32 v28, 1, v24
	v_mov_b32_e32 v29, v25
	v_add_nc_u32_e32 v24, 0xc0, v24
	v_lshlrev_b64 v[28:29], 4, v[28:29]
	v_add_co_u32 v34, vcc_lo, s12, v28
	v_add_co_ci_u32_e64 v35, null, s13, v29, vcc_lo
	v_add_co_u32 v36, vcc_lo, s12, v30
	v_add_co_ci_u32_e64 v37, null, s13, v31, vcc_lo
	s_clause 0x2
	global_load_dwordx4 v[28:31], v[32:33], off
	global_load_dwordx4 v[32:35], v[34:35], off
	;; [unrolled: 1-line block ×3, first 2 shown]
	s_waitcnt vmcnt(3)
	v_subrev_nc_u32_e32 v40, s2, v23
	v_lshlrev_b64 v[40:41], 4, v[40:41]
	v_add_co_u32 v40, vcc_lo, s14, v40
	v_add_co_ci_u32_e64 v41, null, s15, v41, vcc_lo
	v_cmp_ge_i32_e32 vcc_lo, v22, v27
	global_load_dwordx4 v[40:43], v[40:41], off
	s_or_b32 s0, vcc_lo, s0
	s_waitcnt vmcnt(0)
	v_fma_f64 v[16:17], v[28:29], v[40:41], v[16:17]
	v_fma_f64 v[10:11], v[30:31], v[40:41], v[10:11]
	;; [unrolled: 1-line block ×6, first 2 shown]
	v_fma_f64 v[16:17], -v[30:31], v[42:43], v[16:17]
	v_fma_f64 v[10:11], v[28:29], v[42:43], v[10:11]
	v_fma_f64 v[20:21], -v[34:35], v[42:43], v[20:21]
	v_fma_f64 v[18:19], v[32:33], v[42:43], v[18:19]
	;; [unrolled: 2-line block ×3, first 2 shown]
	s_andn2_b32 exec_lo, exec_lo, s0
	s_cbranch_execnz .LBB115_13
; %bb.14:
	s_or_b32 exec_lo, exec_lo, s0
.LBB115_15:
	s_or_b32 exec_lo, exec_lo, s1
.LBB115_16:
	v_mbcnt_lo_u32_b32 v36, -1, 0
	v_or_b32_e32 v22, 32, v36
	v_cmp_gt_i32_e32 vcc_lo, 32, v22
	v_cndmask_b32_e32 v22, v36, v22, vcc_lo
	v_lshlrev_b32_e32 v33, 2, v22
	ds_bpermute_b32 v22, v33, v16
	ds_bpermute_b32 v23, v33, v17
	ds_bpermute_b32 v24, v33, v10
	ds_bpermute_b32 v25, v33, v11
	ds_bpermute_b32 v26, v33, v20
	ds_bpermute_b32 v27, v33, v21
	ds_bpermute_b32 v28, v33, v18
	ds_bpermute_b32 v29, v33, v19
	ds_bpermute_b32 v30, v33, v12
	ds_bpermute_b32 v31, v33, v13
	ds_bpermute_b32 v32, v33, v14
	ds_bpermute_b32 v33, v33, v15
	s_waitcnt lgkmcnt(10)
	v_add_f64 v[16:17], v[16:17], v[22:23]
	v_xor_b32_e32 v22, 16, v36
	s_waitcnt lgkmcnt(8)
	v_add_f64 v[10:11], v[10:11], v[24:25]
	s_waitcnt lgkmcnt(6)
	v_add_f64 v[20:21], v[20:21], v[26:27]
	s_waitcnt lgkmcnt(4)
	v_add_f64 v[18:19], v[18:19], v[28:29]
	v_cmp_gt_i32_e32 vcc_lo, 32, v22
	s_waitcnt lgkmcnt(2)
	v_add_f64 v[12:13], v[12:13], v[30:31]
	s_waitcnt lgkmcnt(0)
	v_add_f64 v[14:15], v[14:15], v[32:33]
	v_cndmask_b32_e32 v22, v36, v22, vcc_lo
	v_lshlrev_b32_e32 v33, 2, v22
	ds_bpermute_b32 v22, v33, v16
	ds_bpermute_b32 v23, v33, v17
	ds_bpermute_b32 v24, v33, v10
	ds_bpermute_b32 v25, v33, v11
	ds_bpermute_b32 v26, v33, v20
	ds_bpermute_b32 v27, v33, v21
	ds_bpermute_b32 v28, v33, v18
	ds_bpermute_b32 v29, v33, v19
	ds_bpermute_b32 v30, v33, v12
	ds_bpermute_b32 v31, v33, v13
	ds_bpermute_b32 v32, v33, v14
	ds_bpermute_b32 v33, v33, v15
	s_waitcnt lgkmcnt(10)
	v_add_f64 v[16:17], v[16:17], v[22:23]
	v_xor_b32_e32 v22, 8, v36
	s_waitcnt lgkmcnt(8)
	v_add_f64 v[10:11], v[10:11], v[24:25]
	s_waitcnt lgkmcnt(6)
	v_add_f64 v[20:21], v[20:21], v[26:27]
	s_waitcnt lgkmcnt(4)
	v_add_f64 v[18:19], v[18:19], v[28:29]
	v_cmp_gt_i32_e32 vcc_lo, 32, v22
	s_waitcnt lgkmcnt(2)
	v_add_f64 v[12:13], v[12:13], v[30:31]
	s_waitcnt lgkmcnt(0)
	v_add_f64 v[14:15], v[14:15], v[32:33]
	;; [unrolled: 28-line block ×3, first 2 shown]
	v_cndmask_b32_e32 v22, v36, v22, vcc_lo
	v_lshlrev_b32_e32 v33, 2, v22
	ds_bpermute_b32 v22, v33, v16
	ds_bpermute_b32 v23, v33, v17
	;; [unrolled: 1-line block ×12, first 2 shown]
	s_waitcnt lgkmcnt(10)
	v_add_f64 v[16:17], v[16:17], v[22:23]
	s_waitcnt lgkmcnt(8)
	v_add_f64 v[22:23], v[10:11], v[24:25]
	v_xor_b32_e32 v10, 2, v36
	s_waitcnt lgkmcnt(6)
	v_add_f64 v[24:25], v[20:21], v[26:27]
	s_waitcnt lgkmcnt(4)
	v_add_f64 v[18:19], v[18:19], v[28:29]
	;; [unrolled: 2-line block ×3, first 2 shown]
	v_cmp_gt_i32_e32 vcc_lo, 32, v10
	s_waitcnt lgkmcnt(0)
	v_add_f64 v[28:29], v[14:15], v[32:33]
	v_cndmask_b32_e32 v10, v36, v10, vcc_lo
	v_lshlrev_b32_e32 v20, 2, v10
	ds_bpermute_b32 v10, v20, v16
	ds_bpermute_b32 v11, v20, v17
	;; [unrolled: 1-line block ×12, first 2 shown]
	s_waitcnt lgkmcnt(10)
	v_add_f64 v[10:11], v[16:17], v[10:11]
	s_waitcnt lgkmcnt(8)
	v_add_f64 v[20:21], v[22:23], v[12:13]
	v_xor_b32_e32 v22, 1, v36
	s_waitcnt lgkmcnt(6)
	v_add_f64 v[12:13], v[24:25], v[14:15]
	s_waitcnt lgkmcnt(4)
	v_add_f64 v[18:19], v[18:19], v[30:31]
	;; [unrolled: 2-line block ×3, first 2 shown]
	v_cmp_gt_i32_e32 vcc_lo, 32, v22
	s_waitcnt lgkmcnt(0)
	v_add_f64 v[16:17], v[28:29], v[34:35]
	v_cndmask_b32_e32 v22, v36, v22, vcc_lo
	v_cmp_eq_u32_e32 vcc_lo, 63, v0
	v_lshlrev_b32_e32 v25, 2, v22
	ds_bpermute_b32 v32, v25, v10
	ds_bpermute_b32 v33, v25, v11
	;; [unrolled: 1-line block ×12, first 2 shown]
	s_and_b32 exec_lo, exec_lo, vcc_lo
	s_cbranch_execz .LBB115_21
; %bb.17:
	v_cmp_eq_f64_e32 vcc_lo, 0, v[5:6]
	v_cmp_eq_f64_e64 s0, 0, v[7:8]
	s_waitcnt lgkmcnt(10)
	v_add_f64 v[10:11], v[10:11], v[32:33]
	s_waitcnt lgkmcnt(8)
	v_add_f64 v[20:21], v[20:21], v[30:31]
	;; [unrolled: 2-line block ×6, first 2 shown]
	s_load_dwordx2 s[2:3], s[4:5], 0x48
	s_and_b32 s0, vcc_lo, s0
	s_and_saveexec_b32 s1, s0
	s_xor_b32 s0, exec_lo, s1
	s_cbranch_execz .LBB115_19
; %bb.18:
	v_mul_f64 v[5:6], v[20:21], -v[3:4]
	v_mul_f64 v[7:8], v[1:2], v[20:21]
	v_mul_f64 v[20:21], v[18:19], -v[3:4]
	v_mul_f64 v[18:19], v[1:2], v[18:19]
	;; [unrolled: 2-line block ×3, first 2 shown]
	v_lshl_add_u32 v24, v9, 1, v9
	v_ashrrev_i32_e32 v25, 31, v24
	v_fma_f64 v[5:6], v[1:2], v[10:11], v[5:6]
	v_fma_f64 v[7:8], v[3:4], v[10:11], v[7:8]
	;; [unrolled: 1-line block ×6, first 2 shown]
	v_lshlrev_b64 v[13:14], 4, v[24:25]
                                        ; implicit-def: $vgpr20_vgpr21
                                        ; implicit-def: $vgpr18_vgpr19
                                        ; implicit-def: $vgpr16_vgpr17
	s_waitcnt lgkmcnt(0)
	v_add_co_u32 v13, vcc_lo, s2, v13
	v_add_co_ci_u32_e64 v14, null, s3, v14, vcc_lo
	global_store_dwordx4 v[13:14], v[5:8], off
	global_store_dwordx4 v[13:14], v[9:12], off offset:16
	global_store_dwordx4 v[13:14], v[0:3], off offset:32
                                        ; implicit-def: $vgpr9
                                        ; implicit-def: $vgpr10_vgpr11
                                        ; implicit-def: $vgpr12_vgpr13
                                        ; implicit-def: $vgpr14_vgpr15
                                        ; implicit-def: $vgpr7_vgpr8
                                        ; implicit-def: $vgpr3_vgpr4
.LBB115_19:
	s_andn2_saveexec_b32 s0, s0
	s_cbranch_execz .LBB115_21
; %bb.20:
	v_lshl_add_u32 v22, v9, 1, v9
	v_mul_f64 v[36:37], v[20:21], -v[3:4]
	v_mul_f64 v[20:21], v[1:2], v[20:21]
	v_mul_f64 v[38:39], v[18:19], -v[3:4]
	v_mul_f64 v[18:19], v[1:2], v[18:19]
	v_ashrrev_i32_e32 v23, 31, v22
	v_mul_f64 v[40:41], v[16:17], -v[3:4]
	v_mul_f64 v[16:17], v[1:2], v[16:17]
	v_lshlrev_b64 v[22:23], 4, v[22:23]
	s_waitcnt lgkmcnt(0)
	v_add_co_u32 v34, vcc_lo, s2, v22
	v_add_co_ci_u32_e64 v35, null, s3, v23, vcc_lo
	s_clause 0x2
	global_load_dwordx4 v[22:25], v[34:35], off
	global_load_dwordx4 v[26:29], v[34:35], off offset:16
	global_load_dwordx4 v[30:33], v[34:35], off offset:32
	v_fma_f64 v[36:37], v[1:2], v[10:11], v[36:37]
	v_fma_f64 v[9:10], v[3:4], v[10:11], v[20:21]
	;; [unrolled: 1-line block ×6, first 2 shown]
	s_waitcnt vmcnt(2)
	v_fma_f64 v[13:14], v[5:6], v[22:23], v[36:37]
	v_fma_f64 v[9:10], v[7:8], v[22:23], v[9:10]
	s_waitcnt vmcnt(1)
	v_fma_f64 v[15:16], v[5:6], v[26:27], v[20:21]
	v_fma_f64 v[11:12], v[7:8], v[26:27], v[11:12]
	;; [unrolled: 3-line block ×3, first 2 shown]
	v_fma_f64 v[0:1], -v[7:8], v[24:25], v[13:14]
	v_fma_f64 v[2:3], v[5:6], v[24:25], v[9:10]
	v_fma_f64 v[9:10], -v[7:8], v[28:29], v[15:16]
	v_fma_f64 v[11:12], v[5:6], v[28:29], v[11:12]
	v_fma_f64 v[13:14], -v[7:8], v[32:33], v[17:18]
	v_fma_f64 v[15:16], v[5:6], v[32:33], v[19:20]
	global_store_dwordx4 v[34:35], v[0:3], off
	global_store_dwordx4 v[34:35], v[9:12], off offset:16
	global_store_dwordx4 v[34:35], v[13:16], off offset:32
.LBB115_21:
	s_endpgm
	.section	.rodata,"a",@progbits
	.p2align	6, 0x0
	.amdhsa_kernel _ZN9rocsparseL19gebsrmvn_3xn_kernelILj128ELj1ELj64E21rocsparse_complex_numIdEEEvi20rocsparse_direction_NS_24const_host_device_scalarIT2_EEPKiS8_PKS5_SA_S6_PS5_21rocsparse_index_base_b
		.amdhsa_group_segment_fixed_size 0
		.amdhsa_private_segment_fixed_size 0
		.amdhsa_kernarg_size 88
		.amdhsa_user_sgpr_count 6
		.amdhsa_user_sgpr_private_segment_buffer 1
		.amdhsa_user_sgpr_dispatch_ptr 0
		.amdhsa_user_sgpr_queue_ptr 0
		.amdhsa_user_sgpr_kernarg_segment_ptr 1
		.amdhsa_user_sgpr_dispatch_id 0
		.amdhsa_user_sgpr_flat_scratch_init 0
		.amdhsa_user_sgpr_private_segment_size 0
		.amdhsa_wavefront_size32 1
		.amdhsa_uses_dynamic_stack 0
		.amdhsa_system_sgpr_private_segment_wavefront_offset 0
		.amdhsa_system_sgpr_workgroup_id_x 1
		.amdhsa_system_sgpr_workgroup_id_y 0
		.amdhsa_system_sgpr_workgroup_id_z 0
		.amdhsa_system_sgpr_workgroup_info 0
		.amdhsa_system_vgpr_workitem_id 0
		.amdhsa_next_free_vgpr 44
		.amdhsa_next_free_sgpr 16
		.amdhsa_reserve_vcc 1
		.amdhsa_reserve_flat_scratch 0
		.amdhsa_float_round_mode_32 0
		.amdhsa_float_round_mode_16_64 0
		.amdhsa_float_denorm_mode_32 3
		.amdhsa_float_denorm_mode_16_64 3
		.amdhsa_dx10_clamp 1
		.amdhsa_ieee_mode 1
		.amdhsa_fp16_overflow 0
		.amdhsa_workgroup_processor_mode 1
		.amdhsa_memory_ordered 1
		.amdhsa_forward_progress 1
		.amdhsa_shared_vgpr_count 0
		.amdhsa_exception_fp_ieee_invalid_op 0
		.amdhsa_exception_fp_denorm_src 0
		.amdhsa_exception_fp_ieee_div_zero 0
		.amdhsa_exception_fp_ieee_overflow 0
		.amdhsa_exception_fp_ieee_underflow 0
		.amdhsa_exception_fp_ieee_inexact 0
		.amdhsa_exception_int_div_zero 0
	.end_amdhsa_kernel
	.section	.text._ZN9rocsparseL19gebsrmvn_3xn_kernelILj128ELj1ELj64E21rocsparse_complex_numIdEEEvi20rocsparse_direction_NS_24const_host_device_scalarIT2_EEPKiS8_PKS5_SA_S6_PS5_21rocsparse_index_base_b,"axG",@progbits,_ZN9rocsparseL19gebsrmvn_3xn_kernelILj128ELj1ELj64E21rocsparse_complex_numIdEEEvi20rocsparse_direction_NS_24const_host_device_scalarIT2_EEPKiS8_PKS5_SA_S6_PS5_21rocsparse_index_base_b,comdat
.Lfunc_end115:
	.size	_ZN9rocsparseL19gebsrmvn_3xn_kernelILj128ELj1ELj64E21rocsparse_complex_numIdEEEvi20rocsparse_direction_NS_24const_host_device_scalarIT2_EEPKiS8_PKS5_SA_S6_PS5_21rocsparse_index_base_b, .Lfunc_end115-_ZN9rocsparseL19gebsrmvn_3xn_kernelILj128ELj1ELj64E21rocsparse_complex_numIdEEEvi20rocsparse_direction_NS_24const_host_device_scalarIT2_EEPKiS8_PKS5_SA_S6_PS5_21rocsparse_index_base_b
                                        ; -- End function
	.set _ZN9rocsparseL19gebsrmvn_3xn_kernelILj128ELj1ELj64E21rocsparse_complex_numIdEEEvi20rocsparse_direction_NS_24const_host_device_scalarIT2_EEPKiS8_PKS5_SA_S6_PS5_21rocsparse_index_base_b.num_vgpr, 44
	.set _ZN9rocsparseL19gebsrmvn_3xn_kernelILj128ELj1ELj64E21rocsparse_complex_numIdEEEvi20rocsparse_direction_NS_24const_host_device_scalarIT2_EEPKiS8_PKS5_SA_S6_PS5_21rocsparse_index_base_b.num_agpr, 0
	.set _ZN9rocsparseL19gebsrmvn_3xn_kernelILj128ELj1ELj64E21rocsparse_complex_numIdEEEvi20rocsparse_direction_NS_24const_host_device_scalarIT2_EEPKiS8_PKS5_SA_S6_PS5_21rocsparse_index_base_b.numbered_sgpr, 16
	.set _ZN9rocsparseL19gebsrmvn_3xn_kernelILj128ELj1ELj64E21rocsparse_complex_numIdEEEvi20rocsparse_direction_NS_24const_host_device_scalarIT2_EEPKiS8_PKS5_SA_S6_PS5_21rocsparse_index_base_b.num_named_barrier, 0
	.set _ZN9rocsparseL19gebsrmvn_3xn_kernelILj128ELj1ELj64E21rocsparse_complex_numIdEEEvi20rocsparse_direction_NS_24const_host_device_scalarIT2_EEPKiS8_PKS5_SA_S6_PS5_21rocsparse_index_base_b.private_seg_size, 0
	.set _ZN9rocsparseL19gebsrmvn_3xn_kernelILj128ELj1ELj64E21rocsparse_complex_numIdEEEvi20rocsparse_direction_NS_24const_host_device_scalarIT2_EEPKiS8_PKS5_SA_S6_PS5_21rocsparse_index_base_b.uses_vcc, 1
	.set _ZN9rocsparseL19gebsrmvn_3xn_kernelILj128ELj1ELj64E21rocsparse_complex_numIdEEEvi20rocsparse_direction_NS_24const_host_device_scalarIT2_EEPKiS8_PKS5_SA_S6_PS5_21rocsparse_index_base_b.uses_flat_scratch, 0
	.set _ZN9rocsparseL19gebsrmvn_3xn_kernelILj128ELj1ELj64E21rocsparse_complex_numIdEEEvi20rocsparse_direction_NS_24const_host_device_scalarIT2_EEPKiS8_PKS5_SA_S6_PS5_21rocsparse_index_base_b.has_dyn_sized_stack, 0
	.set _ZN9rocsparseL19gebsrmvn_3xn_kernelILj128ELj1ELj64E21rocsparse_complex_numIdEEEvi20rocsparse_direction_NS_24const_host_device_scalarIT2_EEPKiS8_PKS5_SA_S6_PS5_21rocsparse_index_base_b.has_recursion, 0
	.set _ZN9rocsparseL19gebsrmvn_3xn_kernelILj128ELj1ELj64E21rocsparse_complex_numIdEEEvi20rocsparse_direction_NS_24const_host_device_scalarIT2_EEPKiS8_PKS5_SA_S6_PS5_21rocsparse_index_base_b.has_indirect_call, 0
	.section	.AMDGPU.csdata,"",@progbits
; Kernel info:
; codeLenInByte = 2832
; TotalNumSgprs: 18
; NumVgprs: 44
; ScratchSize: 0
; MemoryBound: 0
; FloatMode: 240
; IeeeMode: 1
; LDSByteSize: 0 bytes/workgroup (compile time only)
; SGPRBlocks: 0
; VGPRBlocks: 5
; NumSGPRsForWavesPerEU: 18
; NumVGPRsForWavesPerEU: 44
; Occupancy: 16
; WaveLimiterHint : 1
; COMPUTE_PGM_RSRC2:SCRATCH_EN: 0
; COMPUTE_PGM_RSRC2:USER_SGPR: 6
; COMPUTE_PGM_RSRC2:TRAP_HANDLER: 0
; COMPUTE_PGM_RSRC2:TGID_X_EN: 1
; COMPUTE_PGM_RSRC2:TGID_Y_EN: 0
; COMPUTE_PGM_RSRC2:TGID_Z_EN: 0
; COMPUTE_PGM_RSRC2:TIDIG_COMP_CNT: 0
	.section	.text._ZN9rocsparseL19gebsrmvn_3xn_kernelILj128ELj2ELj4E21rocsparse_complex_numIdEEEvi20rocsparse_direction_NS_24const_host_device_scalarIT2_EEPKiS8_PKS5_SA_S6_PS5_21rocsparse_index_base_b,"axG",@progbits,_ZN9rocsparseL19gebsrmvn_3xn_kernelILj128ELj2ELj4E21rocsparse_complex_numIdEEEvi20rocsparse_direction_NS_24const_host_device_scalarIT2_EEPKiS8_PKS5_SA_S6_PS5_21rocsparse_index_base_b,comdat
	.globl	_ZN9rocsparseL19gebsrmvn_3xn_kernelILj128ELj2ELj4E21rocsparse_complex_numIdEEEvi20rocsparse_direction_NS_24const_host_device_scalarIT2_EEPKiS8_PKS5_SA_S6_PS5_21rocsparse_index_base_b ; -- Begin function _ZN9rocsparseL19gebsrmvn_3xn_kernelILj128ELj2ELj4E21rocsparse_complex_numIdEEEvi20rocsparse_direction_NS_24const_host_device_scalarIT2_EEPKiS8_PKS5_SA_S6_PS5_21rocsparse_index_base_b
	.p2align	8
	.type	_ZN9rocsparseL19gebsrmvn_3xn_kernelILj128ELj2ELj4E21rocsparse_complex_numIdEEEvi20rocsparse_direction_NS_24const_host_device_scalarIT2_EEPKiS8_PKS5_SA_S6_PS5_21rocsparse_index_base_b,@function
_ZN9rocsparseL19gebsrmvn_3xn_kernelILj128ELj2ELj4E21rocsparse_complex_numIdEEEvi20rocsparse_direction_NS_24const_host_device_scalarIT2_EEPKiS8_PKS5_SA_S6_PS5_21rocsparse_index_base_b: ; @_ZN9rocsparseL19gebsrmvn_3xn_kernelILj128ELj2ELj4E21rocsparse_complex_numIdEEEvi20rocsparse_direction_NS_24const_host_device_scalarIT2_EEPKiS8_PKS5_SA_S6_PS5_21rocsparse_index_base_b
; %bb.0:
	s_clause 0x1
	s_load_dwordx2 s[2:3], s[4:5], 0x50
	s_load_dwordx2 s[0:1], s[4:5], 0x8
	s_add_u32 s7, s4, 8
	s_addc_u32 s10, s5, 0
	s_add_u32 s11, s4, 56
	s_addc_u32 s12, s5, 0
	s_load_dwordx2 s[8:9], s[4:5], 0x38
	s_waitcnt lgkmcnt(0)
	s_bitcmp1_b32 s3, 0
	s_cselect_b32 s0, s7, s0
	s_cselect_b32 s1, s10, s1
	v_mov_b32_e32 v1, s0
	v_mov_b32_e32 v2, s1
	s_cselect_b32 s0, s11, s8
	s_cselect_b32 s1, s12, s9
	v_mov_b32_e32 v5, s0
	v_mov_b32_e32 v6, s1
	flat_load_dwordx4 v[1:4], v[1:2]
	flat_load_dwordx4 v[5:8], v[5:6]
	s_waitcnt vmcnt(1) lgkmcnt(1)
	v_cmp_eq_f64_e32 vcc_lo, 0, v[1:2]
	v_cmp_eq_f64_e64 s0, 0, v[3:4]
	s_and_b32 s3, vcc_lo, s0
	s_mov_b32 s0, -1
	s_and_saveexec_b32 s1, s3
	s_cbranch_execz .LBB116_2
; %bb.1:
	s_waitcnt vmcnt(0) lgkmcnt(0)
	v_cmp_neq_f64_e32 vcc_lo, 1.0, v[5:6]
	v_cmp_neq_f64_e64 s0, 0, v[7:8]
	s_or_b32 s0, vcc_lo, s0
	s_orn2_b32 s0, s0, exec_lo
.LBB116_2:
	s_or_b32 exec_lo, exec_lo, s1
	s_and_saveexec_b32 s1, s0
	s_cbranch_execz .LBB116_21
; %bb.3:
	s_load_dwordx2 s[0:1], s[4:5], 0x0
	v_lshrrev_b32_e32 v9, 2, v0
	v_lshl_or_b32 v9, s6, 5, v9
	s_waitcnt lgkmcnt(0)
	v_cmp_gt_i32_e32 vcc_lo, s0, v9
	s_and_b32 exec_lo, exec_lo, vcc_lo
	s_cbranch_execz .LBB116_21
; %bb.4:
	s_load_dwordx8 s[8:15], s[4:5], 0x18
	v_ashrrev_i32_e32 v10, 31, v9
	v_and_b32_e32 v0, 3, v0
	s_cmp_lg_u32 s1, 0
	v_lshlrev_b64 v[10:11], 2, v[9:10]
	s_waitcnt lgkmcnt(0)
	v_add_co_u32 v10, vcc_lo, s8, v10
	v_add_co_ci_u32_e64 v11, null, s9, v11, vcc_lo
	global_load_dwordx2 v[10:11], v[10:11], off
	s_waitcnt vmcnt(0)
	v_subrev_nc_u32_e32 v10, s2, v10
	v_subrev_nc_u32_e32 v29, s2, v11
	v_add_nc_u32_e32 v12, v10, v0
	v_cmp_lt_i32_e64 s0, v12, v29
	s_cbranch_scc0 .LBB116_10
; %bb.5:
	v_mov_b32_e32 v10, 0
	v_mov_b32_e32 v14, 0
	v_mov_b32_e32 v16, 0
	v_mov_b32_e32 v18, 0
	v_mov_b32_e32 v20, 0
	v_mov_b32_e32 v22, 0
	v_mov_b32_e32 v11, 0
	v_mov_b32_e32 v15, 0
	v_mov_b32_e32 v17, 0
	v_mov_b32_e32 v19, 0
	v_mov_b32_e32 v21, 0
	v_mov_b32_e32 v23, 0
	s_and_saveexec_b32 s1, s0
	s_cbranch_execz .LBB116_9
; %bb.6:
	v_mad_u64_u32 v[24:25], null, v12, 6, 5
	v_mov_b32_e32 v10, 0
	v_mov_b32_e32 v14, 0
	;; [unrolled: 1-line block ×14, first 2 shown]
	s_mov_b32 s3, 0
.LBB116_7:                              ; =>This Inner Loop Header: Depth=1
	v_ashrrev_i32_e32 v28, 31, v27
	v_add_nc_u32_e32 v25, -5, v24
	v_mov_b32_e32 v43, v26
	v_lshlrev_b64 v[30:31], 2, v[27:28]
	v_add_nc_u32_e32 v27, 4, v27
	v_add_co_u32 v30, vcc_lo, s10, v30
	v_add_co_ci_u32_e64 v31, null, s11, v31, vcc_lo
	global_load_dword v13, v[30:31], off
	v_lshlrev_b64 v[30:31], 4, v[25:26]
	v_add_nc_u32_e32 v25, -3, v24
	v_lshlrev_b64 v[32:33], 4, v[25:26]
	v_add_co_u32 v34, vcc_lo, s12, v30
	v_add_co_ci_u32_e64 v35, null, s13, v31, vcc_lo
	v_mov_b32_e32 v25, v26
	v_add_co_u32 v38, vcc_lo, s12, v32
	v_add_co_ci_u32_e64 v39, null, s13, v33, vcc_lo
	s_clause 0x2
	global_load_dwordx4 v[30:33], v[34:35], off offset:16
	global_load_dwordx4 v[34:37], v[34:35], off
	global_load_dwordx4 v[38:41], v[38:39], off
	v_lshlrev_b64 v[50:51], 4, v[24:25]
	v_add_nc_u32_e32 v25, -2, v24
	s_waitcnt vmcnt(3)
	v_subrev_nc_u32_e32 v13, s2, v13
	v_lshlrev_b32_e32 v42, 1, v13
	v_lshlrev_b64 v[42:43], 4, v[42:43]
	v_add_co_u32 v46, vcc_lo, s14, v42
	v_add_co_ci_u32_e64 v47, null, s15, v43, vcc_lo
	v_add_co_u32 v58, vcc_lo, s12, v50
	v_add_co_ci_u32_e64 v59, null, s13, v51, vcc_lo
	s_clause 0x1
	global_load_dwordx4 v[42:45], v[46:47], off
	global_load_dwordx4 v[46:49], v[46:47], off offset:16
	v_lshlrev_b64 v[50:51], 4, v[25:26]
	v_add_nc_u32_e32 v25, -1, v24
	v_add_nc_u32_e32 v24, 24, v24
	v_lshlrev_b64 v[52:53], 4, v[25:26]
	v_add_co_u32 v50, vcc_lo, s12, v50
	v_add_co_ci_u32_e64 v51, null, s13, v51, vcc_lo
	v_add_co_u32 v54, vcc_lo, s12, v52
	v_add_co_ci_u32_e64 v55, null, s13, v53, vcc_lo
	s_clause 0x2
	global_load_dwordx4 v[50:53], v[50:51], off
	global_load_dwordx4 v[54:57], v[54:55], off
	;; [unrolled: 1-line block ×3, first 2 shown]
	v_cmp_ge_i32_e32 vcc_lo, v27, v29
	s_or_b32 s3, vcc_lo, s3
	s_waitcnt vmcnt(4)
	v_fma_f64 v[13:14], v[34:35], v[42:43], v[14:15]
	v_fma_f64 v[10:11], v[36:37], v[42:43], v[10:11]
	;; [unrolled: 1-line block ×6, first 2 shown]
	v_fma_f64 v[13:14], -v[36:37], v[44:45], v[13:14]
	v_fma_f64 v[10:11], v[34:35], v[44:45], v[10:11]
	v_fma_f64 v[19:20], -v[32:33], v[44:45], v[20:21]
	v_fma_f64 v[21:22], v[30:31], v[44:45], v[22:23]
	;; [unrolled: 2-line block ×3, first 2 shown]
	s_waitcnt vmcnt(2)
	v_fma_f64 v[13:14], v[50:51], v[46:47], v[13:14]
	v_fma_f64 v[10:11], v[52:53], v[46:47], v[10:11]
	s_waitcnt vmcnt(1)
	v_fma_f64 v[19:20], v[54:55], v[46:47], v[19:20]
	v_fma_f64 v[22:23], v[56:57], v[46:47], v[21:22]
	;; [unrolled: 3-line block ×3, first 2 shown]
	v_fma_f64 v[14:15], -v[52:53], v[48:49], v[13:14]
	v_fma_f64 v[10:11], v[50:51], v[48:49], v[10:11]
	v_fma_f64 v[20:21], -v[56:57], v[48:49], v[19:20]
	v_fma_f64 v[22:23], v[54:55], v[48:49], v[22:23]
	;; [unrolled: 2-line block ×3, first 2 shown]
	s_andn2_b32 exec_lo, exec_lo, s3
	s_cbranch_execnz .LBB116_7
; %bb.8:
	s_or_b32 exec_lo, exec_lo, s3
.LBB116_9:
	s_or_b32 exec_lo, exec_lo, s1
	s_cbranch_execz .LBB116_11
	s_branch .LBB116_16
.LBB116_10:
                                        ; implicit-def: $vgpr10_vgpr11
                                        ; implicit-def: $vgpr14_vgpr15
                                        ; implicit-def: $vgpr16_vgpr17
                                        ; implicit-def: $vgpr18_vgpr19
                                        ; implicit-def: $vgpr20_vgpr21
                                        ; implicit-def: $vgpr22_vgpr23
.LBB116_11:
	v_mov_b32_e32 v10, 0
	v_mov_b32_e32 v14, 0
	;; [unrolled: 1-line block ×12, first 2 shown]
	s_and_saveexec_b32 s1, s0
	s_cbranch_execz .LBB116_15
; %bb.12:
	v_mad_u64_u32 v[24:25], null, v12, 6, 5
	v_mov_b32_e32 v10, 0
	v_mov_b32_e32 v14, 0
	;; [unrolled: 1-line block ×13, first 2 shown]
	s_mov_b32 s0, 0
.LBB116_13:                             ; =>This Inner Loop Header: Depth=1
	v_ashrrev_i32_e32 v13, 31, v12
	v_add_nc_u32_e32 v30, -3, v24
	v_mov_b32_e32 v31, v27
	v_add_nc_u32_e32 v32, -1, v24
	v_mov_b32_e32 v33, v27
	v_lshlrev_b64 v[25:26], 2, v[12:13]
	v_mov_b32_e32 v47, v27
	v_lshlrev_b64 v[30:31], 4, v[30:31]
	v_add_nc_u32_e32 v12, 4, v12
	v_lshlrev_b64 v[32:33], 4, v[32:33]
	v_add_co_u32 v25, vcc_lo, s10, v25
	v_add_co_ci_u32_e64 v26, null, s11, v26, vcc_lo
	global_load_dword v13, v[25:26], off
	v_add_nc_u32_e32 v26, -5, v24
	v_lshlrev_b64 v[25:26], 4, v[26:27]
	v_add_co_u32 v25, vcc_lo, s12, v25
	v_add_co_ci_u32_e64 v26, null, s13, v26, vcc_lo
	v_add_co_u32 v38, vcc_lo, s12, v30
	v_add_co_ci_u32_e64 v39, null, s13, v31, vcc_lo
	;; [unrolled: 2-line block ×3, first 2 shown]
	s_clause 0x3
	global_load_dwordx4 v[30:33], v[25:26], off offset:16
	global_load_dwordx4 v[34:37], v[25:26], off
	global_load_dwordx4 v[38:41], v[38:39], off
	;; [unrolled: 1-line block ×3, first 2 shown]
	s_waitcnt vmcnt(4)
	v_subrev_nc_u32_e32 v13, s2, v13
	v_lshlrev_b32_e32 v46, 1, v13
	v_lshlrev_b64 v[25:26], 4, v[46:47]
	v_add_co_u32 v25, vcc_lo, s14, v25
	v_add_co_ci_u32_e64 v26, null, s15, v26, vcc_lo
	s_clause 0x1
	global_load_dwordx4 v[46:49], v[25:26], off
	global_load_dwordx4 v[50:53], v[25:26], off offset:16
	v_mov_b32_e32 v25, v27
	v_add_nc_u32_e32 v26, -2, v24
	v_lshlrev_b64 v[54:55], 4, v[24:25]
	v_lshlrev_b64 v[25:26], 4, v[26:27]
	v_add_nc_u32_e32 v24, 24, v24
	v_add_co_u32 v58, vcc_lo, s12, v54
	v_add_co_ci_u32_e64 v59, null, s13, v55, vcc_lo
	v_add_co_u32 v25, vcc_lo, s12, v25
	v_add_co_ci_u32_e64 v26, null, s13, v26, vcc_lo
	s_clause 0x1
	global_load_dwordx4 v[54:57], v[25:26], off
	global_load_dwordx4 v[58:61], v[58:59], off
	v_cmp_ge_i32_e32 vcc_lo, v12, v29
	s_or_b32 s0, vcc_lo, s0
	s_waitcnt vmcnt(3)
	v_fma_f64 v[13:14], v[34:35], v[46:47], v[14:15]
	v_fma_f64 v[10:11], v[36:37], v[46:47], v[10:11]
	;; [unrolled: 1-line block ×6, first 2 shown]
	v_fma_f64 v[13:14], -v[36:37], v[48:49], v[13:14]
	v_fma_f64 v[10:11], v[34:35], v[48:49], v[10:11]
	v_fma_f64 v[19:20], -v[40:41], v[48:49], v[20:21]
	v_fma_f64 v[21:22], v[38:39], v[48:49], v[22:23]
	;; [unrolled: 2-line block ×3, first 2 shown]
	s_waitcnt vmcnt(2)
	v_fma_f64 v[13:14], v[30:31], v[50:51], v[13:14]
	v_fma_f64 v[10:11], v[32:33], v[50:51], v[10:11]
	s_waitcnt vmcnt(1)
	v_fma_f64 v[19:20], v[54:55], v[50:51], v[19:20]
	v_fma_f64 v[22:23], v[56:57], v[50:51], v[21:22]
	;; [unrolled: 3-line block ×3, first 2 shown]
	v_fma_f64 v[14:15], -v[32:33], v[52:53], v[13:14]
	v_fma_f64 v[10:11], v[30:31], v[52:53], v[10:11]
	v_fma_f64 v[20:21], -v[56:57], v[52:53], v[19:20]
	v_fma_f64 v[22:23], v[54:55], v[52:53], v[22:23]
	;; [unrolled: 2-line block ×3, first 2 shown]
	s_andn2_b32 exec_lo, exec_lo, s0
	s_cbranch_execnz .LBB116_13
; %bb.14:
	s_or_b32 exec_lo, exec_lo, s0
.LBB116_15:
	s_or_b32 exec_lo, exec_lo, s1
.LBB116_16:
	v_mbcnt_lo_u32_b32 v36, -1, 0
	v_xor_b32_e32 v12, 2, v36
	v_cmp_gt_i32_e32 vcc_lo, 32, v12
	v_cndmask_b32_e32 v12, v36, v12, vcc_lo
	v_lshlrev_b32_e32 v26, 2, v12
	ds_bpermute_b32 v12, v26, v14
	ds_bpermute_b32 v13, v26, v15
	;; [unrolled: 1-line block ×12, first 2 shown]
	s_waitcnt lgkmcnt(10)
	v_add_f64 v[26:27], v[14:15], v[12:13]
	s_waitcnt lgkmcnt(8)
	v_add_f64 v[24:25], v[10:11], v[24:25]
	v_xor_b32_e32 v10, 1, v36
	s_waitcnt lgkmcnt(6)
	v_add_f64 v[12:13], v[20:21], v[28:29]
	s_waitcnt lgkmcnt(4)
	v_add_f64 v[22:23], v[22:23], v[30:31]
	;; [unrolled: 2-line block ×3, first 2 shown]
	v_cmp_gt_i32_e32 vcc_lo, 32, v10
	s_waitcnt lgkmcnt(0)
	v_add_f64 v[16:17], v[18:19], v[34:35]
	v_cndmask_b32_e32 v10, v36, v10, vcc_lo
	v_cmp_eq_u32_e32 vcc_lo, 3, v0
	v_lshlrev_b32_e32 v31, 2, v10
	ds_bpermute_b32 v10, v31, v26
	ds_bpermute_b32 v11, v31, v27
	;; [unrolled: 1-line block ×12, first 2 shown]
	s_and_b32 exec_lo, exec_lo, vcc_lo
	s_cbranch_execz .LBB116_21
; %bb.17:
	v_cmp_eq_f64_e32 vcc_lo, 0, v[5:6]
	v_cmp_eq_f64_e64 s0, 0, v[7:8]
	s_waitcnt lgkmcnt(10)
	v_add_f64 v[10:11], v[26:27], v[10:11]
	s_waitcnt lgkmcnt(8)
	v_add_f64 v[20:21], v[24:25], v[20:21]
	;; [unrolled: 2-line block ×6, first 2 shown]
	s_load_dwordx2 s[2:3], s[4:5], 0x48
	s_and_b32 s0, vcc_lo, s0
	s_and_saveexec_b32 s1, s0
	s_xor_b32 s0, exec_lo, s1
	s_cbranch_execz .LBB116_19
; %bb.18:
	v_mul_f64 v[5:6], v[20:21], -v[3:4]
	v_mul_f64 v[7:8], v[1:2], v[20:21]
	v_mul_f64 v[20:21], v[18:19], -v[3:4]
	v_mul_f64 v[18:19], v[1:2], v[18:19]
	;; [unrolled: 2-line block ×3, first 2 shown]
	v_lshl_add_u32 v24, v9, 1, v9
	v_ashrrev_i32_e32 v25, 31, v24
	v_fma_f64 v[5:6], v[1:2], v[10:11], v[5:6]
	v_fma_f64 v[7:8], v[3:4], v[10:11], v[7:8]
	;; [unrolled: 1-line block ×6, first 2 shown]
	v_lshlrev_b64 v[13:14], 4, v[24:25]
                                        ; implicit-def: $vgpr20_vgpr21
                                        ; implicit-def: $vgpr18_vgpr19
                                        ; implicit-def: $vgpr16_vgpr17
	s_waitcnt lgkmcnt(0)
	v_add_co_u32 v13, vcc_lo, s2, v13
	v_add_co_ci_u32_e64 v14, null, s3, v14, vcc_lo
	global_store_dwordx4 v[13:14], v[5:8], off
	global_store_dwordx4 v[13:14], v[9:12], off offset:16
	global_store_dwordx4 v[13:14], v[0:3], off offset:32
                                        ; implicit-def: $vgpr9
                                        ; implicit-def: $vgpr10_vgpr11
                                        ; implicit-def: $vgpr12_vgpr13
                                        ; implicit-def: $vgpr14_vgpr15
                                        ; implicit-def: $vgpr7_vgpr8
                                        ; implicit-def: $vgpr3_vgpr4
.LBB116_19:
	s_andn2_saveexec_b32 s0, s0
	s_cbranch_execz .LBB116_21
; %bb.20:
	v_lshl_add_u32 v22, v9, 1, v9
	v_mul_f64 v[36:37], v[20:21], -v[3:4]
	v_mul_f64 v[20:21], v[1:2], v[20:21]
	v_mul_f64 v[38:39], v[18:19], -v[3:4]
	v_mul_f64 v[18:19], v[1:2], v[18:19]
	v_ashrrev_i32_e32 v23, 31, v22
	v_mul_f64 v[40:41], v[16:17], -v[3:4]
	v_mul_f64 v[16:17], v[1:2], v[16:17]
	v_lshlrev_b64 v[22:23], 4, v[22:23]
	s_waitcnt lgkmcnt(0)
	v_add_co_u32 v34, vcc_lo, s2, v22
	v_add_co_ci_u32_e64 v35, null, s3, v23, vcc_lo
	s_clause 0x2
	global_load_dwordx4 v[22:25], v[34:35], off
	global_load_dwordx4 v[26:29], v[34:35], off offset:16
	global_load_dwordx4 v[30:33], v[34:35], off offset:32
	v_fma_f64 v[36:37], v[1:2], v[10:11], v[36:37]
	v_fma_f64 v[9:10], v[3:4], v[10:11], v[20:21]
	;; [unrolled: 1-line block ×6, first 2 shown]
	s_waitcnt vmcnt(2)
	v_fma_f64 v[13:14], v[5:6], v[22:23], v[36:37]
	v_fma_f64 v[9:10], v[7:8], v[22:23], v[9:10]
	s_waitcnt vmcnt(1)
	v_fma_f64 v[15:16], v[5:6], v[26:27], v[20:21]
	v_fma_f64 v[11:12], v[7:8], v[26:27], v[11:12]
	;; [unrolled: 3-line block ×3, first 2 shown]
	v_fma_f64 v[0:1], -v[7:8], v[24:25], v[13:14]
	v_fma_f64 v[2:3], v[5:6], v[24:25], v[9:10]
	v_fma_f64 v[9:10], -v[7:8], v[28:29], v[15:16]
	v_fma_f64 v[11:12], v[5:6], v[28:29], v[11:12]
	;; [unrolled: 2-line block ×3, first 2 shown]
	global_store_dwordx4 v[34:35], v[0:3], off
	global_store_dwordx4 v[34:35], v[9:12], off offset:16
	global_store_dwordx4 v[34:35], v[13:16], off offset:32
.LBB116_21:
	s_endpgm
	.section	.rodata,"a",@progbits
	.p2align	6, 0x0
	.amdhsa_kernel _ZN9rocsparseL19gebsrmvn_3xn_kernelILj128ELj2ELj4E21rocsparse_complex_numIdEEEvi20rocsparse_direction_NS_24const_host_device_scalarIT2_EEPKiS8_PKS5_SA_S6_PS5_21rocsparse_index_base_b
		.amdhsa_group_segment_fixed_size 0
		.amdhsa_private_segment_fixed_size 0
		.amdhsa_kernarg_size 88
		.amdhsa_user_sgpr_count 6
		.amdhsa_user_sgpr_private_segment_buffer 1
		.amdhsa_user_sgpr_dispatch_ptr 0
		.amdhsa_user_sgpr_queue_ptr 0
		.amdhsa_user_sgpr_kernarg_segment_ptr 1
		.amdhsa_user_sgpr_dispatch_id 0
		.amdhsa_user_sgpr_flat_scratch_init 0
		.amdhsa_user_sgpr_private_segment_size 0
		.amdhsa_wavefront_size32 1
		.amdhsa_uses_dynamic_stack 0
		.amdhsa_system_sgpr_private_segment_wavefront_offset 0
		.amdhsa_system_sgpr_workgroup_id_x 1
		.amdhsa_system_sgpr_workgroup_id_y 0
		.amdhsa_system_sgpr_workgroup_id_z 0
		.amdhsa_system_sgpr_workgroup_info 0
		.amdhsa_system_vgpr_workitem_id 0
		.amdhsa_next_free_vgpr 62
		.amdhsa_next_free_sgpr 16
		.amdhsa_reserve_vcc 1
		.amdhsa_reserve_flat_scratch 0
		.amdhsa_float_round_mode_32 0
		.amdhsa_float_round_mode_16_64 0
		.amdhsa_float_denorm_mode_32 3
		.amdhsa_float_denorm_mode_16_64 3
		.amdhsa_dx10_clamp 1
		.amdhsa_ieee_mode 1
		.amdhsa_fp16_overflow 0
		.amdhsa_workgroup_processor_mode 1
		.amdhsa_memory_ordered 1
		.amdhsa_forward_progress 1
		.amdhsa_shared_vgpr_count 0
		.amdhsa_exception_fp_ieee_invalid_op 0
		.amdhsa_exception_fp_denorm_src 0
		.amdhsa_exception_fp_ieee_div_zero 0
		.amdhsa_exception_fp_ieee_overflow 0
		.amdhsa_exception_fp_ieee_underflow 0
		.amdhsa_exception_fp_ieee_inexact 0
		.amdhsa_exception_int_div_zero 0
	.end_amdhsa_kernel
	.section	.text._ZN9rocsparseL19gebsrmvn_3xn_kernelILj128ELj2ELj4E21rocsparse_complex_numIdEEEvi20rocsparse_direction_NS_24const_host_device_scalarIT2_EEPKiS8_PKS5_SA_S6_PS5_21rocsparse_index_base_b,"axG",@progbits,_ZN9rocsparseL19gebsrmvn_3xn_kernelILj128ELj2ELj4E21rocsparse_complex_numIdEEEvi20rocsparse_direction_NS_24const_host_device_scalarIT2_EEPKiS8_PKS5_SA_S6_PS5_21rocsparse_index_base_b,comdat
.Lfunc_end116:
	.size	_ZN9rocsparseL19gebsrmvn_3xn_kernelILj128ELj2ELj4E21rocsparse_complex_numIdEEEvi20rocsparse_direction_NS_24const_host_device_scalarIT2_EEPKiS8_PKS5_SA_S6_PS5_21rocsparse_index_base_b, .Lfunc_end116-_ZN9rocsparseL19gebsrmvn_3xn_kernelILj128ELj2ELj4E21rocsparse_complex_numIdEEEvi20rocsparse_direction_NS_24const_host_device_scalarIT2_EEPKiS8_PKS5_SA_S6_PS5_21rocsparse_index_base_b
                                        ; -- End function
	.set _ZN9rocsparseL19gebsrmvn_3xn_kernelILj128ELj2ELj4E21rocsparse_complex_numIdEEEvi20rocsparse_direction_NS_24const_host_device_scalarIT2_EEPKiS8_PKS5_SA_S6_PS5_21rocsparse_index_base_b.num_vgpr, 62
	.set _ZN9rocsparseL19gebsrmvn_3xn_kernelILj128ELj2ELj4E21rocsparse_complex_numIdEEEvi20rocsparse_direction_NS_24const_host_device_scalarIT2_EEPKiS8_PKS5_SA_S6_PS5_21rocsparse_index_base_b.num_agpr, 0
	.set _ZN9rocsparseL19gebsrmvn_3xn_kernelILj128ELj2ELj4E21rocsparse_complex_numIdEEEvi20rocsparse_direction_NS_24const_host_device_scalarIT2_EEPKiS8_PKS5_SA_S6_PS5_21rocsparse_index_base_b.numbered_sgpr, 16
	.set _ZN9rocsparseL19gebsrmvn_3xn_kernelILj128ELj2ELj4E21rocsparse_complex_numIdEEEvi20rocsparse_direction_NS_24const_host_device_scalarIT2_EEPKiS8_PKS5_SA_S6_PS5_21rocsparse_index_base_b.num_named_barrier, 0
	.set _ZN9rocsparseL19gebsrmvn_3xn_kernelILj128ELj2ELj4E21rocsparse_complex_numIdEEEvi20rocsparse_direction_NS_24const_host_device_scalarIT2_EEPKiS8_PKS5_SA_S6_PS5_21rocsparse_index_base_b.private_seg_size, 0
	.set _ZN9rocsparseL19gebsrmvn_3xn_kernelILj128ELj2ELj4E21rocsparse_complex_numIdEEEvi20rocsparse_direction_NS_24const_host_device_scalarIT2_EEPKiS8_PKS5_SA_S6_PS5_21rocsparse_index_base_b.uses_vcc, 1
	.set _ZN9rocsparseL19gebsrmvn_3xn_kernelILj128ELj2ELj4E21rocsparse_complex_numIdEEEvi20rocsparse_direction_NS_24const_host_device_scalarIT2_EEPKiS8_PKS5_SA_S6_PS5_21rocsparse_index_base_b.uses_flat_scratch, 0
	.set _ZN9rocsparseL19gebsrmvn_3xn_kernelILj128ELj2ELj4E21rocsparse_complex_numIdEEEvi20rocsparse_direction_NS_24const_host_device_scalarIT2_EEPKiS8_PKS5_SA_S6_PS5_21rocsparse_index_base_b.has_dyn_sized_stack, 0
	.set _ZN9rocsparseL19gebsrmvn_3xn_kernelILj128ELj2ELj4E21rocsparse_complex_numIdEEEvi20rocsparse_direction_NS_24const_host_device_scalarIT2_EEPKiS8_PKS5_SA_S6_PS5_21rocsparse_index_base_b.has_recursion, 0
	.set _ZN9rocsparseL19gebsrmvn_3xn_kernelILj128ELj2ELj4E21rocsparse_complex_numIdEEEvi20rocsparse_direction_NS_24const_host_device_scalarIT2_EEPKiS8_PKS5_SA_S6_PS5_21rocsparse_index_base_b.has_indirect_call, 0
	.section	.AMDGPU.csdata,"",@progbits
; Kernel info:
; codeLenInByte = 2504
; TotalNumSgprs: 18
; NumVgprs: 62
; ScratchSize: 0
; MemoryBound: 0
; FloatMode: 240
; IeeeMode: 1
; LDSByteSize: 0 bytes/workgroup (compile time only)
; SGPRBlocks: 0
; VGPRBlocks: 7
; NumSGPRsForWavesPerEU: 18
; NumVGPRsForWavesPerEU: 62
; Occupancy: 16
; WaveLimiterHint : 1
; COMPUTE_PGM_RSRC2:SCRATCH_EN: 0
; COMPUTE_PGM_RSRC2:USER_SGPR: 6
; COMPUTE_PGM_RSRC2:TRAP_HANDLER: 0
; COMPUTE_PGM_RSRC2:TGID_X_EN: 1
; COMPUTE_PGM_RSRC2:TGID_Y_EN: 0
; COMPUTE_PGM_RSRC2:TGID_Z_EN: 0
; COMPUTE_PGM_RSRC2:TIDIG_COMP_CNT: 0
	.section	.text._ZN9rocsparseL19gebsrmvn_3xn_kernelILj128ELj2ELj8E21rocsparse_complex_numIdEEEvi20rocsparse_direction_NS_24const_host_device_scalarIT2_EEPKiS8_PKS5_SA_S6_PS5_21rocsparse_index_base_b,"axG",@progbits,_ZN9rocsparseL19gebsrmvn_3xn_kernelILj128ELj2ELj8E21rocsparse_complex_numIdEEEvi20rocsparse_direction_NS_24const_host_device_scalarIT2_EEPKiS8_PKS5_SA_S6_PS5_21rocsparse_index_base_b,comdat
	.globl	_ZN9rocsparseL19gebsrmvn_3xn_kernelILj128ELj2ELj8E21rocsparse_complex_numIdEEEvi20rocsparse_direction_NS_24const_host_device_scalarIT2_EEPKiS8_PKS5_SA_S6_PS5_21rocsparse_index_base_b ; -- Begin function _ZN9rocsparseL19gebsrmvn_3xn_kernelILj128ELj2ELj8E21rocsparse_complex_numIdEEEvi20rocsparse_direction_NS_24const_host_device_scalarIT2_EEPKiS8_PKS5_SA_S6_PS5_21rocsparse_index_base_b
	.p2align	8
	.type	_ZN9rocsparseL19gebsrmvn_3xn_kernelILj128ELj2ELj8E21rocsparse_complex_numIdEEEvi20rocsparse_direction_NS_24const_host_device_scalarIT2_EEPKiS8_PKS5_SA_S6_PS5_21rocsparse_index_base_b,@function
_ZN9rocsparseL19gebsrmvn_3xn_kernelILj128ELj2ELj8E21rocsparse_complex_numIdEEEvi20rocsparse_direction_NS_24const_host_device_scalarIT2_EEPKiS8_PKS5_SA_S6_PS5_21rocsparse_index_base_b: ; @_ZN9rocsparseL19gebsrmvn_3xn_kernelILj128ELj2ELj8E21rocsparse_complex_numIdEEEvi20rocsparse_direction_NS_24const_host_device_scalarIT2_EEPKiS8_PKS5_SA_S6_PS5_21rocsparse_index_base_b
; %bb.0:
	s_clause 0x1
	s_load_dwordx2 s[2:3], s[4:5], 0x50
	s_load_dwordx2 s[0:1], s[4:5], 0x8
	s_add_u32 s7, s4, 8
	s_addc_u32 s10, s5, 0
	s_add_u32 s11, s4, 56
	s_addc_u32 s12, s5, 0
	s_load_dwordx2 s[8:9], s[4:5], 0x38
	s_waitcnt lgkmcnt(0)
	s_bitcmp1_b32 s3, 0
	s_cselect_b32 s0, s7, s0
	s_cselect_b32 s1, s10, s1
	v_mov_b32_e32 v1, s0
	v_mov_b32_e32 v2, s1
	s_cselect_b32 s0, s11, s8
	s_cselect_b32 s1, s12, s9
	v_mov_b32_e32 v5, s0
	v_mov_b32_e32 v6, s1
	flat_load_dwordx4 v[1:4], v[1:2]
	flat_load_dwordx4 v[5:8], v[5:6]
	s_waitcnt vmcnt(1) lgkmcnt(1)
	v_cmp_eq_f64_e32 vcc_lo, 0, v[1:2]
	v_cmp_eq_f64_e64 s0, 0, v[3:4]
	s_and_b32 s3, vcc_lo, s0
	s_mov_b32 s0, -1
	s_and_saveexec_b32 s1, s3
	s_cbranch_execz .LBB117_2
; %bb.1:
	s_waitcnt vmcnt(0) lgkmcnt(0)
	v_cmp_neq_f64_e32 vcc_lo, 1.0, v[5:6]
	v_cmp_neq_f64_e64 s0, 0, v[7:8]
	s_or_b32 s0, vcc_lo, s0
	s_orn2_b32 s0, s0, exec_lo
.LBB117_2:
	s_or_b32 exec_lo, exec_lo, s1
	s_and_saveexec_b32 s1, s0
	s_cbranch_execz .LBB117_21
; %bb.3:
	s_load_dwordx2 s[0:1], s[4:5], 0x0
	v_lshrrev_b32_e32 v9, 3, v0
	v_lshl_or_b32 v9, s6, 4, v9
	s_waitcnt lgkmcnt(0)
	v_cmp_gt_i32_e32 vcc_lo, s0, v9
	s_and_b32 exec_lo, exec_lo, vcc_lo
	s_cbranch_execz .LBB117_21
; %bb.4:
	s_load_dwordx8 s[8:15], s[4:5], 0x18
	v_ashrrev_i32_e32 v10, 31, v9
	v_and_b32_e32 v0, 7, v0
	s_cmp_lg_u32 s1, 0
	v_lshlrev_b64 v[10:11], 2, v[9:10]
	s_waitcnt lgkmcnt(0)
	v_add_co_u32 v10, vcc_lo, s8, v10
	v_add_co_ci_u32_e64 v11, null, s9, v11, vcc_lo
	global_load_dwordx2 v[10:11], v[10:11], off
	s_waitcnt vmcnt(0)
	v_subrev_nc_u32_e32 v10, s2, v10
	v_subrev_nc_u32_e32 v28, s2, v11
	v_add_nc_u32_e32 v22, v10, v0
	v_cmp_lt_i32_e64 s0, v22, v28
	s_cbranch_scc0 .LBB117_10
; %bb.5:
	v_mov_b32_e32 v10, 0
	v_mov_b32_e32 v12, 0
	;; [unrolled: 1-line block ×12, first 2 shown]
	s_and_saveexec_b32 s1, s0
	s_cbranch_execz .LBB117_9
; %bb.6:
	v_mad_u64_u32 v[23:24], null, v22, 6, 5
	v_mov_b32_e32 v10, 0
	v_mov_b32_e32 v12, 0
	;; [unrolled: 1-line block ×14, first 2 shown]
	s_mov_b32 s3, 0
.LBB117_7:                              ; =>This Inner Loop Header: Depth=1
	v_ashrrev_i32_e32 v27, 31, v26
	v_add_nc_u32_e32 v24, -5, v23
	v_mov_b32_e32 v42, v25
	v_lshlrev_b64 v[29:30], 2, v[26:27]
	v_add_nc_u32_e32 v26, 8, v26
	v_add_co_u32 v29, vcc_lo, s10, v29
	v_add_co_ci_u32_e64 v30, null, s11, v30, vcc_lo
	global_load_dword v27, v[29:30], off
	v_lshlrev_b64 v[29:30], 4, v[24:25]
	v_add_nc_u32_e32 v24, -3, v23
	v_lshlrev_b64 v[31:32], 4, v[24:25]
	v_add_co_u32 v33, vcc_lo, s12, v29
	v_add_co_ci_u32_e64 v34, null, s13, v30, vcc_lo
	v_add_co_u32 v37, vcc_lo, s12, v31
	v_add_co_ci_u32_e64 v38, null, s13, v32, vcc_lo
	s_clause 0x2
	global_load_dwordx4 v[29:32], v[33:34], off offset:16
	global_load_dwordx4 v[33:36], v[33:34], off
	global_load_dwordx4 v[37:40], v[37:38], off
	s_waitcnt vmcnt(3)
	v_subrev_nc_u32_e32 v24, s2, v27
	v_lshlrev_b32_e32 v41, 1, v24
	v_mov_b32_e32 v24, v25
	v_lshlrev_b64 v[41:42], 4, v[41:42]
	v_lshlrev_b64 v[49:50], 4, v[23:24]
	v_add_nc_u32_e32 v24, -2, v23
	v_add_co_u32 v45, vcc_lo, s14, v41
	v_add_co_ci_u32_e64 v46, null, s15, v42, vcc_lo
	v_add_co_u32 v57, vcc_lo, s12, v49
	v_add_co_ci_u32_e64 v58, null, s13, v50, vcc_lo
	s_clause 0x1
	global_load_dwordx4 v[41:44], v[45:46], off
	global_load_dwordx4 v[45:48], v[45:46], off offset:16
	v_lshlrev_b64 v[49:50], 4, v[24:25]
	v_add_nc_u32_e32 v24, -1, v23
	v_add_nc_u32_e32 v23, 48, v23
	v_lshlrev_b64 v[51:52], 4, v[24:25]
	v_add_co_u32 v49, vcc_lo, s12, v49
	v_add_co_ci_u32_e64 v50, null, s13, v50, vcc_lo
	v_add_co_u32 v53, vcc_lo, s12, v51
	v_add_co_ci_u32_e64 v54, null, s13, v52, vcc_lo
	s_clause 0x2
	global_load_dwordx4 v[49:52], v[49:50], off
	global_load_dwordx4 v[53:56], v[53:54], off
	;; [unrolled: 1-line block ×3, first 2 shown]
	v_cmp_ge_i32_e32 vcc_lo, v26, v28
	s_or_b32 s3, vcc_lo, s3
	s_waitcnt vmcnt(4)
	v_fma_f64 v[12:13], v[33:34], v[41:42], v[12:13]
	v_fma_f64 v[10:11], v[35:36], v[41:42], v[10:11]
	;; [unrolled: 1-line block ×6, first 2 shown]
	v_fma_f64 v[12:13], -v[35:36], v[43:44], v[12:13]
	v_fma_f64 v[10:11], v[33:34], v[43:44], v[10:11]
	v_fma_f64 v[18:19], -v[31:32], v[43:44], v[18:19]
	v_fma_f64 v[20:21], v[29:30], v[43:44], v[20:21]
	v_fma_f64 v[14:15], -v[39:40], v[43:44], v[14:15]
	v_fma_f64 v[16:17], v[37:38], v[43:44], v[16:17]
	s_waitcnt vmcnt(2)
	v_fma_f64 v[12:13], v[49:50], v[45:46], v[12:13]
	v_fma_f64 v[10:11], v[51:52], v[45:46], v[10:11]
	s_waitcnt vmcnt(1)
	v_fma_f64 v[18:19], v[53:54], v[45:46], v[18:19]
	v_fma_f64 v[20:21], v[55:56], v[45:46], v[20:21]
	;; [unrolled: 3-line block ×3, first 2 shown]
	v_fma_f64 v[12:13], -v[51:52], v[47:48], v[12:13]
	v_fma_f64 v[10:11], v[49:50], v[47:48], v[10:11]
	v_fma_f64 v[18:19], -v[55:56], v[47:48], v[18:19]
	v_fma_f64 v[20:21], v[53:54], v[47:48], v[20:21]
	;; [unrolled: 2-line block ×3, first 2 shown]
	s_andn2_b32 exec_lo, exec_lo, s3
	s_cbranch_execnz .LBB117_7
; %bb.8:
	s_or_b32 exec_lo, exec_lo, s3
.LBB117_9:
	s_or_b32 exec_lo, exec_lo, s1
	s_cbranch_execz .LBB117_11
	s_branch .LBB117_16
.LBB117_10:
                                        ; implicit-def: $vgpr10_vgpr11
                                        ; implicit-def: $vgpr12_vgpr13
                                        ; implicit-def: $vgpr14_vgpr15
                                        ; implicit-def: $vgpr16_vgpr17
                                        ; implicit-def: $vgpr18_vgpr19
                                        ; implicit-def: $vgpr20_vgpr21
.LBB117_11:
	v_mov_b32_e32 v10, 0
	v_mov_b32_e32 v12, 0
	;; [unrolled: 1-line block ×12, first 2 shown]
	s_and_saveexec_b32 s1, s0
	s_cbranch_execz .LBB117_15
; %bb.12:
	v_mad_u64_u32 v[24:25], null, v22, 6, 5
	v_mov_b32_e32 v10, 0
	v_mov_b32_e32 v12, 0
	;; [unrolled: 1-line block ×13, first 2 shown]
	s_mov_b32 s0, 0
.LBB117_13:                             ; =>This Inner Loop Header: Depth=1
	v_ashrrev_i32_e32 v23, 31, v22
	v_add_nc_u32_e32 v29, -3, v24
	v_mov_b32_e32 v30, v27
	v_add_nc_u32_e32 v31, -1, v24
	v_mov_b32_e32 v32, v27
	v_lshlrev_b64 v[25:26], 2, v[22:23]
	v_mov_b32_e32 v46, v27
	v_lshlrev_b64 v[29:30], 4, v[29:30]
	v_add_nc_u32_e32 v22, 8, v22
	v_lshlrev_b64 v[31:32], 4, v[31:32]
	v_add_co_u32 v25, vcc_lo, s10, v25
	v_add_co_ci_u32_e64 v26, null, s11, v26, vcc_lo
	global_load_dword v23, v[25:26], off
	v_add_nc_u32_e32 v26, -5, v24
	v_lshlrev_b64 v[25:26], 4, v[26:27]
	v_add_co_u32 v25, vcc_lo, s12, v25
	v_add_co_ci_u32_e64 v26, null, s13, v26, vcc_lo
	v_add_co_u32 v37, vcc_lo, s12, v29
	v_add_co_ci_u32_e64 v38, null, s13, v30, vcc_lo
	;; [unrolled: 2-line block ×3, first 2 shown]
	s_clause 0x3
	global_load_dwordx4 v[29:32], v[25:26], off offset:16
	global_load_dwordx4 v[33:36], v[25:26], off
	global_load_dwordx4 v[37:40], v[37:38], off
	;; [unrolled: 1-line block ×3, first 2 shown]
	s_waitcnt vmcnt(4)
	v_subrev_nc_u32_e32 v23, s2, v23
	v_lshlrev_b32_e32 v45, 1, v23
	v_lshlrev_b64 v[25:26], 4, v[45:46]
	v_add_co_u32 v25, vcc_lo, s14, v25
	v_add_co_ci_u32_e64 v26, null, s15, v26, vcc_lo
	s_clause 0x1
	global_load_dwordx4 v[45:48], v[25:26], off
	global_load_dwordx4 v[49:52], v[25:26], off offset:16
	v_mov_b32_e32 v25, v27
	v_add_nc_u32_e32 v26, -2, v24
	v_lshlrev_b64 v[53:54], 4, v[24:25]
	v_lshlrev_b64 v[25:26], 4, v[26:27]
	v_add_nc_u32_e32 v24, 48, v24
	v_add_co_u32 v57, vcc_lo, s12, v53
	v_add_co_ci_u32_e64 v58, null, s13, v54, vcc_lo
	v_add_co_u32 v25, vcc_lo, s12, v25
	v_add_co_ci_u32_e64 v26, null, s13, v26, vcc_lo
	s_clause 0x1
	global_load_dwordx4 v[53:56], v[25:26], off
	global_load_dwordx4 v[57:60], v[57:58], off
	v_cmp_ge_i32_e32 vcc_lo, v22, v28
	s_or_b32 s0, vcc_lo, s0
	s_waitcnt vmcnt(3)
	v_fma_f64 v[12:13], v[33:34], v[45:46], v[12:13]
	v_fma_f64 v[10:11], v[35:36], v[45:46], v[10:11]
	;; [unrolled: 1-line block ×6, first 2 shown]
	v_fma_f64 v[12:13], -v[35:36], v[47:48], v[12:13]
	v_fma_f64 v[10:11], v[33:34], v[47:48], v[10:11]
	v_fma_f64 v[18:19], -v[39:40], v[47:48], v[18:19]
	v_fma_f64 v[20:21], v[37:38], v[47:48], v[20:21]
	;; [unrolled: 2-line block ×3, first 2 shown]
	s_waitcnt vmcnt(2)
	v_fma_f64 v[12:13], v[29:30], v[49:50], v[12:13]
	v_fma_f64 v[10:11], v[31:32], v[49:50], v[10:11]
	s_waitcnt vmcnt(1)
	v_fma_f64 v[18:19], v[53:54], v[49:50], v[18:19]
	v_fma_f64 v[20:21], v[55:56], v[49:50], v[20:21]
	;; [unrolled: 3-line block ×3, first 2 shown]
	v_fma_f64 v[12:13], -v[31:32], v[51:52], v[12:13]
	v_fma_f64 v[10:11], v[29:30], v[51:52], v[10:11]
	v_fma_f64 v[18:19], -v[55:56], v[51:52], v[18:19]
	v_fma_f64 v[20:21], v[53:54], v[51:52], v[20:21]
	;; [unrolled: 2-line block ×3, first 2 shown]
	s_andn2_b32 exec_lo, exec_lo, s0
	s_cbranch_execnz .LBB117_13
; %bb.14:
	s_or_b32 exec_lo, exec_lo, s0
.LBB117_15:
	s_or_b32 exec_lo, exec_lo, s1
.LBB117_16:
	v_mbcnt_lo_u32_b32 v34, -1, 0
	v_xor_b32_e32 v22, 4, v34
	v_cmp_gt_i32_e32 vcc_lo, 32, v22
	v_cndmask_b32_e32 v22, v34, v22, vcc_lo
	v_lshlrev_b32_e32 v33, 2, v22
	ds_bpermute_b32 v22, v33, v12
	ds_bpermute_b32 v23, v33, v13
	;; [unrolled: 1-line block ×12, first 2 shown]
	s_waitcnt lgkmcnt(10)
	v_add_f64 v[12:13], v[12:13], v[22:23]
	s_waitcnt lgkmcnt(8)
	v_add_f64 v[22:23], v[10:11], v[24:25]
	v_xor_b32_e32 v10, 2, v34
	s_waitcnt lgkmcnt(6)
	v_add_f64 v[18:19], v[18:19], v[26:27]
	s_waitcnt lgkmcnt(4)
	v_add_f64 v[24:25], v[20:21], v[28:29]
	;; [unrolled: 2-line block ×3, first 2 shown]
	v_cmp_gt_i32_e32 vcc_lo, 32, v10
	s_waitcnt lgkmcnt(0)
	v_add_f64 v[16:17], v[16:17], v[32:33]
	v_cndmask_b32_e32 v10, v34, v10, vcc_lo
	v_lshlrev_b32_e32 v33, 2, v10
	ds_bpermute_b32 v10, v33, v12
	ds_bpermute_b32 v11, v33, v13
	;; [unrolled: 1-line block ×12, first 2 shown]
	s_waitcnt lgkmcnt(10)
	v_add_f64 v[10:11], v[12:13], v[10:11]
	s_waitcnt lgkmcnt(8)
	v_add_f64 v[20:21], v[22:23], v[20:21]
	v_xor_b32_e32 v22, 1, v34
	s_waitcnt lgkmcnt(6)
	v_add_f64 v[12:13], v[18:19], v[26:27]
	s_waitcnt lgkmcnt(4)
	v_add_f64 v[18:19], v[24:25], v[28:29]
	;; [unrolled: 2-line block ×3, first 2 shown]
	v_cmp_gt_i32_e32 vcc_lo, 32, v22
	s_waitcnt lgkmcnt(0)
	v_add_f64 v[16:17], v[16:17], v[32:33]
	v_cndmask_b32_e32 v22, v34, v22, vcc_lo
	v_cmp_eq_u32_e32 vcc_lo, 7, v0
	v_lshlrev_b32_e32 v25, 2, v22
	ds_bpermute_b32 v32, v25, v10
	ds_bpermute_b32 v33, v25, v11
	;; [unrolled: 1-line block ×12, first 2 shown]
	s_and_b32 exec_lo, exec_lo, vcc_lo
	s_cbranch_execz .LBB117_21
; %bb.17:
	v_cmp_eq_f64_e32 vcc_lo, 0, v[5:6]
	v_cmp_eq_f64_e64 s0, 0, v[7:8]
	s_waitcnt lgkmcnt(10)
	v_add_f64 v[10:11], v[10:11], v[32:33]
	s_waitcnt lgkmcnt(8)
	v_add_f64 v[20:21], v[20:21], v[30:31]
	;; [unrolled: 2-line block ×6, first 2 shown]
	s_load_dwordx2 s[2:3], s[4:5], 0x48
	s_and_b32 s0, vcc_lo, s0
	s_and_saveexec_b32 s1, s0
	s_xor_b32 s0, exec_lo, s1
	s_cbranch_execz .LBB117_19
; %bb.18:
	v_mul_f64 v[5:6], v[20:21], -v[3:4]
	v_mul_f64 v[7:8], v[1:2], v[20:21]
	v_mul_f64 v[20:21], v[18:19], -v[3:4]
	v_mul_f64 v[18:19], v[1:2], v[18:19]
	;; [unrolled: 2-line block ×3, first 2 shown]
	v_lshl_add_u32 v24, v9, 1, v9
	v_ashrrev_i32_e32 v25, 31, v24
	v_fma_f64 v[5:6], v[1:2], v[10:11], v[5:6]
	v_fma_f64 v[7:8], v[3:4], v[10:11], v[7:8]
	;; [unrolled: 1-line block ×6, first 2 shown]
	v_lshlrev_b64 v[13:14], 4, v[24:25]
                                        ; implicit-def: $vgpr20_vgpr21
                                        ; implicit-def: $vgpr18_vgpr19
                                        ; implicit-def: $vgpr16_vgpr17
	s_waitcnt lgkmcnt(0)
	v_add_co_u32 v13, vcc_lo, s2, v13
	v_add_co_ci_u32_e64 v14, null, s3, v14, vcc_lo
	global_store_dwordx4 v[13:14], v[5:8], off
	global_store_dwordx4 v[13:14], v[9:12], off offset:16
	global_store_dwordx4 v[13:14], v[0:3], off offset:32
                                        ; implicit-def: $vgpr9
                                        ; implicit-def: $vgpr10_vgpr11
                                        ; implicit-def: $vgpr12_vgpr13
                                        ; implicit-def: $vgpr14_vgpr15
                                        ; implicit-def: $vgpr7_vgpr8
                                        ; implicit-def: $vgpr3_vgpr4
.LBB117_19:
	s_andn2_saveexec_b32 s0, s0
	s_cbranch_execz .LBB117_21
; %bb.20:
	v_lshl_add_u32 v22, v9, 1, v9
	v_mul_f64 v[36:37], v[20:21], -v[3:4]
	v_mul_f64 v[20:21], v[1:2], v[20:21]
	v_mul_f64 v[38:39], v[18:19], -v[3:4]
	v_mul_f64 v[18:19], v[1:2], v[18:19]
	v_ashrrev_i32_e32 v23, 31, v22
	v_mul_f64 v[40:41], v[16:17], -v[3:4]
	v_mul_f64 v[16:17], v[1:2], v[16:17]
	v_lshlrev_b64 v[22:23], 4, v[22:23]
	s_waitcnt lgkmcnt(0)
	v_add_co_u32 v34, vcc_lo, s2, v22
	v_add_co_ci_u32_e64 v35, null, s3, v23, vcc_lo
	s_clause 0x2
	global_load_dwordx4 v[22:25], v[34:35], off
	global_load_dwordx4 v[26:29], v[34:35], off offset:16
	global_load_dwordx4 v[30:33], v[34:35], off offset:32
	v_fma_f64 v[36:37], v[1:2], v[10:11], v[36:37]
	v_fma_f64 v[9:10], v[3:4], v[10:11], v[20:21]
	;; [unrolled: 1-line block ×6, first 2 shown]
	s_waitcnt vmcnt(2)
	v_fma_f64 v[13:14], v[5:6], v[22:23], v[36:37]
	v_fma_f64 v[9:10], v[7:8], v[22:23], v[9:10]
	s_waitcnt vmcnt(1)
	v_fma_f64 v[15:16], v[5:6], v[26:27], v[20:21]
	v_fma_f64 v[11:12], v[7:8], v[26:27], v[11:12]
	;; [unrolled: 3-line block ×3, first 2 shown]
	v_fma_f64 v[0:1], -v[7:8], v[24:25], v[13:14]
	v_fma_f64 v[2:3], v[5:6], v[24:25], v[9:10]
	v_fma_f64 v[9:10], -v[7:8], v[28:29], v[15:16]
	v_fma_f64 v[11:12], v[5:6], v[28:29], v[11:12]
	;; [unrolled: 2-line block ×3, first 2 shown]
	global_store_dwordx4 v[34:35], v[0:3], off
	global_store_dwordx4 v[34:35], v[9:12], off offset:16
	global_store_dwordx4 v[34:35], v[13:16], off offset:32
.LBB117_21:
	s_endpgm
	.section	.rodata,"a",@progbits
	.p2align	6, 0x0
	.amdhsa_kernel _ZN9rocsparseL19gebsrmvn_3xn_kernelILj128ELj2ELj8E21rocsparse_complex_numIdEEEvi20rocsparse_direction_NS_24const_host_device_scalarIT2_EEPKiS8_PKS5_SA_S6_PS5_21rocsparse_index_base_b
		.amdhsa_group_segment_fixed_size 0
		.amdhsa_private_segment_fixed_size 0
		.amdhsa_kernarg_size 88
		.amdhsa_user_sgpr_count 6
		.amdhsa_user_sgpr_private_segment_buffer 1
		.amdhsa_user_sgpr_dispatch_ptr 0
		.amdhsa_user_sgpr_queue_ptr 0
		.amdhsa_user_sgpr_kernarg_segment_ptr 1
		.amdhsa_user_sgpr_dispatch_id 0
		.amdhsa_user_sgpr_flat_scratch_init 0
		.amdhsa_user_sgpr_private_segment_size 0
		.amdhsa_wavefront_size32 1
		.amdhsa_uses_dynamic_stack 0
		.amdhsa_system_sgpr_private_segment_wavefront_offset 0
		.amdhsa_system_sgpr_workgroup_id_x 1
		.amdhsa_system_sgpr_workgroup_id_y 0
		.amdhsa_system_sgpr_workgroup_id_z 0
		.amdhsa_system_sgpr_workgroup_info 0
		.amdhsa_system_vgpr_workitem_id 0
		.amdhsa_next_free_vgpr 61
		.amdhsa_next_free_sgpr 16
		.amdhsa_reserve_vcc 1
		.amdhsa_reserve_flat_scratch 0
		.amdhsa_float_round_mode_32 0
		.amdhsa_float_round_mode_16_64 0
		.amdhsa_float_denorm_mode_32 3
		.amdhsa_float_denorm_mode_16_64 3
		.amdhsa_dx10_clamp 1
		.amdhsa_ieee_mode 1
		.amdhsa_fp16_overflow 0
		.amdhsa_workgroup_processor_mode 1
		.amdhsa_memory_ordered 1
		.amdhsa_forward_progress 1
		.amdhsa_shared_vgpr_count 0
		.amdhsa_exception_fp_ieee_invalid_op 0
		.amdhsa_exception_fp_denorm_src 0
		.amdhsa_exception_fp_ieee_div_zero 0
		.amdhsa_exception_fp_ieee_overflow 0
		.amdhsa_exception_fp_ieee_underflow 0
		.amdhsa_exception_fp_ieee_inexact 0
		.amdhsa_exception_int_div_zero 0
	.end_amdhsa_kernel
	.section	.text._ZN9rocsparseL19gebsrmvn_3xn_kernelILj128ELj2ELj8E21rocsparse_complex_numIdEEEvi20rocsparse_direction_NS_24const_host_device_scalarIT2_EEPKiS8_PKS5_SA_S6_PS5_21rocsparse_index_base_b,"axG",@progbits,_ZN9rocsparseL19gebsrmvn_3xn_kernelILj128ELj2ELj8E21rocsparse_complex_numIdEEEvi20rocsparse_direction_NS_24const_host_device_scalarIT2_EEPKiS8_PKS5_SA_S6_PS5_21rocsparse_index_base_b,comdat
.Lfunc_end117:
	.size	_ZN9rocsparseL19gebsrmvn_3xn_kernelILj128ELj2ELj8E21rocsparse_complex_numIdEEEvi20rocsparse_direction_NS_24const_host_device_scalarIT2_EEPKiS8_PKS5_SA_S6_PS5_21rocsparse_index_base_b, .Lfunc_end117-_ZN9rocsparseL19gebsrmvn_3xn_kernelILj128ELj2ELj8E21rocsparse_complex_numIdEEEvi20rocsparse_direction_NS_24const_host_device_scalarIT2_EEPKiS8_PKS5_SA_S6_PS5_21rocsparse_index_base_b
                                        ; -- End function
	.set _ZN9rocsparseL19gebsrmvn_3xn_kernelILj128ELj2ELj8E21rocsparse_complex_numIdEEEvi20rocsparse_direction_NS_24const_host_device_scalarIT2_EEPKiS8_PKS5_SA_S6_PS5_21rocsparse_index_base_b.num_vgpr, 61
	.set _ZN9rocsparseL19gebsrmvn_3xn_kernelILj128ELj2ELj8E21rocsparse_complex_numIdEEEvi20rocsparse_direction_NS_24const_host_device_scalarIT2_EEPKiS8_PKS5_SA_S6_PS5_21rocsparse_index_base_b.num_agpr, 0
	.set _ZN9rocsparseL19gebsrmvn_3xn_kernelILj128ELj2ELj8E21rocsparse_complex_numIdEEEvi20rocsparse_direction_NS_24const_host_device_scalarIT2_EEPKiS8_PKS5_SA_S6_PS5_21rocsparse_index_base_b.numbered_sgpr, 16
	.set _ZN9rocsparseL19gebsrmvn_3xn_kernelILj128ELj2ELj8E21rocsparse_complex_numIdEEEvi20rocsparse_direction_NS_24const_host_device_scalarIT2_EEPKiS8_PKS5_SA_S6_PS5_21rocsparse_index_base_b.num_named_barrier, 0
	.set _ZN9rocsparseL19gebsrmvn_3xn_kernelILj128ELj2ELj8E21rocsparse_complex_numIdEEEvi20rocsparse_direction_NS_24const_host_device_scalarIT2_EEPKiS8_PKS5_SA_S6_PS5_21rocsparse_index_base_b.private_seg_size, 0
	.set _ZN9rocsparseL19gebsrmvn_3xn_kernelILj128ELj2ELj8E21rocsparse_complex_numIdEEEvi20rocsparse_direction_NS_24const_host_device_scalarIT2_EEPKiS8_PKS5_SA_S6_PS5_21rocsparse_index_base_b.uses_vcc, 1
	.set _ZN9rocsparseL19gebsrmvn_3xn_kernelILj128ELj2ELj8E21rocsparse_complex_numIdEEEvi20rocsparse_direction_NS_24const_host_device_scalarIT2_EEPKiS8_PKS5_SA_S6_PS5_21rocsparse_index_base_b.uses_flat_scratch, 0
	.set _ZN9rocsparseL19gebsrmvn_3xn_kernelILj128ELj2ELj8E21rocsparse_complex_numIdEEEvi20rocsparse_direction_NS_24const_host_device_scalarIT2_EEPKiS8_PKS5_SA_S6_PS5_21rocsparse_index_base_b.has_dyn_sized_stack, 0
	.set _ZN9rocsparseL19gebsrmvn_3xn_kernelILj128ELj2ELj8E21rocsparse_complex_numIdEEEvi20rocsparse_direction_NS_24const_host_device_scalarIT2_EEPKiS8_PKS5_SA_S6_PS5_21rocsparse_index_base_b.has_recursion, 0
	.set _ZN9rocsparseL19gebsrmvn_3xn_kernelILj128ELj2ELj8E21rocsparse_complex_numIdEEEvi20rocsparse_direction_NS_24const_host_device_scalarIT2_EEPKiS8_PKS5_SA_S6_PS5_21rocsparse_index_base_b.has_indirect_call, 0
	.section	.AMDGPU.csdata,"",@progbits
; Kernel info:
; codeLenInByte = 2688
; TotalNumSgprs: 18
; NumVgprs: 61
; ScratchSize: 0
; MemoryBound: 0
; FloatMode: 240
; IeeeMode: 1
; LDSByteSize: 0 bytes/workgroup (compile time only)
; SGPRBlocks: 0
; VGPRBlocks: 7
; NumSGPRsForWavesPerEU: 18
; NumVGPRsForWavesPerEU: 61
; Occupancy: 16
; WaveLimiterHint : 1
; COMPUTE_PGM_RSRC2:SCRATCH_EN: 0
; COMPUTE_PGM_RSRC2:USER_SGPR: 6
; COMPUTE_PGM_RSRC2:TRAP_HANDLER: 0
; COMPUTE_PGM_RSRC2:TGID_X_EN: 1
; COMPUTE_PGM_RSRC2:TGID_Y_EN: 0
; COMPUTE_PGM_RSRC2:TGID_Z_EN: 0
; COMPUTE_PGM_RSRC2:TIDIG_COMP_CNT: 0
	.section	.text._ZN9rocsparseL19gebsrmvn_3xn_kernelILj128ELj2ELj16E21rocsparse_complex_numIdEEEvi20rocsparse_direction_NS_24const_host_device_scalarIT2_EEPKiS8_PKS5_SA_S6_PS5_21rocsparse_index_base_b,"axG",@progbits,_ZN9rocsparseL19gebsrmvn_3xn_kernelILj128ELj2ELj16E21rocsparse_complex_numIdEEEvi20rocsparse_direction_NS_24const_host_device_scalarIT2_EEPKiS8_PKS5_SA_S6_PS5_21rocsparse_index_base_b,comdat
	.globl	_ZN9rocsparseL19gebsrmvn_3xn_kernelILj128ELj2ELj16E21rocsparse_complex_numIdEEEvi20rocsparse_direction_NS_24const_host_device_scalarIT2_EEPKiS8_PKS5_SA_S6_PS5_21rocsparse_index_base_b ; -- Begin function _ZN9rocsparseL19gebsrmvn_3xn_kernelILj128ELj2ELj16E21rocsparse_complex_numIdEEEvi20rocsparse_direction_NS_24const_host_device_scalarIT2_EEPKiS8_PKS5_SA_S6_PS5_21rocsparse_index_base_b
	.p2align	8
	.type	_ZN9rocsparseL19gebsrmvn_3xn_kernelILj128ELj2ELj16E21rocsparse_complex_numIdEEEvi20rocsparse_direction_NS_24const_host_device_scalarIT2_EEPKiS8_PKS5_SA_S6_PS5_21rocsparse_index_base_b,@function
_ZN9rocsparseL19gebsrmvn_3xn_kernelILj128ELj2ELj16E21rocsparse_complex_numIdEEEvi20rocsparse_direction_NS_24const_host_device_scalarIT2_EEPKiS8_PKS5_SA_S6_PS5_21rocsparse_index_base_b: ; @_ZN9rocsparseL19gebsrmvn_3xn_kernelILj128ELj2ELj16E21rocsparse_complex_numIdEEEvi20rocsparse_direction_NS_24const_host_device_scalarIT2_EEPKiS8_PKS5_SA_S6_PS5_21rocsparse_index_base_b
; %bb.0:
	s_clause 0x1
	s_load_dwordx2 s[2:3], s[4:5], 0x50
	s_load_dwordx2 s[0:1], s[4:5], 0x8
	s_add_u32 s7, s4, 8
	s_addc_u32 s10, s5, 0
	s_add_u32 s11, s4, 56
	s_addc_u32 s12, s5, 0
	s_load_dwordx2 s[8:9], s[4:5], 0x38
	s_waitcnt lgkmcnt(0)
	s_bitcmp1_b32 s3, 0
	s_cselect_b32 s0, s7, s0
	s_cselect_b32 s1, s10, s1
	v_mov_b32_e32 v1, s0
	v_mov_b32_e32 v2, s1
	s_cselect_b32 s0, s11, s8
	s_cselect_b32 s1, s12, s9
	v_mov_b32_e32 v5, s0
	v_mov_b32_e32 v6, s1
	flat_load_dwordx4 v[1:4], v[1:2]
	flat_load_dwordx4 v[5:8], v[5:6]
	s_waitcnt vmcnt(1) lgkmcnt(1)
	v_cmp_eq_f64_e32 vcc_lo, 0, v[1:2]
	v_cmp_eq_f64_e64 s0, 0, v[3:4]
	s_and_b32 s3, vcc_lo, s0
	s_mov_b32 s0, -1
	s_and_saveexec_b32 s1, s3
	s_cbranch_execz .LBB118_2
; %bb.1:
	s_waitcnt vmcnt(0) lgkmcnt(0)
	v_cmp_neq_f64_e32 vcc_lo, 1.0, v[5:6]
	v_cmp_neq_f64_e64 s0, 0, v[7:8]
	s_or_b32 s0, vcc_lo, s0
	s_orn2_b32 s0, s0, exec_lo
.LBB118_2:
	s_or_b32 exec_lo, exec_lo, s1
	s_and_saveexec_b32 s1, s0
	s_cbranch_execz .LBB118_21
; %bb.3:
	s_load_dwordx2 s[0:1], s[4:5], 0x0
	v_lshrrev_b32_e32 v9, 4, v0
	v_lshl_or_b32 v9, s6, 3, v9
	s_waitcnt lgkmcnt(0)
	v_cmp_gt_i32_e32 vcc_lo, s0, v9
	s_and_b32 exec_lo, exec_lo, vcc_lo
	s_cbranch_execz .LBB118_21
; %bb.4:
	s_load_dwordx8 s[8:15], s[4:5], 0x18
	v_ashrrev_i32_e32 v10, 31, v9
	v_and_b32_e32 v0, 15, v0
	s_cmp_lg_u32 s1, 0
	v_lshlrev_b64 v[10:11], 2, v[9:10]
	s_waitcnt lgkmcnt(0)
	v_add_co_u32 v10, vcc_lo, s8, v10
	v_add_co_ci_u32_e64 v11, null, s9, v11, vcc_lo
	global_load_dwordx2 v[10:11], v[10:11], off
	s_waitcnt vmcnt(0)
	v_subrev_nc_u32_e32 v10, s2, v10
	v_subrev_nc_u32_e32 v28, s2, v11
	v_add_nc_u32_e32 v22, v10, v0
	v_cmp_lt_i32_e64 s0, v22, v28
	s_cbranch_scc0 .LBB118_10
; %bb.5:
	v_mov_b32_e32 v10, 0
	v_mov_b32_e32 v12, 0
	;; [unrolled: 1-line block ×12, first 2 shown]
	s_and_saveexec_b32 s1, s0
	s_cbranch_execz .LBB118_9
; %bb.6:
	v_mad_u64_u32 v[23:24], null, v22, 6, 5
	v_mov_b32_e32 v10, 0
	v_mov_b32_e32 v12, 0
	;; [unrolled: 1-line block ×14, first 2 shown]
	s_mov_b32 s3, 0
.LBB118_7:                              ; =>This Inner Loop Header: Depth=1
	v_ashrrev_i32_e32 v27, 31, v26
	v_add_nc_u32_e32 v24, -5, v23
	v_mov_b32_e32 v42, v25
	v_lshlrev_b64 v[29:30], 2, v[26:27]
	v_add_nc_u32_e32 v26, 16, v26
	v_add_co_u32 v29, vcc_lo, s10, v29
	v_add_co_ci_u32_e64 v30, null, s11, v30, vcc_lo
	global_load_dword v27, v[29:30], off
	v_lshlrev_b64 v[29:30], 4, v[24:25]
	v_add_nc_u32_e32 v24, -3, v23
	v_lshlrev_b64 v[31:32], 4, v[24:25]
	v_add_co_u32 v33, vcc_lo, s12, v29
	v_add_co_ci_u32_e64 v34, null, s13, v30, vcc_lo
	v_add_co_u32 v37, vcc_lo, s12, v31
	v_add_co_ci_u32_e64 v38, null, s13, v32, vcc_lo
	s_clause 0x2
	global_load_dwordx4 v[29:32], v[33:34], off offset:16
	global_load_dwordx4 v[33:36], v[33:34], off
	global_load_dwordx4 v[37:40], v[37:38], off
	s_waitcnt vmcnt(3)
	v_subrev_nc_u32_e32 v24, s2, v27
	v_lshlrev_b32_e32 v41, 1, v24
	v_mov_b32_e32 v24, v25
	v_lshlrev_b64 v[41:42], 4, v[41:42]
	v_lshlrev_b64 v[49:50], 4, v[23:24]
	v_add_nc_u32_e32 v24, -2, v23
	v_add_co_u32 v45, vcc_lo, s14, v41
	v_add_co_ci_u32_e64 v46, null, s15, v42, vcc_lo
	v_add_co_u32 v57, vcc_lo, s12, v49
	v_add_co_ci_u32_e64 v58, null, s13, v50, vcc_lo
	s_clause 0x1
	global_load_dwordx4 v[41:44], v[45:46], off
	global_load_dwordx4 v[45:48], v[45:46], off offset:16
	v_lshlrev_b64 v[49:50], 4, v[24:25]
	v_add_nc_u32_e32 v24, -1, v23
	v_add_nc_u32_e32 v23, 0x60, v23
	v_lshlrev_b64 v[51:52], 4, v[24:25]
	v_add_co_u32 v49, vcc_lo, s12, v49
	v_add_co_ci_u32_e64 v50, null, s13, v50, vcc_lo
	v_add_co_u32 v53, vcc_lo, s12, v51
	v_add_co_ci_u32_e64 v54, null, s13, v52, vcc_lo
	s_clause 0x2
	global_load_dwordx4 v[49:52], v[49:50], off
	global_load_dwordx4 v[53:56], v[53:54], off
	global_load_dwordx4 v[57:60], v[57:58], off
	v_cmp_ge_i32_e32 vcc_lo, v26, v28
	s_or_b32 s3, vcc_lo, s3
	s_waitcnt vmcnt(4)
	v_fma_f64 v[12:13], v[33:34], v[41:42], v[12:13]
	v_fma_f64 v[10:11], v[35:36], v[41:42], v[10:11]
	;; [unrolled: 1-line block ×6, first 2 shown]
	v_fma_f64 v[12:13], -v[35:36], v[43:44], v[12:13]
	v_fma_f64 v[10:11], v[33:34], v[43:44], v[10:11]
	v_fma_f64 v[18:19], -v[31:32], v[43:44], v[18:19]
	v_fma_f64 v[20:21], v[29:30], v[43:44], v[20:21]
	v_fma_f64 v[14:15], -v[39:40], v[43:44], v[14:15]
	v_fma_f64 v[16:17], v[37:38], v[43:44], v[16:17]
	s_waitcnt vmcnt(2)
	v_fma_f64 v[12:13], v[49:50], v[45:46], v[12:13]
	v_fma_f64 v[10:11], v[51:52], v[45:46], v[10:11]
	s_waitcnt vmcnt(1)
	v_fma_f64 v[18:19], v[53:54], v[45:46], v[18:19]
	v_fma_f64 v[20:21], v[55:56], v[45:46], v[20:21]
	;; [unrolled: 3-line block ×3, first 2 shown]
	v_fma_f64 v[12:13], -v[51:52], v[47:48], v[12:13]
	v_fma_f64 v[10:11], v[49:50], v[47:48], v[10:11]
	v_fma_f64 v[18:19], -v[55:56], v[47:48], v[18:19]
	v_fma_f64 v[20:21], v[53:54], v[47:48], v[20:21]
	;; [unrolled: 2-line block ×3, first 2 shown]
	s_andn2_b32 exec_lo, exec_lo, s3
	s_cbranch_execnz .LBB118_7
; %bb.8:
	s_or_b32 exec_lo, exec_lo, s3
.LBB118_9:
	s_or_b32 exec_lo, exec_lo, s1
	s_cbranch_execz .LBB118_11
	s_branch .LBB118_16
.LBB118_10:
                                        ; implicit-def: $vgpr10_vgpr11
                                        ; implicit-def: $vgpr12_vgpr13
                                        ; implicit-def: $vgpr14_vgpr15
                                        ; implicit-def: $vgpr16_vgpr17
                                        ; implicit-def: $vgpr18_vgpr19
                                        ; implicit-def: $vgpr20_vgpr21
.LBB118_11:
	v_mov_b32_e32 v10, 0
	v_mov_b32_e32 v12, 0
	;; [unrolled: 1-line block ×12, first 2 shown]
	s_and_saveexec_b32 s1, s0
	s_cbranch_execz .LBB118_15
; %bb.12:
	v_mad_u64_u32 v[24:25], null, v22, 6, 5
	v_mov_b32_e32 v10, 0
	v_mov_b32_e32 v12, 0
	;; [unrolled: 1-line block ×13, first 2 shown]
	s_mov_b32 s0, 0
.LBB118_13:                             ; =>This Inner Loop Header: Depth=1
	v_ashrrev_i32_e32 v23, 31, v22
	v_add_nc_u32_e32 v29, -3, v24
	v_mov_b32_e32 v30, v27
	v_add_nc_u32_e32 v31, -1, v24
	v_mov_b32_e32 v32, v27
	v_lshlrev_b64 v[25:26], 2, v[22:23]
	v_mov_b32_e32 v46, v27
	v_lshlrev_b64 v[29:30], 4, v[29:30]
	v_add_nc_u32_e32 v22, 16, v22
	v_lshlrev_b64 v[31:32], 4, v[31:32]
	v_add_co_u32 v25, vcc_lo, s10, v25
	v_add_co_ci_u32_e64 v26, null, s11, v26, vcc_lo
	global_load_dword v23, v[25:26], off
	v_add_nc_u32_e32 v26, -5, v24
	v_lshlrev_b64 v[25:26], 4, v[26:27]
	v_add_co_u32 v25, vcc_lo, s12, v25
	v_add_co_ci_u32_e64 v26, null, s13, v26, vcc_lo
	v_add_co_u32 v37, vcc_lo, s12, v29
	v_add_co_ci_u32_e64 v38, null, s13, v30, vcc_lo
	;; [unrolled: 2-line block ×3, first 2 shown]
	s_clause 0x3
	global_load_dwordx4 v[29:32], v[25:26], off offset:16
	global_load_dwordx4 v[33:36], v[25:26], off
	global_load_dwordx4 v[37:40], v[37:38], off
	;; [unrolled: 1-line block ×3, first 2 shown]
	s_waitcnt vmcnt(4)
	v_subrev_nc_u32_e32 v23, s2, v23
	v_lshlrev_b32_e32 v45, 1, v23
	v_lshlrev_b64 v[25:26], 4, v[45:46]
	v_add_co_u32 v25, vcc_lo, s14, v25
	v_add_co_ci_u32_e64 v26, null, s15, v26, vcc_lo
	s_clause 0x1
	global_load_dwordx4 v[45:48], v[25:26], off
	global_load_dwordx4 v[49:52], v[25:26], off offset:16
	v_mov_b32_e32 v25, v27
	v_add_nc_u32_e32 v26, -2, v24
	v_lshlrev_b64 v[53:54], 4, v[24:25]
	v_lshlrev_b64 v[25:26], 4, v[26:27]
	v_add_nc_u32_e32 v24, 0x60, v24
	v_add_co_u32 v57, vcc_lo, s12, v53
	v_add_co_ci_u32_e64 v58, null, s13, v54, vcc_lo
	v_add_co_u32 v25, vcc_lo, s12, v25
	v_add_co_ci_u32_e64 v26, null, s13, v26, vcc_lo
	s_clause 0x1
	global_load_dwordx4 v[53:56], v[25:26], off
	global_load_dwordx4 v[57:60], v[57:58], off
	v_cmp_ge_i32_e32 vcc_lo, v22, v28
	s_or_b32 s0, vcc_lo, s0
	s_waitcnt vmcnt(3)
	v_fma_f64 v[12:13], v[33:34], v[45:46], v[12:13]
	v_fma_f64 v[10:11], v[35:36], v[45:46], v[10:11]
	;; [unrolled: 1-line block ×6, first 2 shown]
	v_fma_f64 v[12:13], -v[35:36], v[47:48], v[12:13]
	v_fma_f64 v[10:11], v[33:34], v[47:48], v[10:11]
	v_fma_f64 v[18:19], -v[39:40], v[47:48], v[18:19]
	v_fma_f64 v[20:21], v[37:38], v[47:48], v[20:21]
	;; [unrolled: 2-line block ×3, first 2 shown]
	s_waitcnt vmcnt(2)
	v_fma_f64 v[12:13], v[29:30], v[49:50], v[12:13]
	v_fma_f64 v[10:11], v[31:32], v[49:50], v[10:11]
	s_waitcnt vmcnt(1)
	v_fma_f64 v[18:19], v[53:54], v[49:50], v[18:19]
	v_fma_f64 v[20:21], v[55:56], v[49:50], v[20:21]
	s_waitcnt vmcnt(0)
	v_fma_f64 v[14:15], v[57:58], v[49:50], v[14:15]
	v_fma_f64 v[16:17], v[59:60], v[49:50], v[16:17]
	v_fma_f64 v[12:13], -v[31:32], v[51:52], v[12:13]
	v_fma_f64 v[10:11], v[29:30], v[51:52], v[10:11]
	v_fma_f64 v[18:19], -v[55:56], v[51:52], v[18:19]
	v_fma_f64 v[20:21], v[53:54], v[51:52], v[20:21]
	;; [unrolled: 2-line block ×3, first 2 shown]
	s_andn2_b32 exec_lo, exec_lo, s0
	s_cbranch_execnz .LBB118_13
; %bb.14:
	s_or_b32 exec_lo, exec_lo, s0
.LBB118_15:
	s_or_b32 exec_lo, exec_lo, s1
.LBB118_16:
	v_mbcnt_lo_u32_b32 v34, -1, 0
	v_xor_b32_e32 v22, 8, v34
	v_cmp_gt_i32_e32 vcc_lo, 32, v22
	v_cndmask_b32_e32 v22, v34, v22, vcc_lo
	v_lshlrev_b32_e32 v33, 2, v22
	ds_bpermute_b32 v22, v33, v12
	ds_bpermute_b32 v23, v33, v13
	;; [unrolled: 1-line block ×12, first 2 shown]
	s_waitcnt lgkmcnt(10)
	v_add_f64 v[12:13], v[12:13], v[22:23]
	v_xor_b32_e32 v22, 4, v34
	s_waitcnt lgkmcnt(8)
	v_add_f64 v[10:11], v[10:11], v[24:25]
	s_waitcnt lgkmcnt(6)
	v_add_f64 v[18:19], v[18:19], v[26:27]
	;; [unrolled: 2-line block ×3, first 2 shown]
	v_cmp_gt_i32_e32 vcc_lo, 32, v22
	s_waitcnt lgkmcnt(2)
	v_add_f64 v[14:15], v[14:15], v[30:31]
	s_waitcnt lgkmcnt(0)
	v_add_f64 v[16:17], v[16:17], v[32:33]
	v_cndmask_b32_e32 v22, v34, v22, vcc_lo
	v_lshlrev_b32_e32 v33, 2, v22
	ds_bpermute_b32 v22, v33, v12
	ds_bpermute_b32 v23, v33, v13
	;; [unrolled: 1-line block ×12, first 2 shown]
	s_waitcnt lgkmcnt(10)
	v_add_f64 v[12:13], v[12:13], v[22:23]
	s_waitcnt lgkmcnt(8)
	v_add_f64 v[22:23], v[10:11], v[24:25]
	v_xor_b32_e32 v10, 2, v34
	s_waitcnt lgkmcnt(6)
	v_add_f64 v[18:19], v[18:19], v[26:27]
	s_waitcnt lgkmcnt(4)
	v_add_f64 v[24:25], v[20:21], v[28:29]
	;; [unrolled: 2-line block ×3, first 2 shown]
	v_cmp_gt_i32_e32 vcc_lo, 32, v10
	s_waitcnt lgkmcnt(0)
	v_add_f64 v[16:17], v[16:17], v[32:33]
	v_cndmask_b32_e32 v10, v34, v10, vcc_lo
	v_lshlrev_b32_e32 v33, 2, v10
	ds_bpermute_b32 v10, v33, v12
	ds_bpermute_b32 v11, v33, v13
	;; [unrolled: 1-line block ×12, first 2 shown]
	s_waitcnt lgkmcnt(10)
	v_add_f64 v[10:11], v[12:13], v[10:11]
	s_waitcnt lgkmcnt(8)
	v_add_f64 v[20:21], v[22:23], v[20:21]
	v_xor_b32_e32 v22, 1, v34
	s_waitcnt lgkmcnt(6)
	v_add_f64 v[12:13], v[18:19], v[26:27]
	s_waitcnt lgkmcnt(4)
	v_add_f64 v[18:19], v[24:25], v[28:29]
	;; [unrolled: 2-line block ×3, first 2 shown]
	v_cmp_gt_i32_e32 vcc_lo, 32, v22
	s_waitcnt lgkmcnt(0)
	v_add_f64 v[16:17], v[16:17], v[32:33]
	v_cndmask_b32_e32 v22, v34, v22, vcc_lo
	v_cmp_eq_u32_e32 vcc_lo, 15, v0
	v_lshlrev_b32_e32 v25, 2, v22
	ds_bpermute_b32 v32, v25, v10
	ds_bpermute_b32 v33, v25, v11
	;; [unrolled: 1-line block ×12, first 2 shown]
	s_and_b32 exec_lo, exec_lo, vcc_lo
	s_cbranch_execz .LBB118_21
; %bb.17:
	v_cmp_eq_f64_e32 vcc_lo, 0, v[5:6]
	v_cmp_eq_f64_e64 s0, 0, v[7:8]
	s_waitcnt lgkmcnt(10)
	v_add_f64 v[10:11], v[10:11], v[32:33]
	s_waitcnt lgkmcnt(8)
	v_add_f64 v[20:21], v[20:21], v[30:31]
	;; [unrolled: 2-line block ×6, first 2 shown]
	s_load_dwordx2 s[2:3], s[4:5], 0x48
	s_and_b32 s0, vcc_lo, s0
	s_and_saveexec_b32 s1, s0
	s_xor_b32 s0, exec_lo, s1
	s_cbranch_execz .LBB118_19
; %bb.18:
	v_mul_f64 v[5:6], v[20:21], -v[3:4]
	v_mul_f64 v[7:8], v[1:2], v[20:21]
	v_mul_f64 v[20:21], v[18:19], -v[3:4]
	v_mul_f64 v[18:19], v[1:2], v[18:19]
	;; [unrolled: 2-line block ×3, first 2 shown]
	v_lshl_add_u32 v24, v9, 1, v9
	v_ashrrev_i32_e32 v25, 31, v24
	v_fma_f64 v[5:6], v[1:2], v[10:11], v[5:6]
	v_fma_f64 v[7:8], v[3:4], v[10:11], v[7:8]
	;; [unrolled: 1-line block ×6, first 2 shown]
	v_lshlrev_b64 v[13:14], 4, v[24:25]
                                        ; implicit-def: $vgpr20_vgpr21
                                        ; implicit-def: $vgpr18_vgpr19
                                        ; implicit-def: $vgpr16_vgpr17
	s_waitcnt lgkmcnt(0)
	v_add_co_u32 v13, vcc_lo, s2, v13
	v_add_co_ci_u32_e64 v14, null, s3, v14, vcc_lo
	global_store_dwordx4 v[13:14], v[5:8], off
	global_store_dwordx4 v[13:14], v[9:12], off offset:16
	global_store_dwordx4 v[13:14], v[0:3], off offset:32
                                        ; implicit-def: $vgpr9
                                        ; implicit-def: $vgpr10_vgpr11
                                        ; implicit-def: $vgpr12_vgpr13
                                        ; implicit-def: $vgpr14_vgpr15
                                        ; implicit-def: $vgpr7_vgpr8
                                        ; implicit-def: $vgpr3_vgpr4
.LBB118_19:
	s_andn2_saveexec_b32 s0, s0
	s_cbranch_execz .LBB118_21
; %bb.20:
	v_lshl_add_u32 v22, v9, 1, v9
	v_mul_f64 v[36:37], v[20:21], -v[3:4]
	v_mul_f64 v[20:21], v[1:2], v[20:21]
	v_mul_f64 v[38:39], v[18:19], -v[3:4]
	v_mul_f64 v[18:19], v[1:2], v[18:19]
	v_ashrrev_i32_e32 v23, 31, v22
	v_mul_f64 v[40:41], v[16:17], -v[3:4]
	v_mul_f64 v[16:17], v[1:2], v[16:17]
	v_lshlrev_b64 v[22:23], 4, v[22:23]
	s_waitcnt lgkmcnt(0)
	v_add_co_u32 v34, vcc_lo, s2, v22
	v_add_co_ci_u32_e64 v35, null, s3, v23, vcc_lo
	s_clause 0x2
	global_load_dwordx4 v[22:25], v[34:35], off
	global_load_dwordx4 v[26:29], v[34:35], off offset:16
	global_load_dwordx4 v[30:33], v[34:35], off offset:32
	v_fma_f64 v[36:37], v[1:2], v[10:11], v[36:37]
	v_fma_f64 v[9:10], v[3:4], v[10:11], v[20:21]
	v_fma_f64 v[20:21], v[1:2], v[12:13], v[38:39]
	v_fma_f64 v[11:12], v[3:4], v[12:13], v[18:19]
	v_fma_f64 v[0:1], v[1:2], v[14:15], v[40:41]
	v_fma_f64 v[2:3], v[3:4], v[14:15], v[16:17]
	s_waitcnt vmcnt(2)
	v_fma_f64 v[13:14], v[5:6], v[22:23], v[36:37]
	v_fma_f64 v[9:10], v[7:8], v[22:23], v[9:10]
	s_waitcnt vmcnt(1)
	v_fma_f64 v[15:16], v[5:6], v[26:27], v[20:21]
	v_fma_f64 v[11:12], v[7:8], v[26:27], v[11:12]
	;; [unrolled: 3-line block ×3, first 2 shown]
	v_fma_f64 v[0:1], -v[7:8], v[24:25], v[13:14]
	v_fma_f64 v[2:3], v[5:6], v[24:25], v[9:10]
	v_fma_f64 v[9:10], -v[7:8], v[28:29], v[15:16]
	v_fma_f64 v[11:12], v[5:6], v[28:29], v[11:12]
	;; [unrolled: 2-line block ×3, first 2 shown]
	global_store_dwordx4 v[34:35], v[0:3], off
	global_store_dwordx4 v[34:35], v[9:12], off offset:16
	global_store_dwordx4 v[34:35], v[13:16], off offset:32
.LBB118_21:
	s_endpgm
	.section	.rodata,"a",@progbits
	.p2align	6, 0x0
	.amdhsa_kernel _ZN9rocsparseL19gebsrmvn_3xn_kernelILj128ELj2ELj16E21rocsparse_complex_numIdEEEvi20rocsparse_direction_NS_24const_host_device_scalarIT2_EEPKiS8_PKS5_SA_S6_PS5_21rocsparse_index_base_b
		.amdhsa_group_segment_fixed_size 0
		.amdhsa_private_segment_fixed_size 0
		.amdhsa_kernarg_size 88
		.amdhsa_user_sgpr_count 6
		.amdhsa_user_sgpr_private_segment_buffer 1
		.amdhsa_user_sgpr_dispatch_ptr 0
		.amdhsa_user_sgpr_queue_ptr 0
		.amdhsa_user_sgpr_kernarg_segment_ptr 1
		.amdhsa_user_sgpr_dispatch_id 0
		.amdhsa_user_sgpr_flat_scratch_init 0
		.amdhsa_user_sgpr_private_segment_size 0
		.amdhsa_wavefront_size32 1
		.amdhsa_uses_dynamic_stack 0
		.amdhsa_system_sgpr_private_segment_wavefront_offset 0
		.amdhsa_system_sgpr_workgroup_id_x 1
		.amdhsa_system_sgpr_workgroup_id_y 0
		.amdhsa_system_sgpr_workgroup_id_z 0
		.amdhsa_system_sgpr_workgroup_info 0
		.amdhsa_system_vgpr_workitem_id 0
		.amdhsa_next_free_vgpr 61
		.amdhsa_next_free_sgpr 16
		.amdhsa_reserve_vcc 1
		.amdhsa_reserve_flat_scratch 0
		.amdhsa_float_round_mode_32 0
		.amdhsa_float_round_mode_16_64 0
		.amdhsa_float_denorm_mode_32 3
		.amdhsa_float_denorm_mode_16_64 3
		.amdhsa_dx10_clamp 1
		.amdhsa_ieee_mode 1
		.amdhsa_fp16_overflow 0
		.amdhsa_workgroup_processor_mode 1
		.amdhsa_memory_ordered 1
		.amdhsa_forward_progress 1
		.amdhsa_shared_vgpr_count 0
		.amdhsa_exception_fp_ieee_invalid_op 0
		.amdhsa_exception_fp_denorm_src 0
		.amdhsa_exception_fp_ieee_div_zero 0
		.amdhsa_exception_fp_ieee_overflow 0
		.amdhsa_exception_fp_ieee_underflow 0
		.amdhsa_exception_fp_ieee_inexact 0
		.amdhsa_exception_int_div_zero 0
	.end_amdhsa_kernel
	.section	.text._ZN9rocsparseL19gebsrmvn_3xn_kernelILj128ELj2ELj16E21rocsparse_complex_numIdEEEvi20rocsparse_direction_NS_24const_host_device_scalarIT2_EEPKiS8_PKS5_SA_S6_PS5_21rocsparse_index_base_b,"axG",@progbits,_ZN9rocsparseL19gebsrmvn_3xn_kernelILj128ELj2ELj16E21rocsparse_complex_numIdEEEvi20rocsparse_direction_NS_24const_host_device_scalarIT2_EEPKiS8_PKS5_SA_S6_PS5_21rocsparse_index_base_b,comdat
.Lfunc_end118:
	.size	_ZN9rocsparseL19gebsrmvn_3xn_kernelILj128ELj2ELj16E21rocsparse_complex_numIdEEEvi20rocsparse_direction_NS_24const_host_device_scalarIT2_EEPKiS8_PKS5_SA_S6_PS5_21rocsparse_index_base_b, .Lfunc_end118-_ZN9rocsparseL19gebsrmvn_3xn_kernelILj128ELj2ELj16E21rocsparse_complex_numIdEEEvi20rocsparse_direction_NS_24const_host_device_scalarIT2_EEPKiS8_PKS5_SA_S6_PS5_21rocsparse_index_base_b
                                        ; -- End function
	.set _ZN9rocsparseL19gebsrmvn_3xn_kernelILj128ELj2ELj16E21rocsparse_complex_numIdEEEvi20rocsparse_direction_NS_24const_host_device_scalarIT2_EEPKiS8_PKS5_SA_S6_PS5_21rocsparse_index_base_b.num_vgpr, 61
	.set _ZN9rocsparseL19gebsrmvn_3xn_kernelILj128ELj2ELj16E21rocsparse_complex_numIdEEEvi20rocsparse_direction_NS_24const_host_device_scalarIT2_EEPKiS8_PKS5_SA_S6_PS5_21rocsparse_index_base_b.num_agpr, 0
	.set _ZN9rocsparseL19gebsrmvn_3xn_kernelILj128ELj2ELj16E21rocsparse_complex_numIdEEEvi20rocsparse_direction_NS_24const_host_device_scalarIT2_EEPKiS8_PKS5_SA_S6_PS5_21rocsparse_index_base_b.numbered_sgpr, 16
	.set _ZN9rocsparseL19gebsrmvn_3xn_kernelILj128ELj2ELj16E21rocsparse_complex_numIdEEEvi20rocsparse_direction_NS_24const_host_device_scalarIT2_EEPKiS8_PKS5_SA_S6_PS5_21rocsparse_index_base_b.num_named_barrier, 0
	.set _ZN9rocsparseL19gebsrmvn_3xn_kernelILj128ELj2ELj16E21rocsparse_complex_numIdEEEvi20rocsparse_direction_NS_24const_host_device_scalarIT2_EEPKiS8_PKS5_SA_S6_PS5_21rocsparse_index_base_b.private_seg_size, 0
	.set _ZN9rocsparseL19gebsrmvn_3xn_kernelILj128ELj2ELj16E21rocsparse_complex_numIdEEEvi20rocsparse_direction_NS_24const_host_device_scalarIT2_EEPKiS8_PKS5_SA_S6_PS5_21rocsparse_index_base_b.uses_vcc, 1
	.set _ZN9rocsparseL19gebsrmvn_3xn_kernelILj128ELj2ELj16E21rocsparse_complex_numIdEEEvi20rocsparse_direction_NS_24const_host_device_scalarIT2_EEPKiS8_PKS5_SA_S6_PS5_21rocsparse_index_base_b.uses_flat_scratch, 0
	.set _ZN9rocsparseL19gebsrmvn_3xn_kernelILj128ELj2ELj16E21rocsparse_complex_numIdEEEvi20rocsparse_direction_NS_24const_host_device_scalarIT2_EEPKiS8_PKS5_SA_S6_PS5_21rocsparse_index_base_b.has_dyn_sized_stack, 0
	.set _ZN9rocsparseL19gebsrmvn_3xn_kernelILj128ELj2ELj16E21rocsparse_complex_numIdEEEvi20rocsparse_direction_NS_24const_host_device_scalarIT2_EEPKiS8_PKS5_SA_S6_PS5_21rocsparse_index_base_b.has_recursion, 0
	.set _ZN9rocsparseL19gebsrmvn_3xn_kernelILj128ELj2ELj16E21rocsparse_complex_numIdEEEvi20rocsparse_direction_NS_24const_host_device_scalarIT2_EEPKiS8_PKS5_SA_S6_PS5_21rocsparse_index_base_b.has_indirect_call, 0
	.section	.AMDGPU.csdata,"",@progbits
; Kernel info:
; codeLenInByte = 2880
; TotalNumSgprs: 18
; NumVgprs: 61
; ScratchSize: 0
; MemoryBound: 0
; FloatMode: 240
; IeeeMode: 1
; LDSByteSize: 0 bytes/workgroup (compile time only)
; SGPRBlocks: 0
; VGPRBlocks: 7
; NumSGPRsForWavesPerEU: 18
; NumVGPRsForWavesPerEU: 61
; Occupancy: 16
; WaveLimiterHint : 1
; COMPUTE_PGM_RSRC2:SCRATCH_EN: 0
; COMPUTE_PGM_RSRC2:USER_SGPR: 6
; COMPUTE_PGM_RSRC2:TRAP_HANDLER: 0
; COMPUTE_PGM_RSRC2:TGID_X_EN: 1
; COMPUTE_PGM_RSRC2:TGID_Y_EN: 0
; COMPUTE_PGM_RSRC2:TGID_Z_EN: 0
; COMPUTE_PGM_RSRC2:TIDIG_COMP_CNT: 0
	.section	.text._ZN9rocsparseL19gebsrmvn_3xn_kernelILj128ELj2ELj32E21rocsparse_complex_numIdEEEvi20rocsparse_direction_NS_24const_host_device_scalarIT2_EEPKiS8_PKS5_SA_S6_PS5_21rocsparse_index_base_b,"axG",@progbits,_ZN9rocsparseL19gebsrmvn_3xn_kernelILj128ELj2ELj32E21rocsparse_complex_numIdEEEvi20rocsparse_direction_NS_24const_host_device_scalarIT2_EEPKiS8_PKS5_SA_S6_PS5_21rocsparse_index_base_b,comdat
	.globl	_ZN9rocsparseL19gebsrmvn_3xn_kernelILj128ELj2ELj32E21rocsparse_complex_numIdEEEvi20rocsparse_direction_NS_24const_host_device_scalarIT2_EEPKiS8_PKS5_SA_S6_PS5_21rocsparse_index_base_b ; -- Begin function _ZN9rocsparseL19gebsrmvn_3xn_kernelILj128ELj2ELj32E21rocsparse_complex_numIdEEEvi20rocsparse_direction_NS_24const_host_device_scalarIT2_EEPKiS8_PKS5_SA_S6_PS5_21rocsparse_index_base_b
	.p2align	8
	.type	_ZN9rocsparseL19gebsrmvn_3xn_kernelILj128ELj2ELj32E21rocsparse_complex_numIdEEEvi20rocsparse_direction_NS_24const_host_device_scalarIT2_EEPKiS8_PKS5_SA_S6_PS5_21rocsparse_index_base_b,@function
_ZN9rocsparseL19gebsrmvn_3xn_kernelILj128ELj2ELj32E21rocsparse_complex_numIdEEEvi20rocsparse_direction_NS_24const_host_device_scalarIT2_EEPKiS8_PKS5_SA_S6_PS5_21rocsparse_index_base_b: ; @_ZN9rocsparseL19gebsrmvn_3xn_kernelILj128ELj2ELj32E21rocsparse_complex_numIdEEEvi20rocsparse_direction_NS_24const_host_device_scalarIT2_EEPKiS8_PKS5_SA_S6_PS5_21rocsparse_index_base_b
; %bb.0:
	s_clause 0x1
	s_load_dwordx2 s[2:3], s[4:5], 0x50
	s_load_dwordx2 s[0:1], s[4:5], 0x8
	s_add_u32 s7, s4, 8
	s_addc_u32 s10, s5, 0
	s_add_u32 s11, s4, 56
	s_addc_u32 s12, s5, 0
	s_load_dwordx2 s[8:9], s[4:5], 0x38
	s_waitcnt lgkmcnt(0)
	s_bitcmp1_b32 s3, 0
	s_cselect_b32 s0, s7, s0
	s_cselect_b32 s1, s10, s1
	v_mov_b32_e32 v1, s0
	v_mov_b32_e32 v2, s1
	s_cselect_b32 s0, s11, s8
	s_cselect_b32 s1, s12, s9
	v_mov_b32_e32 v5, s0
	v_mov_b32_e32 v6, s1
	flat_load_dwordx4 v[1:4], v[1:2]
	flat_load_dwordx4 v[5:8], v[5:6]
	s_waitcnt vmcnt(1) lgkmcnt(1)
	v_cmp_eq_f64_e32 vcc_lo, 0, v[1:2]
	v_cmp_eq_f64_e64 s0, 0, v[3:4]
	s_and_b32 s3, vcc_lo, s0
	s_mov_b32 s0, -1
	s_and_saveexec_b32 s1, s3
	s_cbranch_execz .LBB119_2
; %bb.1:
	s_waitcnt vmcnt(0) lgkmcnt(0)
	v_cmp_neq_f64_e32 vcc_lo, 1.0, v[5:6]
	v_cmp_neq_f64_e64 s0, 0, v[7:8]
	s_or_b32 s0, vcc_lo, s0
	s_orn2_b32 s0, s0, exec_lo
.LBB119_2:
	s_or_b32 exec_lo, exec_lo, s1
	s_and_saveexec_b32 s1, s0
	s_cbranch_execz .LBB119_21
; %bb.3:
	s_load_dwordx2 s[0:1], s[4:5], 0x0
	v_lshrrev_b32_e32 v9, 5, v0
	v_lshl_or_b32 v9, s6, 2, v9
	s_waitcnt lgkmcnt(0)
	v_cmp_gt_i32_e32 vcc_lo, s0, v9
	s_and_b32 exec_lo, exec_lo, vcc_lo
	s_cbranch_execz .LBB119_21
; %bb.4:
	s_load_dwordx8 s[8:15], s[4:5], 0x18
	v_ashrrev_i32_e32 v10, 31, v9
	v_and_b32_e32 v0, 31, v0
	s_cmp_lg_u32 s1, 0
	v_lshlrev_b64 v[10:11], 2, v[9:10]
	s_waitcnt lgkmcnt(0)
	v_add_co_u32 v10, vcc_lo, s8, v10
	v_add_co_ci_u32_e64 v11, null, s9, v11, vcc_lo
	global_load_dwordx2 v[10:11], v[10:11], off
	s_waitcnt vmcnt(0)
	v_subrev_nc_u32_e32 v10, s2, v10
	v_subrev_nc_u32_e32 v28, s2, v11
	v_add_nc_u32_e32 v22, v10, v0
	v_cmp_lt_i32_e64 s0, v22, v28
	s_cbranch_scc0 .LBB119_10
; %bb.5:
	v_mov_b32_e32 v10, 0
	v_mov_b32_e32 v12, 0
	;; [unrolled: 1-line block ×12, first 2 shown]
	s_and_saveexec_b32 s1, s0
	s_cbranch_execz .LBB119_9
; %bb.6:
	v_mad_u64_u32 v[23:24], null, v22, 6, 5
	v_mov_b32_e32 v10, 0
	v_mov_b32_e32 v12, 0
	;; [unrolled: 1-line block ×14, first 2 shown]
	s_mov_b32 s3, 0
.LBB119_7:                              ; =>This Inner Loop Header: Depth=1
	v_ashrrev_i32_e32 v27, 31, v26
	v_add_nc_u32_e32 v24, -5, v23
	v_mov_b32_e32 v42, v25
	v_lshlrev_b64 v[29:30], 2, v[26:27]
	v_add_nc_u32_e32 v26, 32, v26
	v_add_co_u32 v29, vcc_lo, s10, v29
	v_add_co_ci_u32_e64 v30, null, s11, v30, vcc_lo
	global_load_dword v27, v[29:30], off
	v_lshlrev_b64 v[29:30], 4, v[24:25]
	v_add_nc_u32_e32 v24, -3, v23
	v_lshlrev_b64 v[31:32], 4, v[24:25]
	v_add_co_u32 v33, vcc_lo, s12, v29
	v_add_co_ci_u32_e64 v34, null, s13, v30, vcc_lo
	v_add_co_u32 v37, vcc_lo, s12, v31
	v_add_co_ci_u32_e64 v38, null, s13, v32, vcc_lo
	s_clause 0x2
	global_load_dwordx4 v[29:32], v[33:34], off offset:16
	global_load_dwordx4 v[33:36], v[33:34], off
	global_load_dwordx4 v[37:40], v[37:38], off
	s_waitcnt vmcnt(3)
	v_subrev_nc_u32_e32 v24, s2, v27
	v_lshlrev_b32_e32 v41, 1, v24
	v_mov_b32_e32 v24, v25
	v_lshlrev_b64 v[41:42], 4, v[41:42]
	v_lshlrev_b64 v[49:50], 4, v[23:24]
	v_add_nc_u32_e32 v24, -2, v23
	v_add_co_u32 v45, vcc_lo, s14, v41
	v_add_co_ci_u32_e64 v46, null, s15, v42, vcc_lo
	v_add_co_u32 v57, vcc_lo, s12, v49
	v_add_co_ci_u32_e64 v58, null, s13, v50, vcc_lo
	s_clause 0x1
	global_load_dwordx4 v[41:44], v[45:46], off
	global_load_dwordx4 v[45:48], v[45:46], off offset:16
	v_lshlrev_b64 v[49:50], 4, v[24:25]
	v_add_nc_u32_e32 v24, -1, v23
	v_add_nc_u32_e32 v23, 0xc0, v23
	v_lshlrev_b64 v[51:52], 4, v[24:25]
	v_add_co_u32 v49, vcc_lo, s12, v49
	v_add_co_ci_u32_e64 v50, null, s13, v50, vcc_lo
	v_add_co_u32 v53, vcc_lo, s12, v51
	v_add_co_ci_u32_e64 v54, null, s13, v52, vcc_lo
	s_clause 0x2
	global_load_dwordx4 v[49:52], v[49:50], off
	global_load_dwordx4 v[53:56], v[53:54], off
	;; [unrolled: 1-line block ×3, first 2 shown]
	v_cmp_ge_i32_e32 vcc_lo, v26, v28
	s_or_b32 s3, vcc_lo, s3
	s_waitcnt vmcnt(4)
	v_fma_f64 v[12:13], v[33:34], v[41:42], v[12:13]
	v_fma_f64 v[10:11], v[35:36], v[41:42], v[10:11]
	;; [unrolled: 1-line block ×6, first 2 shown]
	v_fma_f64 v[12:13], -v[35:36], v[43:44], v[12:13]
	v_fma_f64 v[10:11], v[33:34], v[43:44], v[10:11]
	v_fma_f64 v[18:19], -v[31:32], v[43:44], v[18:19]
	v_fma_f64 v[20:21], v[29:30], v[43:44], v[20:21]
	;; [unrolled: 2-line block ×3, first 2 shown]
	s_waitcnt vmcnt(2)
	v_fma_f64 v[12:13], v[49:50], v[45:46], v[12:13]
	v_fma_f64 v[10:11], v[51:52], v[45:46], v[10:11]
	s_waitcnt vmcnt(1)
	v_fma_f64 v[18:19], v[53:54], v[45:46], v[18:19]
	v_fma_f64 v[20:21], v[55:56], v[45:46], v[20:21]
	;; [unrolled: 3-line block ×3, first 2 shown]
	v_fma_f64 v[12:13], -v[51:52], v[47:48], v[12:13]
	v_fma_f64 v[10:11], v[49:50], v[47:48], v[10:11]
	v_fma_f64 v[18:19], -v[55:56], v[47:48], v[18:19]
	v_fma_f64 v[20:21], v[53:54], v[47:48], v[20:21]
	;; [unrolled: 2-line block ×3, first 2 shown]
	s_andn2_b32 exec_lo, exec_lo, s3
	s_cbranch_execnz .LBB119_7
; %bb.8:
	s_or_b32 exec_lo, exec_lo, s3
.LBB119_9:
	s_or_b32 exec_lo, exec_lo, s1
	s_cbranch_execz .LBB119_11
	s_branch .LBB119_16
.LBB119_10:
                                        ; implicit-def: $vgpr10_vgpr11
                                        ; implicit-def: $vgpr12_vgpr13
                                        ; implicit-def: $vgpr14_vgpr15
                                        ; implicit-def: $vgpr16_vgpr17
                                        ; implicit-def: $vgpr18_vgpr19
                                        ; implicit-def: $vgpr20_vgpr21
.LBB119_11:
	v_mov_b32_e32 v10, 0
	v_mov_b32_e32 v12, 0
	v_mov_b32_e32 v14, 0
	v_mov_b32_e32 v16, 0
	v_mov_b32_e32 v18, 0
	v_mov_b32_e32 v20, 0
	v_mov_b32_e32 v11, 0
	v_mov_b32_e32 v13, 0
	v_mov_b32_e32 v15, 0
	v_mov_b32_e32 v17, 0
	v_mov_b32_e32 v19, 0
	v_mov_b32_e32 v21, 0
	s_and_saveexec_b32 s1, s0
	s_cbranch_execz .LBB119_15
; %bb.12:
	v_mad_u64_u32 v[24:25], null, v22, 6, 5
	v_mov_b32_e32 v10, 0
	v_mov_b32_e32 v12, 0
	;; [unrolled: 1-line block ×13, first 2 shown]
	s_mov_b32 s0, 0
.LBB119_13:                             ; =>This Inner Loop Header: Depth=1
	v_ashrrev_i32_e32 v23, 31, v22
	v_add_nc_u32_e32 v29, -3, v24
	v_mov_b32_e32 v30, v27
	v_add_nc_u32_e32 v31, -1, v24
	v_mov_b32_e32 v32, v27
	v_lshlrev_b64 v[25:26], 2, v[22:23]
	v_mov_b32_e32 v46, v27
	v_lshlrev_b64 v[29:30], 4, v[29:30]
	v_add_nc_u32_e32 v22, 32, v22
	v_lshlrev_b64 v[31:32], 4, v[31:32]
	v_add_co_u32 v25, vcc_lo, s10, v25
	v_add_co_ci_u32_e64 v26, null, s11, v26, vcc_lo
	global_load_dword v23, v[25:26], off
	v_add_nc_u32_e32 v26, -5, v24
	v_lshlrev_b64 v[25:26], 4, v[26:27]
	v_add_co_u32 v25, vcc_lo, s12, v25
	v_add_co_ci_u32_e64 v26, null, s13, v26, vcc_lo
	v_add_co_u32 v37, vcc_lo, s12, v29
	v_add_co_ci_u32_e64 v38, null, s13, v30, vcc_lo
	;; [unrolled: 2-line block ×3, first 2 shown]
	s_clause 0x3
	global_load_dwordx4 v[29:32], v[25:26], off offset:16
	global_load_dwordx4 v[33:36], v[25:26], off
	global_load_dwordx4 v[37:40], v[37:38], off
	;; [unrolled: 1-line block ×3, first 2 shown]
	s_waitcnt vmcnt(4)
	v_subrev_nc_u32_e32 v23, s2, v23
	v_lshlrev_b32_e32 v45, 1, v23
	v_lshlrev_b64 v[25:26], 4, v[45:46]
	v_add_co_u32 v25, vcc_lo, s14, v25
	v_add_co_ci_u32_e64 v26, null, s15, v26, vcc_lo
	s_clause 0x1
	global_load_dwordx4 v[45:48], v[25:26], off
	global_load_dwordx4 v[49:52], v[25:26], off offset:16
	v_mov_b32_e32 v25, v27
	v_add_nc_u32_e32 v26, -2, v24
	v_lshlrev_b64 v[53:54], 4, v[24:25]
	v_lshlrev_b64 v[25:26], 4, v[26:27]
	v_add_nc_u32_e32 v24, 0xc0, v24
	v_add_co_u32 v57, vcc_lo, s12, v53
	v_add_co_ci_u32_e64 v58, null, s13, v54, vcc_lo
	v_add_co_u32 v25, vcc_lo, s12, v25
	v_add_co_ci_u32_e64 v26, null, s13, v26, vcc_lo
	s_clause 0x1
	global_load_dwordx4 v[53:56], v[25:26], off
	global_load_dwordx4 v[57:60], v[57:58], off
	v_cmp_ge_i32_e32 vcc_lo, v22, v28
	s_or_b32 s0, vcc_lo, s0
	s_waitcnt vmcnt(3)
	v_fma_f64 v[12:13], v[33:34], v[45:46], v[12:13]
	v_fma_f64 v[10:11], v[35:36], v[45:46], v[10:11]
	;; [unrolled: 1-line block ×6, first 2 shown]
	v_fma_f64 v[12:13], -v[35:36], v[47:48], v[12:13]
	v_fma_f64 v[10:11], v[33:34], v[47:48], v[10:11]
	v_fma_f64 v[18:19], -v[39:40], v[47:48], v[18:19]
	v_fma_f64 v[20:21], v[37:38], v[47:48], v[20:21]
	;; [unrolled: 2-line block ×3, first 2 shown]
	s_waitcnt vmcnt(2)
	v_fma_f64 v[12:13], v[29:30], v[49:50], v[12:13]
	v_fma_f64 v[10:11], v[31:32], v[49:50], v[10:11]
	s_waitcnt vmcnt(1)
	v_fma_f64 v[18:19], v[53:54], v[49:50], v[18:19]
	v_fma_f64 v[20:21], v[55:56], v[49:50], v[20:21]
	;; [unrolled: 3-line block ×3, first 2 shown]
	v_fma_f64 v[12:13], -v[31:32], v[51:52], v[12:13]
	v_fma_f64 v[10:11], v[29:30], v[51:52], v[10:11]
	v_fma_f64 v[18:19], -v[55:56], v[51:52], v[18:19]
	v_fma_f64 v[20:21], v[53:54], v[51:52], v[20:21]
	;; [unrolled: 2-line block ×3, first 2 shown]
	s_andn2_b32 exec_lo, exec_lo, s0
	s_cbranch_execnz .LBB119_13
; %bb.14:
	s_or_b32 exec_lo, exec_lo, s0
.LBB119_15:
	s_or_b32 exec_lo, exec_lo, s1
.LBB119_16:
	v_mbcnt_lo_u32_b32 v34, -1, 0
	v_xor_b32_e32 v22, 16, v34
	v_cmp_gt_i32_e32 vcc_lo, 32, v22
	v_cndmask_b32_e32 v22, v34, v22, vcc_lo
	v_lshlrev_b32_e32 v33, 2, v22
	ds_bpermute_b32 v22, v33, v12
	ds_bpermute_b32 v23, v33, v13
	;; [unrolled: 1-line block ×12, first 2 shown]
	s_waitcnt lgkmcnt(10)
	v_add_f64 v[12:13], v[12:13], v[22:23]
	v_xor_b32_e32 v22, 8, v34
	s_waitcnt lgkmcnt(8)
	v_add_f64 v[10:11], v[10:11], v[24:25]
	s_waitcnt lgkmcnt(6)
	v_add_f64 v[18:19], v[18:19], v[26:27]
	;; [unrolled: 2-line block ×3, first 2 shown]
	v_cmp_gt_i32_e32 vcc_lo, 32, v22
	s_waitcnt lgkmcnt(2)
	v_add_f64 v[14:15], v[14:15], v[30:31]
	s_waitcnt lgkmcnt(0)
	v_add_f64 v[16:17], v[16:17], v[32:33]
	v_cndmask_b32_e32 v22, v34, v22, vcc_lo
	v_lshlrev_b32_e32 v33, 2, v22
	ds_bpermute_b32 v22, v33, v12
	ds_bpermute_b32 v23, v33, v13
	;; [unrolled: 1-line block ×12, first 2 shown]
	s_waitcnt lgkmcnt(10)
	v_add_f64 v[12:13], v[12:13], v[22:23]
	v_xor_b32_e32 v22, 4, v34
	s_waitcnt lgkmcnt(8)
	v_add_f64 v[10:11], v[10:11], v[24:25]
	s_waitcnt lgkmcnt(6)
	v_add_f64 v[18:19], v[18:19], v[26:27]
	;; [unrolled: 2-line block ×3, first 2 shown]
	v_cmp_gt_i32_e32 vcc_lo, 32, v22
	s_waitcnt lgkmcnt(2)
	v_add_f64 v[14:15], v[14:15], v[30:31]
	s_waitcnt lgkmcnt(0)
	v_add_f64 v[16:17], v[16:17], v[32:33]
	v_cndmask_b32_e32 v22, v34, v22, vcc_lo
	v_lshlrev_b32_e32 v33, 2, v22
	ds_bpermute_b32 v22, v33, v12
	ds_bpermute_b32 v23, v33, v13
	ds_bpermute_b32 v24, v33, v10
	ds_bpermute_b32 v25, v33, v11
	ds_bpermute_b32 v26, v33, v18
	ds_bpermute_b32 v27, v33, v19
	ds_bpermute_b32 v28, v33, v20
	ds_bpermute_b32 v29, v33, v21
	ds_bpermute_b32 v30, v33, v14
	ds_bpermute_b32 v31, v33, v15
	ds_bpermute_b32 v32, v33, v16
	ds_bpermute_b32 v33, v33, v17
	s_waitcnt lgkmcnt(10)
	v_add_f64 v[12:13], v[12:13], v[22:23]
	s_waitcnt lgkmcnt(8)
	v_add_f64 v[22:23], v[10:11], v[24:25]
	v_xor_b32_e32 v10, 2, v34
	s_waitcnt lgkmcnt(6)
	v_add_f64 v[18:19], v[18:19], v[26:27]
	s_waitcnt lgkmcnt(4)
	v_add_f64 v[24:25], v[20:21], v[28:29]
	s_waitcnt lgkmcnt(2)
	v_add_f64 v[14:15], v[14:15], v[30:31]
	v_cmp_gt_i32_e32 vcc_lo, 32, v10
	s_waitcnt lgkmcnt(0)
	v_add_f64 v[16:17], v[16:17], v[32:33]
	v_cndmask_b32_e32 v10, v34, v10, vcc_lo
	v_lshlrev_b32_e32 v33, 2, v10
	ds_bpermute_b32 v10, v33, v12
	ds_bpermute_b32 v11, v33, v13
	;; [unrolled: 1-line block ×12, first 2 shown]
	s_waitcnt lgkmcnt(10)
	v_add_f64 v[10:11], v[12:13], v[10:11]
	s_waitcnt lgkmcnt(8)
	v_add_f64 v[20:21], v[22:23], v[20:21]
	v_xor_b32_e32 v22, 1, v34
	s_waitcnt lgkmcnt(6)
	v_add_f64 v[12:13], v[18:19], v[26:27]
	s_waitcnt lgkmcnt(4)
	v_add_f64 v[18:19], v[24:25], v[28:29]
	;; [unrolled: 2-line block ×3, first 2 shown]
	v_cmp_gt_i32_e32 vcc_lo, 32, v22
	s_waitcnt lgkmcnt(0)
	v_add_f64 v[16:17], v[16:17], v[32:33]
	v_cndmask_b32_e32 v22, v34, v22, vcc_lo
	v_cmp_eq_u32_e32 vcc_lo, 31, v0
	v_lshlrev_b32_e32 v25, 2, v22
	ds_bpermute_b32 v32, v25, v10
	ds_bpermute_b32 v33, v25, v11
	;; [unrolled: 1-line block ×12, first 2 shown]
	s_and_b32 exec_lo, exec_lo, vcc_lo
	s_cbranch_execz .LBB119_21
; %bb.17:
	v_cmp_eq_f64_e32 vcc_lo, 0, v[5:6]
	v_cmp_eq_f64_e64 s0, 0, v[7:8]
	s_waitcnt lgkmcnt(10)
	v_add_f64 v[10:11], v[10:11], v[32:33]
	s_waitcnt lgkmcnt(8)
	v_add_f64 v[20:21], v[20:21], v[30:31]
	;; [unrolled: 2-line block ×6, first 2 shown]
	s_load_dwordx2 s[2:3], s[4:5], 0x48
	s_and_b32 s0, vcc_lo, s0
	s_and_saveexec_b32 s1, s0
	s_xor_b32 s0, exec_lo, s1
	s_cbranch_execz .LBB119_19
; %bb.18:
	v_mul_f64 v[5:6], v[20:21], -v[3:4]
	v_mul_f64 v[7:8], v[1:2], v[20:21]
	v_mul_f64 v[20:21], v[18:19], -v[3:4]
	v_mul_f64 v[18:19], v[1:2], v[18:19]
	;; [unrolled: 2-line block ×3, first 2 shown]
	v_lshl_add_u32 v24, v9, 1, v9
	v_ashrrev_i32_e32 v25, 31, v24
	v_fma_f64 v[5:6], v[1:2], v[10:11], v[5:6]
	v_fma_f64 v[7:8], v[3:4], v[10:11], v[7:8]
	;; [unrolled: 1-line block ×6, first 2 shown]
	v_lshlrev_b64 v[13:14], 4, v[24:25]
                                        ; implicit-def: $vgpr20_vgpr21
                                        ; implicit-def: $vgpr18_vgpr19
                                        ; implicit-def: $vgpr16_vgpr17
	s_waitcnt lgkmcnt(0)
	v_add_co_u32 v13, vcc_lo, s2, v13
	v_add_co_ci_u32_e64 v14, null, s3, v14, vcc_lo
	global_store_dwordx4 v[13:14], v[5:8], off
	global_store_dwordx4 v[13:14], v[9:12], off offset:16
	global_store_dwordx4 v[13:14], v[0:3], off offset:32
                                        ; implicit-def: $vgpr9
                                        ; implicit-def: $vgpr10_vgpr11
                                        ; implicit-def: $vgpr12_vgpr13
                                        ; implicit-def: $vgpr14_vgpr15
                                        ; implicit-def: $vgpr7_vgpr8
                                        ; implicit-def: $vgpr3_vgpr4
.LBB119_19:
	s_andn2_saveexec_b32 s0, s0
	s_cbranch_execz .LBB119_21
; %bb.20:
	v_lshl_add_u32 v22, v9, 1, v9
	v_mul_f64 v[36:37], v[20:21], -v[3:4]
	v_mul_f64 v[20:21], v[1:2], v[20:21]
	v_mul_f64 v[38:39], v[18:19], -v[3:4]
	v_mul_f64 v[18:19], v[1:2], v[18:19]
	v_ashrrev_i32_e32 v23, 31, v22
	v_mul_f64 v[40:41], v[16:17], -v[3:4]
	v_mul_f64 v[16:17], v[1:2], v[16:17]
	v_lshlrev_b64 v[22:23], 4, v[22:23]
	s_waitcnt lgkmcnt(0)
	v_add_co_u32 v34, vcc_lo, s2, v22
	v_add_co_ci_u32_e64 v35, null, s3, v23, vcc_lo
	s_clause 0x2
	global_load_dwordx4 v[22:25], v[34:35], off
	global_load_dwordx4 v[26:29], v[34:35], off offset:16
	global_load_dwordx4 v[30:33], v[34:35], off offset:32
	v_fma_f64 v[36:37], v[1:2], v[10:11], v[36:37]
	v_fma_f64 v[9:10], v[3:4], v[10:11], v[20:21]
	;; [unrolled: 1-line block ×6, first 2 shown]
	s_waitcnt vmcnt(2)
	v_fma_f64 v[13:14], v[5:6], v[22:23], v[36:37]
	v_fma_f64 v[9:10], v[7:8], v[22:23], v[9:10]
	s_waitcnt vmcnt(1)
	v_fma_f64 v[15:16], v[5:6], v[26:27], v[20:21]
	v_fma_f64 v[11:12], v[7:8], v[26:27], v[11:12]
	s_waitcnt vmcnt(0)
	v_fma_f64 v[17:18], v[5:6], v[30:31], v[0:1]
	v_fma_f64 v[19:20], v[7:8], v[30:31], v[2:3]
	v_fma_f64 v[0:1], -v[7:8], v[24:25], v[13:14]
	v_fma_f64 v[2:3], v[5:6], v[24:25], v[9:10]
	v_fma_f64 v[9:10], -v[7:8], v[28:29], v[15:16]
	v_fma_f64 v[11:12], v[5:6], v[28:29], v[11:12]
	;; [unrolled: 2-line block ×3, first 2 shown]
	global_store_dwordx4 v[34:35], v[0:3], off
	global_store_dwordx4 v[34:35], v[9:12], off offset:16
	global_store_dwordx4 v[34:35], v[13:16], off offset:32
.LBB119_21:
	s_endpgm
	.section	.rodata,"a",@progbits
	.p2align	6, 0x0
	.amdhsa_kernel _ZN9rocsparseL19gebsrmvn_3xn_kernelILj128ELj2ELj32E21rocsparse_complex_numIdEEEvi20rocsparse_direction_NS_24const_host_device_scalarIT2_EEPKiS8_PKS5_SA_S6_PS5_21rocsparse_index_base_b
		.amdhsa_group_segment_fixed_size 0
		.amdhsa_private_segment_fixed_size 0
		.amdhsa_kernarg_size 88
		.amdhsa_user_sgpr_count 6
		.amdhsa_user_sgpr_private_segment_buffer 1
		.amdhsa_user_sgpr_dispatch_ptr 0
		.amdhsa_user_sgpr_queue_ptr 0
		.amdhsa_user_sgpr_kernarg_segment_ptr 1
		.amdhsa_user_sgpr_dispatch_id 0
		.amdhsa_user_sgpr_flat_scratch_init 0
		.amdhsa_user_sgpr_private_segment_size 0
		.amdhsa_wavefront_size32 1
		.amdhsa_uses_dynamic_stack 0
		.amdhsa_system_sgpr_private_segment_wavefront_offset 0
		.amdhsa_system_sgpr_workgroup_id_x 1
		.amdhsa_system_sgpr_workgroup_id_y 0
		.amdhsa_system_sgpr_workgroup_id_z 0
		.amdhsa_system_sgpr_workgroup_info 0
		.amdhsa_system_vgpr_workitem_id 0
		.amdhsa_next_free_vgpr 61
		.amdhsa_next_free_sgpr 16
		.amdhsa_reserve_vcc 1
		.amdhsa_reserve_flat_scratch 0
		.amdhsa_float_round_mode_32 0
		.amdhsa_float_round_mode_16_64 0
		.amdhsa_float_denorm_mode_32 3
		.amdhsa_float_denorm_mode_16_64 3
		.amdhsa_dx10_clamp 1
		.amdhsa_ieee_mode 1
		.amdhsa_fp16_overflow 0
		.amdhsa_workgroup_processor_mode 1
		.amdhsa_memory_ordered 1
		.amdhsa_forward_progress 1
		.amdhsa_shared_vgpr_count 0
		.amdhsa_exception_fp_ieee_invalid_op 0
		.amdhsa_exception_fp_denorm_src 0
		.amdhsa_exception_fp_ieee_div_zero 0
		.amdhsa_exception_fp_ieee_overflow 0
		.amdhsa_exception_fp_ieee_underflow 0
		.amdhsa_exception_fp_ieee_inexact 0
		.amdhsa_exception_int_div_zero 0
	.end_amdhsa_kernel
	.section	.text._ZN9rocsparseL19gebsrmvn_3xn_kernelILj128ELj2ELj32E21rocsparse_complex_numIdEEEvi20rocsparse_direction_NS_24const_host_device_scalarIT2_EEPKiS8_PKS5_SA_S6_PS5_21rocsparse_index_base_b,"axG",@progbits,_ZN9rocsparseL19gebsrmvn_3xn_kernelILj128ELj2ELj32E21rocsparse_complex_numIdEEEvi20rocsparse_direction_NS_24const_host_device_scalarIT2_EEPKiS8_PKS5_SA_S6_PS5_21rocsparse_index_base_b,comdat
.Lfunc_end119:
	.size	_ZN9rocsparseL19gebsrmvn_3xn_kernelILj128ELj2ELj32E21rocsparse_complex_numIdEEEvi20rocsparse_direction_NS_24const_host_device_scalarIT2_EEPKiS8_PKS5_SA_S6_PS5_21rocsparse_index_base_b, .Lfunc_end119-_ZN9rocsparseL19gebsrmvn_3xn_kernelILj128ELj2ELj32E21rocsparse_complex_numIdEEEvi20rocsparse_direction_NS_24const_host_device_scalarIT2_EEPKiS8_PKS5_SA_S6_PS5_21rocsparse_index_base_b
                                        ; -- End function
	.set _ZN9rocsparseL19gebsrmvn_3xn_kernelILj128ELj2ELj32E21rocsparse_complex_numIdEEEvi20rocsparse_direction_NS_24const_host_device_scalarIT2_EEPKiS8_PKS5_SA_S6_PS5_21rocsparse_index_base_b.num_vgpr, 61
	.set _ZN9rocsparseL19gebsrmvn_3xn_kernelILj128ELj2ELj32E21rocsparse_complex_numIdEEEvi20rocsparse_direction_NS_24const_host_device_scalarIT2_EEPKiS8_PKS5_SA_S6_PS5_21rocsparse_index_base_b.num_agpr, 0
	.set _ZN9rocsparseL19gebsrmvn_3xn_kernelILj128ELj2ELj32E21rocsparse_complex_numIdEEEvi20rocsparse_direction_NS_24const_host_device_scalarIT2_EEPKiS8_PKS5_SA_S6_PS5_21rocsparse_index_base_b.numbered_sgpr, 16
	.set _ZN9rocsparseL19gebsrmvn_3xn_kernelILj128ELj2ELj32E21rocsparse_complex_numIdEEEvi20rocsparse_direction_NS_24const_host_device_scalarIT2_EEPKiS8_PKS5_SA_S6_PS5_21rocsparse_index_base_b.num_named_barrier, 0
	.set _ZN9rocsparseL19gebsrmvn_3xn_kernelILj128ELj2ELj32E21rocsparse_complex_numIdEEEvi20rocsparse_direction_NS_24const_host_device_scalarIT2_EEPKiS8_PKS5_SA_S6_PS5_21rocsparse_index_base_b.private_seg_size, 0
	.set _ZN9rocsparseL19gebsrmvn_3xn_kernelILj128ELj2ELj32E21rocsparse_complex_numIdEEEvi20rocsparse_direction_NS_24const_host_device_scalarIT2_EEPKiS8_PKS5_SA_S6_PS5_21rocsparse_index_base_b.uses_vcc, 1
	.set _ZN9rocsparseL19gebsrmvn_3xn_kernelILj128ELj2ELj32E21rocsparse_complex_numIdEEEvi20rocsparse_direction_NS_24const_host_device_scalarIT2_EEPKiS8_PKS5_SA_S6_PS5_21rocsparse_index_base_b.uses_flat_scratch, 0
	.set _ZN9rocsparseL19gebsrmvn_3xn_kernelILj128ELj2ELj32E21rocsparse_complex_numIdEEEvi20rocsparse_direction_NS_24const_host_device_scalarIT2_EEPKiS8_PKS5_SA_S6_PS5_21rocsparse_index_base_b.has_dyn_sized_stack, 0
	.set _ZN9rocsparseL19gebsrmvn_3xn_kernelILj128ELj2ELj32E21rocsparse_complex_numIdEEEvi20rocsparse_direction_NS_24const_host_device_scalarIT2_EEPKiS8_PKS5_SA_S6_PS5_21rocsparse_index_base_b.has_recursion, 0
	.set _ZN9rocsparseL19gebsrmvn_3xn_kernelILj128ELj2ELj32E21rocsparse_complex_numIdEEEvi20rocsparse_direction_NS_24const_host_device_scalarIT2_EEPKiS8_PKS5_SA_S6_PS5_21rocsparse_index_base_b.has_indirect_call, 0
	.section	.AMDGPU.csdata,"",@progbits
; Kernel info:
; codeLenInByte = 3064
; TotalNumSgprs: 18
; NumVgprs: 61
; ScratchSize: 0
; MemoryBound: 0
; FloatMode: 240
; IeeeMode: 1
; LDSByteSize: 0 bytes/workgroup (compile time only)
; SGPRBlocks: 0
; VGPRBlocks: 7
; NumSGPRsForWavesPerEU: 18
; NumVGPRsForWavesPerEU: 61
; Occupancy: 16
; WaveLimiterHint : 1
; COMPUTE_PGM_RSRC2:SCRATCH_EN: 0
; COMPUTE_PGM_RSRC2:USER_SGPR: 6
; COMPUTE_PGM_RSRC2:TRAP_HANDLER: 0
; COMPUTE_PGM_RSRC2:TGID_X_EN: 1
; COMPUTE_PGM_RSRC2:TGID_Y_EN: 0
; COMPUTE_PGM_RSRC2:TGID_Z_EN: 0
; COMPUTE_PGM_RSRC2:TIDIG_COMP_CNT: 0
	.section	.text._ZN9rocsparseL19gebsrmvn_3xn_kernelILj128ELj2ELj64E21rocsparse_complex_numIdEEEvi20rocsparse_direction_NS_24const_host_device_scalarIT2_EEPKiS8_PKS5_SA_S6_PS5_21rocsparse_index_base_b,"axG",@progbits,_ZN9rocsparseL19gebsrmvn_3xn_kernelILj128ELj2ELj64E21rocsparse_complex_numIdEEEvi20rocsparse_direction_NS_24const_host_device_scalarIT2_EEPKiS8_PKS5_SA_S6_PS5_21rocsparse_index_base_b,comdat
	.globl	_ZN9rocsparseL19gebsrmvn_3xn_kernelILj128ELj2ELj64E21rocsparse_complex_numIdEEEvi20rocsparse_direction_NS_24const_host_device_scalarIT2_EEPKiS8_PKS5_SA_S6_PS5_21rocsparse_index_base_b ; -- Begin function _ZN9rocsparseL19gebsrmvn_3xn_kernelILj128ELj2ELj64E21rocsparse_complex_numIdEEEvi20rocsparse_direction_NS_24const_host_device_scalarIT2_EEPKiS8_PKS5_SA_S6_PS5_21rocsparse_index_base_b
	.p2align	8
	.type	_ZN9rocsparseL19gebsrmvn_3xn_kernelILj128ELj2ELj64E21rocsparse_complex_numIdEEEvi20rocsparse_direction_NS_24const_host_device_scalarIT2_EEPKiS8_PKS5_SA_S6_PS5_21rocsparse_index_base_b,@function
_ZN9rocsparseL19gebsrmvn_3xn_kernelILj128ELj2ELj64E21rocsparse_complex_numIdEEEvi20rocsparse_direction_NS_24const_host_device_scalarIT2_EEPKiS8_PKS5_SA_S6_PS5_21rocsparse_index_base_b: ; @_ZN9rocsparseL19gebsrmvn_3xn_kernelILj128ELj2ELj64E21rocsparse_complex_numIdEEEvi20rocsparse_direction_NS_24const_host_device_scalarIT2_EEPKiS8_PKS5_SA_S6_PS5_21rocsparse_index_base_b
; %bb.0:
	s_clause 0x1
	s_load_dwordx2 s[2:3], s[4:5], 0x50
	s_load_dwordx2 s[0:1], s[4:5], 0x8
	s_add_u32 s7, s4, 8
	s_addc_u32 s10, s5, 0
	s_add_u32 s11, s4, 56
	s_addc_u32 s12, s5, 0
	s_load_dwordx2 s[8:9], s[4:5], 0x38
	s_waitcnt lgkmcnt(0)
	s_bitcmp1_b32 s3, 0
	s_cselect_b32 s0, s7, s0
	s_cselect_b32 s1, s10, s1
	v_mov_b32_e32 v1, s0
	v_mov_b32_e32 v2, s1
	s_cselect_b32 s0, s11, s8
	s_cselect_b32 s1, s12, s9
	v_mov_b32_e32 v5, s0
	v_mov_b32_e32 v6, s1
	flat_load_dwordx4 v[1:4], v[1:2]
	flat_load_dwordx4 v[5:8], v[5:6]
	s_waitcnt vmcnt(1) lgkmcnt(1)
	v_cmp_eq_f64_e32 vcc_lo, 0, v[1:2]
	v_cmp_eq_f64_e64 s0, 0, v[3:4]
	s_and_b32 s3, vcc_lo, s0
	s_mov_b32 s0, -1
	s_and_saveexec_b32 s1, s3
	s_cbranch_execz .LBB120_2
; %bb.1:
	s_waitcnt vmcnt(0) lgkmcnt(0)
	v_cmp_neq_f64_e32 vcc_lo, 1.0, v[5:6]
	v_cmp_neq_f64_e64 s0, 0, v[7:8]
	s_or_b32 s0, vcc_lo, s0
	s_orn2_b32 s0, s0, exec_lo
.LBB120_2:
	s_or_b32 exec_lo, exec_lo, s1
	s_and_saveexec_b32 s1, s0
	s_cbranch_execz .LBB120_21
; %bb.3:
	s_load_dwordx2 s[0:1], s[4:5], 0x0
	v_lshrrev_b32_e32 v9, 6, v0
	v_lshl_or_b32 v9, s6, 1, v9
	s_waitcnt lgkmcnt(0)
	v_cmp_gt_i32_e32 vcc_lo, s0, v9
	s_and_b32 exec_lo, exec_lo, vcc_lo
	s_cbranch_execz .LBB120_21
; %bb.4:
	s_load_dwordx8 s[8:15], s[4:5], 0x18
	v_ashrrev_i32_e32 v10, 31, v9
	v_and_b32_e32 v0, 63, v0
	s_cmp_lg_u32 s1, 0
	v_lshlrev_b64 v[10:11], 2, v[9:10]
	s_waitcnt lgkmcnt(0)
	v_add_co_u32 v10, vcc_lo, s8, v10
	v_add_co_ci_u32_e64 v11, null, s9, v11, vcc_lo
	global_load_dwordx2 v[10:11], v[10:11], off
	s_waitcnt vmcnt(0)
	v_subrev_nc_u32_e32 v10, s2, v10
	v_subrev_nc_u32_e32 v28, s2, v11
	v_add_nc_u32_e32 v22, v10, v0
	v_cmp_lt_i32_e64 s0, v22, v28
	s_cbranch_scc0 .LBB120_10
; %bb.5:
	v_mov_b32_e32 v10, 0
	v_mov_b32_e32 v12, 0
	;; [unrolled: 1-line block ×12, first 2 shown]
	s_and_saveexec_b32 s1, s0
	s_cbranch_execz .LBB120_9
; %bb.6:
	v_mad_u64_u32 v[23:24], null, v22, 6, 5
	v_mov_b32_e32 v10, 0
	v_mov_b32_e32 v12, 0
	;; [unrolled: 1-line block ×14, first 2 shown]
	s_mov_b32 s3, 0
.LBB120_7:                              ; =>This Inner Loop Header: Depth=1
	v_ashrrev_i32_e32 v27, 31, v26
	v_add_nc_u32_e32 v24, -5, v23
	v_mov_b32_e32 v42, v25
	v_lshlrev_b64 v[29:30], 2, v[26:27]
	v_add_nc_u32_e32 v26, 64, v26
	v_add_co_u32 v29, vcc_lo, s10, v29
	v_add_co_ci_u32_e64 v30, null, s11, v30, vcc_lo
	global_load_dword v27, v[29:30], off
	v_lshlrev_b64 v[29:30], 4, v[24:25]
	v_add_nc_u32_e32 v24, -3, v23
	v_lshlrev_b64 v[31:32], 4, v[24:25]
	v_add_co_u32 v33, vcc_lo, s12, v29
	v_add_co_ci_u32_e64 v34, null, s13, v30, vcc_lo
	v_add_co_u32 v37, vcc_lo, s12, v31
	v_add_co_ci_u32_e64 v38, null, s13, v32, vcc_lo
	s_clause 0x2
	global_load_dwordx4 v[29:32], v[33:34], off offset:16
	global_load_dwordx4 v[33:36], v[33:34], off
	global_load_dwordx4 v[37:40], v[37:38], off
	s_waitcnt vmcnt(3)
	v_subrev_nc_u32_e32 v24, s2, v27
	v_lshlrev_b32_e32 v41, 1, v24
	v_mov_b32_e32 v24, v25
	v_lshlrev_b64 v[41:42], 4, v[41:42]
	v_lshlrev_b64 v[49:50], 4, v[23:24]
	v_add_nc_u32_e32 v24, -2, v23
	v_add_co_u32 v45, vcc_lo, s14, v41
	v_add_co_ci_u32_e64 v46, null, s15, v42, vcc_lo
	v_add_co_u32 v57, vcc_lo, s12, v49
	v_add_co_ci_u32_e64 v58, null, s13, v50, vcc_lo
	s_clause 0x1
	global_load_dwordx4 v[41:44], v[45:46], off
	global_load_dwordx4 v[45:48], v[45:46], off offset:16
	v_lshlrev_b64 v[49:50], 4, v[24:25]
	v_add_nc_u32_e32 v24, -1, v23
	v_add_nc_u32_e32 v23, 0x180, v23
	v_lshlrev_b64 v[51:52], 4, v[24:25]
	v_add_co_u32 v49, vcc_lo, s12, v49
	v_add_co_ci_u32_e64 v50, null, s13, v50, vcc_lo
	v_add_co_u32 v53, vcc_lo, s12, v51
	v_add_co_ci_u32_e64 v54, null, s13, v52, vcc_lo
	s_clause 0x2
	global_load_dwordx4 v[49:52], v[49:50], off
	global_load_dwordx4 v[53:56], v[53:54], off
	;; [unrolled: 1-line block ×3, first 2 shown]
	v_cmp_ge_i32_e32 vcc_lo, v26, v28
	s_or_b32 s3, vcc_lo, s3
	s_waitcnt vmcnt(4)
	v_fma_f64 v[12:13], v[33:34], v[41:42], v[12:13]
	v_fma_f64 v[10:11], v[35:36], v[41:42], v[10:11]
	;; [unrolled: 1-line block ×6, first 2 shown]
	v_fma_f64 v[12:13], -v[35:36], v[43:44], v[12:13]
	v_fma_f64 v[10:11], v[33:34], v[43:44], v[10:11]
	v_fma_f64 v[18:19], -v[31:32], v[43:44], v[18:19]
	v_fma_f64 v[20:21], v[29:30], v[43:44], v[20:21]
	;; [unrolled: 2-line block ×3, first 2 shown]
	s_waitcnt vmcnt(2)
	v_fma_f64 v[12:13], v[49:50], v[45:46], v[12:13]
	v_fma_f64 v[10:11], v[51:52], v[45:46], v[10:11]
	s_waitcnt vmcnt(1)
	v_fma_f64 v[18:19], v[53:54], v[45:46], v[18:19]
	v_fma_f64 v[20:21], v[55:56], v[45:46], v[20:21]
	;; [unrolled: 3-line block ×3, first 2 shown]
	v_fma_f64 v[12:13], -v[51:52], v[47:48], v[12:13]
	v_fma_f64 v[10:11], v[49:50], v[47:48], v[10:11]
	v_fma_f64 v[18:19], -v[55:56], v[47:48], v[18:19]
	v_fma_f64 v[20:21], v[53:54], v[47:48], v[20:21]
	;; [unrolled: 2-line block ×3, first 2 shown]
	s_andn2_b32 exec_lo, exec_lo, s3
	s_cbranch_execnz .LBB120_7
; %bb.8:
	s_or_b32 exec_lo, exec_lo, s3
.LBB120_9:
	s_or_b32 exec_lo, exec_lo, s1
	s_cbranch_execz .LBB120_11
	s_branch .LBB120_16
.LBB120_10:
                                        ; implicit-def: $vgpr10_vgpr11
                                        ; implicit-def: $vgpr12_vgpr13
                                        ; implicit-def: $vgpr14_vgpr15
                                        ; implicit-def: $vgpr16_vgpr17
                                        ; implicit-def: $vgpr18_vgpr19
                                        ; implicit-def: $vgpr20_vgpr21
.LBB120_11:
	v_mov_b32_e32 v10, 0
	v_mov_b32_e32 v12, 0
	;; [unrolled: 1-line block ×12, first 2 shown]
	s_and_saveexec_b32 s1, s0
	s_cbranch_execz .LBB120_15
; %bb.12:
	v_mad_u64_u32 v[24:25], null, v22, 6, 5
	v_mov_b32_e32 v10, 0
	v_mov_b32_e32 v12, 0
	;; [unrolled: 1-line block ×13, first 2 shown]
	s_mov_b32 s0, 0
.LBB120_13:                             ; =>This Inner Loop Header: Depth=1
	v_ashrrev_i32_e32 v23, 31, v22
	v_add_nc_u32_e32 v29, -3, v24
	v_mov_b32_e32 v30, v27
	v_add_nc_u32_e32 v31, -1, v24
	v_mov_b32_e32 v32, v27
	v_lshlrev_b64 v[25:26], 2, v[22:23]
	v_mov_b32_e32 v46, v27
	v_lshlrev_b64 v[29:30], 4, v[29:30]
	v_add_nc_u32_e32 v22, 64, v22
	v_lshlrev_b64 v[31:32], 4, v[31:32]
	v_add_co_u32 v25, vcc_lo, s10, v25
	v_add_co_ci_u32_e64 v26, null, s11, v26, vcc_lo
	global_load_dword v23, v[25:26], off
	v_add_nc_u32_e32 v26, -5, v24
	v_lshlrev_b64 v[25:26], 4, v[26:27]
	v_add_co_u32 v25, vcc_lo, s12, v25
	v_add_co_ci_u32_e64 v26, null, s13, v26, vcc_lo
	v_add_co_u32 v37, vcc_lo, s12, v29
	v_add_co_ci_u32_e64 v38, null, s13, v30, vcc_lo
	;; [unrolled: 2-line block ×3, first 2 shown]
	s_clause 0x3
	global_load_dwordx4 v[29:32], v[25:26], off offset:16
	global_load_dwordx4 v[33:36], v[25:26], off
	global_load_dwordx4 v[37:40], v[37:38], off
	;; [unrolled: 1-line block ×3, first 2 shown]
	s_waitcnt vmcnt(4)
	v_subrev_nc_u32_e32 v23, s2, v23
	v_lshlrev_b32_e32 v45, 1, v23
	v_lshlrev_b64 v[25:26], 4, v[45:46]
	v_add_co_u32 v25, vcc_lo, s14, v25
	v_add_co_ci_u32_e64 v26, null, s15, v26, vcc_lo
	s_clause 0x1
	global_load_dwordx4 v[45:48], v[25:26], off
	global_load_dwordx4 v[49:52], v[25:26], off offset:16
	v_mov_b32_e32 v25, v27
	v_add_nc_u32_e32 v26, -2, v24
	v_lshlrev_b64 v[53:54], 4, v[24:25]
	v_lshlrev_b64 v[25:26], 4, v[26:27]
	v_add_nc_u32_e32 v24, 0x180, v24
	v_add_co_u32 v57, vcc_lo, s12, v53
	v_add_co_ci_u32_e64 v58, null, s13, v54, vcc_lo
	v_add_co_u32 v25, vcc_lo, s12, v25
	v_add_co_ci_u32_e64 v26, null, s13, v26, vcc_lo
	s_clause 0x1
	global_load_dwordx4 v[53:56], v[25:26], off
	global_load_dwordx4 v[57:60], v[57:58], off
	v_cmp_ge_i32_e32 vcc_lo, v22, v28
	s_or_b32 s0, vcc_lo, s0
	s_waitcnt vmcnt(3)
	v_fma_f64 v[12:13], v[33:34], v[45:46], v[12:13]
	v_fma_f64 v[10:11], v[35:36], v[45:46], v[10:11]
	;; [unrolled: 1-line block ×6, first 2 shown]
	v_fma_f64 v[12:13], -v[35:36], v[47:48], v[12:13]
	v_fma_f64 v[10:11], v[33:34], v[47:48], v[10:11]
	v_fma_f64 v[18:19], -v[39:40], v[47:48], v[18:19]
	v_fma_f64 v[20:21], v[37:38], v[47:48], v[20:21]
	;; [unrolled: 2-line block ×3, first 2 shown]
	s_waitcnt vmcnt(2)
	v_fma_f64 v[12:13], v[29:30], v[49:50], v[12:13]
	v_fma_f64 v[10:11], v[31:32], v[49:50], v[10:11]
	s_waitcnt vmcnt(1)
	v_fma_f64 v[18:19], v[53:54], v[49:50], v[18:19]
	v_fma_f64 v[20:21], v[55:56], v[49:50], v[20:21]
	;; [unrolled: 3-line block ×3, first 2 shown]
	v_fma_f64 v[12:13], -v[31:32], v[51:52], v[12:13]
	v_fma_f64 v[10:11], v[29:30], v[51:52], v[10:11]
	v_fma_f64 v[18:19], -v[55:56], v[51:52], v[18:19]
	v_fma_f64 v[20:21], v[53:54], v[51:52], v[20:21]
	;; [unrolled: 2-line block ×3, first 2 shown]
	s_andn2_b32 exec_lo, exec_lo, s0
	s_cbranch_execnz .LBB120_13
; %bb.14:
	s_or_b32 exec_lo, exec_lo, s0
.LBB120_15:
	s_or_b32 exec_lo, exec_lo, s1
.LBB120_16:
	v_mbcnt_lo_u32_b32 v34, -1, 0
	v_or_b32_e32 v22, 32, v34
	v_cmp_gt_i32_e32 vcc_lo, 32, v22
	v_cndmask_b32_e32 v22, v34, v22, vcc_lo
	v_lshlrev_b32_e32 v33, 2, v22
	ds_bpermute_b32 v22, v33, v12
	ds_bpermute_b32 v23, v33, v13
	ds_bpermute_b32 v24, v33, v10
	ds_bpermute_b32 v25, v33, v11
	ds_bpermute_b32 v26, v33, v18
	ds_bpermute_b32 v27, v33, v19
	ds_bpermute_b32 v28, v33, v20
	ds_bpermute_b32 v29, v33, v21
	ds_bpermute_b32 v30, v33, v14
	ds_bpermute_b32 v31, v33, v15
	ds_bpermute_b32 v32, v33, v16
	ds_bpermute_b32 v33, v33, v17
	s_waitcnt lgkmcnt(10)
	v_add_f64 v[12:13], v[12:13], v[22:23]
	v_xor_b32_e32 v22, 16, v34
	s_waitcnt lgkmcnt(8)
	v_add_f64 v[10:11], v[10:11], v[24:25]
	s_waitcnt lgkmcnt(6)
	v_add_f64 v[18:19], v[18:19], v[26:27]
	s_waitcnt lgkmcnt(4)
	v_add_f64 v[20:21], v[20:21], v[28:29]
	v_cmp_gt_i32_e32 vcc_lo, 32, v22
	s_waitcnt lgkmcnt(2)
	v_add_f64 v[14:15], v[14:15], v[30:31]
	s_waitcnt lgkmcnt(0)
	v_add_f64 v[16:17], v[16:17], v[32:33]
	v_cndmask_b32_e32 v22, v34, v22, vcc_lo
	v_lshlrev_b32_e32 v33, 2, v22
	ds_bpermute_b32 v22, v33, v12
	ds_bpermute_b32 v23, v33, v13
	ds_bpermute_b32 v24, v33, v10
	ds_bpermute_b32 v25, v33, v11
	ds_bpermute_b32 v26, v33, v18
	ds_bpermute_b32 v27, v33, v19
	ds_bpermute_b32 v28, v33, v20
	ds_bpermute_b32 v29, v33, v21
	ds_bpermute_b32 v30, v33, v14
	ds_bpermute_b32 v31, v33, v15
	ds_bpermute_b32 v32, v33, v16
	ds_bpermute_b32 v33, v33, v17
	s_waitcnt lgkmcnt(10)
	v_add_f64 v[12:13], v[12:13], v[22:23]
	v_xor_b32_e32 v22, 8, v34
	s_waitcnt lgkmcnt(8)
	v_add_f64 v[10:11], v[10:11], v[24:25]
	s_waitcnt lgkmcnt(6)
	v_add_f64 v[18:19], v[18:19], v[26:27]
	s_waitcnt lgkmcnt(4)
	v_add_f64 v[20:21], v[20:21], v[28:29]
	v_cmp_gt_i32_e32 vcc_lo, 32, v22
	s_waitcnt lgkmcnt(2)
	v_add_f64 v[14:15], v[14:15], v[30:31]
	s_waitcnt lgkmcnt(0)
	v_add_f64 v[16:17], v[16:17], v[32:33]
	;; [unrolled: 28-line block ×3, first 2 shown]
	v_cndmask_b32_e32 v22, v34, v22, vcc_lo
	v_lshlrev_b32_e32 v33, 2, v22
	ds_bpermute_b32 v22, v33, v12
	ds_bpermute_b32 v23, v33, v13
	;; [unrolled: 1-line block ×12, first 2 shown]
	s_waitcnt lgkmcnt(10)
	v_add_f64 v[12:13], v[12:13], v[22:23]
	s_waitcnt lgkmcnt(8)
	v_add_f64 v[22:23], v[10:11], v[24:25]
	v_xor_b32_e32 v10, 2, v34
	s_waitcnt lgkmcnt(6)
	v_add_f64 v[18:19], v[18:19], v[26:27]
	s_waitcnt lgkmcnt(4)
	v_add_f64 v[24:25], v[20:21], v[28:29]
	;; [unrolled: 2-line block ×3, first 2 shown]
	v_cmp_gt_i32_e32 vcc_lo, 32, v10
	s_waitcnt lgkmcnt(0)
	v_add_f64 v[16:17], v[16:17], v[32:33]
	v_cndmask_b32_e32 v10, v34, v10, vcc_lo
	v_lshlrev_b32_e32 v33, 2, v10
	ds_bpermute_b32 v10, v33, v12
	ds_bpermute_b32 v11, v33, v13
	;; [unrolled: 1-line block ×12, first 2 shown]
	s_waitcnt lgkmcnt(10)
	v_add_f64 v[10:11], v[12:13], v[10:11]
	s_waitcnt lgkmcnt(8)
	v_add_f64 v[20:21], v[22:23], v[20:21]
	v_xor_b32_e32 v22, 1, v34
	s_waitcnt lgkmcnt(6)
	v_add_f64 v[12:13], v[18:19], v[26:27]
	s_waitcnt lgkmcnt(4)
	v_add_f64 v[18:19], v[24:25], v[28:29]
	;; [unrolled: 2-line block ×3, first 2 shown]
	v_cmp_gt_i32_e32 vcc_lo, 32, v22
	s_waitcnt lgkmcnt(0)
	v_add_f64 v[16:17], v[16:17], v[32:33]
	v_cndmask_b32_e32 v22, v34, v22, vcc_lo
	v_cmp_eq_u32_e32 vcc_lo, 63, v0
	v_lshlrev_b32_e32 v25, 2, v22
	ds_bpermute_b32 v32, v25, v10
	ds_bpermute_b32 v33, v25, v11
	;; [unrolled: 1-line block ×12, first 2 shown]
	s_and_b32 exec_lo, exec_lo, vcc_lo
	s_cbranch_execz .LBB120_21
; %bb.17:
	v_cmp_eq_f64_e32 vcc_lo, 0, v[5:6]
	v_cmp_eq_f64_e64 s0, 0, v[7:8]
	s_waitcnt lgkmcnt(10)
	v_add_f64 v[10:11], v[10:11], v[32:33]
	s_waitcnt lgkmcnt(8)
	v_add_f64 v[20:21], v[20:21], v[30:31]
	;; [unrolled: 2-line block ×6, first 2 shown]
	s_load_dwordx2 s[2:3], s[4:5], 0x48
	s_and_b32 s0, vcc_lo, s0
	s_and_saveexec_b32 s1, s0
	s_xor_b32 s0, exec_lo, s1
	s_cbranch_execz .LBB120_19
; %bb.18:
	v_mul_f64 v[5:6], v[20:21], -v[3:4]
	v_mul_f64 v[7:8], v[1:2], v[20:21]
	v_mul_f64 v[20:21], v[18:19], -v[3:4]
	v_mul_f64 v[18:19], v[1:2], v[18:19]
	;; [unrolled: 2-line block ×3, first 2 shown]
	v_lshl_add_u32 v24, v9, 1, v9
	v_ashrrev_i32_e32 v25, 31, v24
	v_fma_f64 v[5:6], v[1:2], v[10:11], v[5:6]
	v_fma_f64 v[7:8], v[3:4], v[10:11], v[7:8]
	;; [unrolled: 1-line block ×6, first 2 shown]
	v_lshlrev_b64 v[13:14], 4, v[24:25]
                                        ; implicit-def: $vgpr20_vgpr21
                                        ; implicit-def: $vgpr18_vgpr19
                                        ; implicit-def: $vgpr16_vgpr17
	s_waitcnt lgkmcnt(0)
	v_add_co_u32 v13, vcc_lo, s2, v13
	v_add_co_ci_u32_e64 v14, null, s3, v14, vcc_lo
	global_store_dwordx4 v[13:14], v[5:8], off
	global_store_dwordx4 v[13:14], v[9:12], off offset:16
	global_store_dwordx4 v[13:14], v[0:3], off offset:32
                                        ; implicit-def: $vgpr9
                                        ; implicit-def: $vgpr10_vgpr11
                                        ; implicit-def: $vgpr12_vgpr13
                                        ; implicit-def: $vgpr14_vgpr15
                                        ; implicit-def: $vgpr7_vgpr8
                                        ; implicit-def: $vgpr3_vgpr4
.LBB120_19:
	s_andn2_saveexec_b32 s0, s0
	s_cbranch_execz .LBB120_21
; %bb.20:
	v_lshl_add_u32 v22, v9, 1, v9
	v_mul_f64 v[36:37], v[20:21], -v[3:4]
	v_mul_f64 v[20:21], v[1:2], v[20:21]
	v_mul_f64 v[38:39], v[18:19], -v[3:4]
	v_mul_f64 v[18:19], v[1:2], v[18:19]
	v_ashrrev_i32_e32 v23, 31, v22
	v_mul_f64 v[40:41], v[16:17], -v[3:4]
	v_mul_f64 v[16:17], v[1:2], v[16:17]
	v_lshlrev_b64 v[22:23], 4, v[22:23]
	s_waitcnt lgkmcnt(0)
	v_add_co_u32 v34, vcc_lo, s2, v22
	v_add_co_ci_u32_e64 v35, null, s3, v23, vcc_lo
	s_clause 0x2
	global_load_dwordx4 v[22:25], v[34:35], off
	global_load_dwordx4 v[26:29], v[34:35], off offset:16
	global_load_dwordx4 v[30:33], v[34:35], off offset:32
	v_fma_f64 v[36:37], v[1:2], v[10:11], v[36:37]
	v_fma_f64 v[9:10], v[3:4], v[10:11], v[20:21]
	;; [unrolled: 1-line block ×6, first 2 shown]
	s_waitcnt vmcnt(2)
	v_fma_f64 v[13:14], v[5:6], v[22:23], v[36:37]
	v_fma_f64 v[9:10], v[7:8], v[22:23], v[9:10]
	s_waitcnt vmcnt(1)
	v_fma_f64 v[15:16], v[5:6], v[26:27], v[20:21]
	v_fma_f64 v[11:12], v[7:8], v[26:27], v[11:12]
	;; [unrolled: 3-line block ×3, first 2 shown]
	v_fma_f64 v[0:1], -v[7:8], v[24:25], v[13:14]
	v_fma_f64 v[2:3], v[5:6], v[24:25], v[9:10]
	v_fma_f64 v[9:10], -v[7:8], v[28:29], v[15:16]
	v_fma_f64 v[11:12], v[5:6], v[28:29], v[11:12]
	;; [unrolled: 2-line block ×3, first 2 shown]
	global_store_dwordx4 v[34:35], v[0:3], off
	global_store_dwordx4 v[34:35], v[9:12], off offset:16
	global_store_dwordx4 v[34:35], v[13:16], off offset:32
.LBB120_21:
	s_endpgm
	.section	.rodata,"a",@progbits
	.p2align	6, 0x0
	.amdhsa_kernel _ZN9rocsparseL19gebsrmvn_3xn_kernelILj128ELj2ELj64E21rocsparse_complex_numIdEEEvi20rocsparse_direction_NS_24const_host_device_scalarIT2_EEPKiS8_PKS5_SA_S6_PS5_21rocsparse_index_base_b
		.amdhsa_group_segment_fixed_size 0
		.amdhsa_private_segment_fixed_size 0
		.amdhsa_kernarg_size 88
		.amdhsa_user_sgpr_count 6
		.amdhsa_user_sgpr_private_segment_buffer 1
		.amdhsa_user_sgpr_dispatch_ptr 0
		.amdhsa_user_sgpr_queue_ptr 0
		.amdhsa_user_sgpr_kernarg_segment_ptr 1
		.amdhsa_user_sgpr_dispatch_id 0
		.amdhsa_user_sgpr_flat_scratch_init 0
		.amdhsa_user_sgpr_private_segment_size 0
		.amdhsa_wavefront_size32 1
		.amdhsa_uses_dynamic_stack 0
		.amdhsa_system_sgpr_private_segment_wavefront_offset 0
		.amdhsa_system_sgpr_workgroup_id_x 1
		.amdhsa_system_sgpr_workgroup_id_y 0
		.amdhsa_system_sgpr_workgroup_id_z 0
		.amdhsa_system_sgpr_workgroup_info 0
		.amdhsa_system_vgpr_workitem_id 0
		.amdhsa_next_free_vgpr 61
		.amdhsa_next_free_sgpr 16
		.amdhsa_reserve_vcc 1
		.amdhsa_reserve_flat_scratch 0
		.amdhsa_float_round_mode_32 0
		.amdhsa_float_round_mode_16_64 0
		.amdhsa_float_denorm_mode_32 3
		.amdhsa_float_denorm_mode_16_64 3
		.amdhsa_dx10_clamp 1
		.amdhsa_ieee_mode 1
		.amdhsa_fp16_overflow 0
		.amdhsa_workgroup_processor_mode 1
		.amdhsa_memory_ordered 1
		.amdhsa_forward_progress 1
		.amdhsa_shared_vgpr_count 0
		.amdhsa_exception_fp_ieee_invalid_op 0
		.amdhsa_exception_fp_denorm_src 0
		.amdhsa_exception_fp_ieee_div_zero 0
		.amdhsa_exception_fp_ieee_overflow 0
		.amdhsa_exception_fp_ieee_underflow 0
		.amdhsa_exception_fp_ieee_inexact 0
		.amdhsa_exception_int_div_zero 0
	.end_amdhsa_kernel
	.section	.text._ZN9rocsparseL19gebsrmvn_3xn_kernelILj128ELj2ELj64E21rocsparse_complex_numIdEEEvi20rocsparse_direction_NS_24const_host_device_scalarIT2_EEPKiS8_PKS5_SA_S6_PS5_21rocsparse_index_base_b,"axG",@progbits,_ZN9rocsparseL19gebsrmvn_3xn_kernelILj128ELj2ELj64E21rocsparse_complex_numIdEEEvi20rocsparse_direction_NS_24const_host_device_scalarIT2_EEPKiS8_PKS5_SA_S6_PS5_21rocsparse_index_base_b,comdat
.Lfunc_end120:
	.size	_ZN9rocsparseL19gebsrmvn_3xn_kernelILj128ELj2ELj64E21rocsparse_complex_numIdEEEvi20rocsparse_direction_NS_24const_host_device_scalarIT2_EEPKiS8_PKS5_SA_S6_PS5_21rocsparse_index_base_b, .Lfunc_end120-_ZN9rocsparseL19gebsrmvn_3xn_kernelILj128ELj2ELj64E21rocsparse_complex_numIdEEEvi20rocsparse_direction_NS_24const_host_device_scalarIT2_EEPKiS8_PKS5_SA_S6_PS5_21rocsparse_index_base_b
                                        ; -- End function
	.set _ZN9rocsparseL19gebsrmvn_3xn_kernelILj128ELj2ELj64E21rocsparse_complex_numIdEEEvi20rocsparse_direction_NS_24const_host_device_scalarIT2_EEPKiS8_PKS5_SA_S6_PS5_21rocsparse_index_base_b.num_vgpr, 61
	.set _ZN9rocsparseL19gebsrmvn_3xn_kernelILj128ELj2ELj64E21rocsparse_complex_numIdEEEvi20rocsparse_direction_NS_24const_host_device_scalarIT2_EEPKiS8_PKS5_SA_S6_PS5_21rocsparse_index_base_b.num_agpr, 0
	.set _ZN9rocsparseL19gebsrmvn_3xn_kernelILj128ELj2ELj64E21rocsparse_complex_numIdEEEvi20rocsparse_direction_NS_24const_host_device_scalarIT2_EEPKiS8_PKS5_SA_S6_PS5_21rocsparse_index_base_b.numbered_sgpr, 16
	.set _ZN9rocsparseL19gebsrmvn_3xn_kernelILj128ELj2ELj64E21rocsparse_complex_numIdEEEvi20rocsparse_direction_NS_24const_host_device_scalarIT2_EEPKiS8_PKS5_SA_S6_PS5_21rocsparse_index_base_b.num_named_barrier, 0
	.set _ZN9rocsparseL19gebsrmvn_3xn_kernelILj128ELj2ELj64E21rocsparse_complex_numIdEEEvi20rocsparse_direction_NS_24const_host_device_scalarIT2_EEPKiS8_PKS5_SA_S6_PS5_21rocsparse_index_base_b.private_seg_size, 0
	.set _ZN9rocsparseL19gebsrmvn_3xn_kernelILj128ELj2ELj64E21rocsparse_complex_numIdEEEvi20rocsparse_direction_NS_24const_host_device_scalarIT2_EEPKiS8_PKS5_SA_S6_PS5_21rocsparse_index_base_b.uses_vcc, 1
	.set _ZN9rocsparseL19gebsrmvn_3xn_kernelILj128ELj2ELj64E21rocsparse_complex_numIdEEEvi20rocsparse_direction_NS_24const_host_device_scalarIT2_EEPKiS8_PKS5_SA_S6_PS5_21rocsparse_index_base_b.uses_flat_scratch, 0
	.set _ZN9rocsparseL19gebsrmvn_3xn_kernelILj128ELj2ELj64E21rocsparse_complex_numIdEEEvi20rocsparse_direction_NS_24const_host_device_scalarIT2_EEPKiS8_PKS5_SA_S6_PS5_21rocsparse_index_base_b.has_dyn_sized_stack, 0
	.set _ZN9rocsparseL19gebsrmvn_3xn_kernelILj128ELj2ELj64E21rocsparse_complex_numIdEEEvi20rocsparse_direction_NS_24const_host_device_scalarIT2_EEPKiS8_PKS5_SA_S6_PS5_21rocsparse_index_base_b.has_recursion, 0
	.set _ZN9rocsparseL19gebsrmvn_3xn_kernelILj128ELj2ELj64E21rocsparse_complex_numIdEEEvi20rocsparse_direction_NS_24const_host_device_scalarIT2_EEPKiS8_PKS5_SA_S6_PS5_21rocsparse_index_base_b.has_indirect_call, 0
	.section	.AMDGPU.csdata,"",@progbits
; Kernel info:
; codeLenInByte = 3248
; TotalNumSgprs: 18
; NumVgprs: 61
; ScratchSize: 0
; MemoryBound: 0
; FloatMode: 240
; IeeeMode: 1
; LDSByteSize: 0 bytes/workgroup (compile time only)
; SGPRBlocks: 0
; VGPRBlocks: 7
; NumSGPRsForWavesPerEU: 18
; NumVGPRsForWavesPerEU: 61
; Occupancy: 16
; WaveLimiterHint : 1
; COMPUTE_PGM_RSRC2:SCRATCH_EN: 0
; COMPUTE_PGM_RSRC2:USER_SGPR: 6
; COMPUTE_PGM_RSRC2:TRAP_HANDLER: 0
; COMPUTE_PGM_RSRC2:TGID_X_EN: 1
; COMPUTE_PGM_RSRC2:TGID_Y_EN: 0
; COMPUTE_PGM_RSRC2:TGID_Z_EN: 0
; COMPUTE_PGM_RSRC2:TIDIG_COMP_CNT: 0
	.section	.text._ZN9rocsparseL19gebsrmvn_3xn_kernelILj128ELj4ELj4E21rocsparse_complex_numIdEEEvi20rocsparse_direction_NS_24const_host_device_scalarIT2_EEPKiS8_PKS5_SA_S6_PS5_21rocsparse_index_base_b,"axG",@progbits,_ZN9rocsparseL19gebsrmvn_3xn_kernelILj128ELj4ELj4E21rocsparse_complex_numIdEEEvi20rocsparse_direction_NS_24const_host_device_scalarIT2_EEPKiS8_PKS5_SA_S6_PS5_21rocsparse_index_base_b,comdat
	.globl	_ZN9rocsparseL19gebsrmvn_3xn_kernelILj128ELj4ELj4E21rocsparse_complex_numIdEEEvi20rocsparse_direction_NS_24const_host_device_scalarIT2_EEPKiS8_PKS5_SA_S6_PS5_21rocsparse_index_base_b ; -- Begin function _ZN9rocsparseL19gebsrmvn_3xn_kernelILj128ELj4ELj4E21rocsparse_complex_numIdEEEvi20rocsparse_direction_NS_24const_host_device_scalarIT2_EEPKiS8_PKS5_SA_S6_PS5_21rocsparse_index_base_b
	.p2align	8
	.type	_ZN9rocsparseL19gebsrmvn_3xn_kernelILj128ELj4ELj4E21rocsparse_complex_numIdEEEvi20rocsparse_direction_NS_24const_host_device_scalarIT2_EEPKiS8_PKS5_SA_S6_PS5_21rocsparse_index_base_b,@function
_ZN9rocsparseL19gebsrmvn_3xn_kernelILj128ELj4ELj4E21rocsparse_complex_numIdEEEvi20rocsparse_direction_NS_24const_host_device_scalarIT2_EEPKiS8_PKS5_SA_S6_PS5_21rocsparse_index_base_b: ; @_ZN9rocsparseL19gebsrmvn_3xn_kernelILj128ELj4ELj4E21rocsparse_complex_numIdEEEvi20rocsparse_direction_NS_24const_host_device_scalarIT2_EEPKiS8_PKS5_SA_S6_PS5_21rocsparse_index_base_b
; %bb.0:
	s_clause 0x1
	s_load_dwordx2 s[2:3], s[4:5], 0x50
	s_load_dwordx2 s[0:1], s[4:5], 0x8
	s_add_u32 s7, s4, 8
	s_addc_u32 s10, s5, 0
	s_add_u32 s11, s4, 56
	s_addc_u32 s12, s5, 0
	s_load_dwordx2 s[8:9], s[4:5], 0x38
	s_waitcnt lgkmcnt(0)
	s_bitcmp1_b32 s3, 0
	s_cselect_b32 s0, s7, s0
	s_cselect_b32 s1, s10, s1
	v_mov_b32_e32 v1, s0
	v_mov_b32_e32 v2, s1
	s_cselect_b32 s0, s11, s8
	s_cselect_b32 s1, s12, s9
	v_mov_b32_e32 v5, s0
	v_mov_b32_e32 v6, s1
	flat_load_dwordx4 v[1:4], v[1:2]
	flat_load_dwordx4 v[5:8], v[5:6]
	s_waitcnt vmcnt(1) lgkmcnt(1)
	v_cmp_eq_f64_e32 vcc_lo, 0, v[1:2]
	v_cmp_eq_f64_e64 s0, 0, v[3:4]
	s_and_b32 s3, vcc_lo, s0
	s_mov_b32 s0, -1
	s_and_saveexec_b32 s1, s3
	s_cbranch_execz .LBB121_2
; %bb.1:
	s_waitcnt vmcnt(0) lgkmcnt(0)
	v_cmp_neq_f64_e32 vcc_lo, 1.0, v[5:6]
	v_cmp_neq_f64_e64 s0, 0, v[7:8]
	s_or_b32 s0, vcc_lo, s0
	s_orn2_b32 s0, s0, exec_lo
.LBB121_2:
	s_or_b32 exec_lo, exec_lo, s1
	s_and_saveexec_b32 s1, s0
	s_cbranch_execz .LBB121_21
; %bb.3:
	s_load_dwordx2 s[0:1], s[4:5], 0x0
	v_lshrrev_b32_e32 v9, 2, v0
	v_lshl_or_b32 v9, s6, 5, v9
	s_waitcnt lgkmcnt(0)
	v_cmp_gt_i32_e32 vcc_lo, s0, v9
	s_and_b32 exec_lo, exec_lo, vcc_lo
	s_cbranch_execz .LBB121_21
; %bb.4:
	s_load_dwordx8 s[8:15], s[4:5], 0x18
	v_ashrrev_i32_e32 v10, 31, v9
	v_and_b32_e32 v0, 3, v0
	s_cmp_lg_u32 s1, 0
	v_lshlrev_b64 v[10:11], 2, v[9:10]
	s_waitcnt lgkmcnt(0)
	v_add_co_u32 v10, vcc_lo, s8, v10
	v_add_co_ci_u32_e64 v11, null, s9, v11, vcc_lo
	global_load_dwordx2 v[10:11], v[10:11], off
	s_waitcnt vmcnt(0)
	v_subrev_nc_u32_e32 v10, s2, v10
	v_subrev_nc_u32_e32 v30, s2, v11
	v_add_nc_u32_e32 v10, v10, v0
	v_cmp_lt_i32_e64 s0, v10, v30
	s_cbranch_scc0 .LBB121_10
; %bb.5:
	v_mov_b32_e32 v12, 0
	v_mov_b32_e32 v18, 0
	;; [unrolled: 1-line block ×12, first 2 shown]
	s_and_saveexec_b32 s1, s0
	s_cbranch_execz .LBB121_9
; %bb.6:
	v_mad_u64_u32 v[24:25], null, v10, 12, 11
	v_mov_b32_e32 v12, 0
	v_mov_b32_e32 v18, 0
	;; [unrolled: 1-line block ×14, first 2 shown]
	s_mov_b32 s3, 0
.LBB121_7:                              ; =>This Inner Loop Header: Depth=1
	v_ashrrev_i32_e32 v29, 31, v28
	v_mov_b32_e32 v44, v27
	v_lshlrev_b64 v[25:26], 2, v[28:29]
	v_add_nc_u32_e32 v28, 4, v28
	v_add_co_u32 v25, vcc_lo, s10, v25
	v_add_co_ci_u32_e64 v26, null, s11, v26, vcc_lo
	global_load_dword v11, v[25:26], off
	v_add_nc_u32_e32 v26, -11, v24
	v_lshlrev_b64 v[25:26], 4, v[26:27]
	v_add_co_u32 v47, vcc_lo, s12, v25
	v_add_co_ci_u32_e64 v48, null, s13, v26, vcc_lo
	s_clause 0x3
	global_load_dwordx4 v[31:34], v[47:48], off offset:32
	global_load_dwordx4 v[35:38], v[47:48], off offset:16
	global_load_dwordx4 v[39:42], v[47:48], off
	global_load_dwordx4 v[47:50], v[47:48], off offset:48
	s_waitcnt vmcnt(4)
	v_subrev_nc_u32_e32 v11, s2, v11
	v_lshlrev_b32_e32 v43, 2, v11
	v_lshlrev_b64 v[25:26], 4, v[43:44]
	v_add_co_u32 v91, vcc_lo, s14, v25
	v_add_co_ci_u32_e64 v92, null, s15, v26, vcc_lo
	v_add_nc_u32_e32 v26, -7, v24
	global_load_dwordx4 v[43:46], v[91:92], off
	v_lshlrev_b64 v[51:52], 4, v[26:27]
	v_add_nc_u32_e32 v26, -6, v24
	v_lshlrev_b64 v[25:26], 4, v[26:27]
	v_add_co_u32 v51, vcc_lo, s12, v51
	v_add_co_ci_u32_e64 v52, null, s13, v52, vcc_lo
	v_add_co_u32 v25, vcc_lo, s12, v25
	v_add_co_ci_u32_e64 v26, null, s13, v26, vcc_lo
	s_clause 0x1
	global_load_dwordx4 v[51:54], v[51:52], off
	global_load_dwordx4 v[55:58], v[25:26], off
	global_load_dwordx4 v[59:62], v[91:92], off offset:16
	v_add_nc_u32_e32 v26, -5, v24
	v_mov_b32_e32 v25, v27
	v_lshlrev_b64 v[63:64], 4, v[26:27]
	v_add_nc_u32_e32 v26, -4, v24
	v_lshlrev_b64 v[67:68], 4, v[26:27]
	v_add_nc_u32_e32 v26, -3, v24
	v_add_co_u32 v63, vcc_lo, s12, v63
	v_add_co_ci_u32_e64 v64, null, s13, v64, vcc_lo
	v_lshlrev_b64 v[69:70], 4, v[26:27]
	v_add_co_u32 v67, vcc_lo, s12, v67
	v_add_co_ci_u32_e64 v68, null, s13, v68, vcc_lo
	global_load_dwordx4 v[63:66], v[63:64], off
	v_add_co_u32 v71, vcc_lo, s12, v69
	v_add_co_ci_u32_e64 v72, null, s13, v70, vcc_lo
	s_clause 0x1
	global_load_dwordx4 v[67:70], v[67:68], off
	global_load_dwordx4 v[71:74], v[71:72], off
	global_load_dwordx4 v[75:78], v[91:92], off offset:32
	v_lshlrev_b64 v[25:26], 4, v[24:25]
	v_add_co_u32 v25, vcc_lo, s12, v25
	v_add_co_ci_u32_e64 v26, null, s13, v26, vcc_lo
	global_load_dwordx4 v[79:82], v[25:26], off
	v_add_nc_u32_e32 v26, -2, v24
	v_lshlrev_b64 v[83:84], 4, v[26:27]
	v_add_nc_u32_e32 v26, -1, v24
	v_add_nc_u32_e32 v24, 48, v24
	v_lshlrev_b64 v[25:26], 4, v[26:27]
	v_add_co_u32 v83, vcc_lo, s12, v83
	v_add_co_ci_u32_e64 v84, null, s13, v84, vcc_lo
	v_add_co_u32 v25, vcc_lo, s12, v25
	v_add_co_ci_u32_e64 v26, null, s13, v26, vcc_lo
	s_clause 0x1
	global_load_dwordx4 v[83:86], v[83:84], off
	global_load_dwordx4 v[87:90], v[25:26], off
	global_load_dwordx4 v[91:94], v[91:92], off offset:48
	v_cmp_ge_i32_e32 vcc_lo, v28, v30
	s_or_b32 s3, vcc_lo, s3
	s_waitcnt vmcnt(11)
	v_fma_f64 v[18:19], v[39:40], v[43:44], v[18:19]
	v_fma_f64 v[11:12], v[41:42], v[43:44], v[12:13]
	v_fma_f64 v[20:21], v[35:36], v[43:44], v[20:21]
	v_fma_f64 v[22:23], v[37:38], v[43:44], v[22:23]
	v_fma_f64 v[13:14], v[31:32], v[43:44], v[14:15]
	v_fma_f64 v[15:16], v[33:34], v[43:44], v[16:17]
	v_fma_f64 v[17:18], -v[41:42], v[45:46], v[18:19]
	v_fma_f64 v[11:12], v[39:40], v[45:46], v[11:12]
	v_fma_f64 v[19:20], -v[37:38], v[45:46], v[20:21]
	v_fma_f64 v[21:22], v[35:36], v[45:46], v[22:23]
	v_fma_f64 v[13:14], -v[33:34], v[45:46], v[13:14]
	v_fma_f64 v[15:16], v[31:32], v[45:46], v[15:16]
	s_waitcnt vmcnt(8)
	v_fma_f64 v[17:18], v[47:48], v[59:60], v[17:18]
	v_fma_f64 v[11:12], v[49:50], v[59:60], v[11:12]
	v_fma_f64 v[19:20], v[51:52], v[59:60], v[19:20]
	v_fma_f64 v[21:22], v[53:54], v[59:60], v[21:22]
	v_fma_f64 v[13:14], v[55:56], v[59:60], v[13:14]
	v_fma_f64 v[15:16], v[57:58], v[59:60], v[15:16]
	v_fma_f64 v[17:18], -v[49:50], v[61:62], v[17:18]
	v_fma_f64 v[11:12], v[47:48], v[61:62], v[11:12]
	v_fma_f64 v[19:20], -v[53:54], v[61:62], v[19:20]
	v_fma_f64 v[21:22], v[51:52], v[61:62], v[21:22]
	v_fma_f64 v[13:14], -v[57:58], v[61:62], v[13:14]
	v_fma_f64 v[15:16], v[55:56], v[61:62], v[15:16]
	;; [unrolled: 13-line block ×4, first 2 shown]
	s_andn2_b32 exec_lo, exec_lo, s3
	s_cbranch_execnz .LBB121_7
; %bb.8:
	s_or_b32 exec_lo, exec_lo, s3
.LBB121_9:
	s_or_b32 exec_lo, exec_lo, s1
	s_cbranch_execz .LBB121_11
	s_branch .LBB121_16
.LBB121_10:
                                        ; implicit-def: $vgpr12_vgpr13
                                        ; implicit-def: $vgpr18_vgpr19
                                        ; implicit-def: $vgpr14_vgpr15
                                        ; implicit-def: $vgpr16_vgpr17
                                        ; implicit-def: $vgpr20_vgpr21
                                        ; implicit-def: $vgpr22_vgpr23
.LBB121_11:
	v_mov_b32_e32 v12, 0
	v_mov_b32_e32 v18, 0
	;; [unrolled: 1-line block ×12, first 2 shown]
	s_and_saveexec_b32 s1, s0
	s_cbranch_execz .LBB121_15
; %bb.12:
	v_mad_u64_u32 v[24:25], null, v10, 12, 11
	v_mov_b32_e32 v12, 0
	v_mov_b32_e32 v18, 0
	;; [unrolled: 1-line block ×13, first 2 shown]
	s_mov_b32 s0, 0
.LBB121_13:                             ; =>This Inner Loop Header: Depth=1
	v_ashrrev_i32_e32 v11, 31, v10
	v_add_nc_u32_e32 v28, -7, v24
	v_mov_b32_e32 v29, v27
	v_add_nc_u32_e32 v31, -3, v24
	v_mov_b32_e32 v32, v27
	v_lshlrev_b64 v[25:26], 2, v[10:11]
	v_mov_b32_e32 v48, v27
	v_lshlrev_b64 v[28:29], 4, v[28:29]
	v_add_nc_u32_e32 v10, 4, v10
	v_lshlrev_b64 v[31:32], 4, v[31:32]
	v_add_co_u32 v25, vcc_lo, s10, v25
	v_add_co_ci_u32_e64 v26, null, s11, v26, vcc_lo
	global_load_dword v11, v[25:26], off
	v_add_nc_u32_e32 v26, -11, v24
	v_lshlrev_b64 v[25:26], 4, v[26:27]
	v_add_co_u32 v55, vcc_lo, s12, v25
	v_add_co_ci_u32_e64 v56, null, s13, v26, vcc_lo
	v_add_co_u32 v25, vcc_lo, s12, v28
	v_add_co_ci_u32_e64 v26, null, s13, v29, vcc_lo
	;; [unrolled: 2-line block ×3, first 2 shown]
	s_clause 0x3
	global_load_dwordx4 v[31:34], v[55:56], off offset:16
	global_load_dwordx4 v[35:38], v[55:56], off
	global_load_dwordx4 v[39:42], v[25:26], off
	;; [unrolled: 1-line block ×3, first 2 shown]
	s_waitcnt vmcnt(4)
	v_subrev_nc_u32_e32 v11, s2, v11
	v_lshlrev_b32_e32 v47, 2, v11
	v_lshlrev_b64 v[25:26], 4, v[47:48]
	v_add_co_u32 v28, vcc_lo, s14, v25
	v_add_co_ci_u32_e64 v29, null, s15, v26, vcc_lo
	v_add_nc_u32_e32 v26, -6, v24
	v_mov_b32_e32 v25, v27
	global_load_dwordx4 v[47:50], v[28:29], off
	v_lshlrev_b64 v[59:60], 4, v[26:27]
	v_add_nc_u32_e32 v26, -2, v24
	v_lshlrev_b64 v[51:52], 4, v[24:25]
	v_lshlrev_b64 v[61:62], 4, v[26:27]
	v_add_nc_u32_e32 v26, -5, v24
	v_add_co_u32 v83, vcc_lo, s12, v51
	v_add_co_ci_u32_e64 v84, null, s13, v52, vcc_lo
	v_add_co_u32 v59, vcc_lo, s12, v59
	v_add_co_ci_u32_e64 v60, null, s13, v60, vcc_lo
	v_add_co_u32 v25, vcc_lo, s12, v61
	v_lshlrev_b64 v[71:72], 4, v[26:27]
	v_add_co_ci_u32_e64 v26, null, s13, v62, vcc_lo
	s_clause 0x3
	global_load_dwordx4 v[51:54], v[55:56], off offset:48
	global_load_dwordx4 v[55:58], v[55:56], off offset:32
	global_load_dwordx4 v[59:62], v[59:60], off
	global_load_dwordx4 v[63:66], v[25:26], off
	global_load_dwordx4 v[67:70], v[28:29], off offset:16
	v_add_nc_u32_e32 v26, -1, v24
	v_add_co_u32 v71, vcc_lo, s12, v71
	v_add_co_ci_u32_e64 v72, null, s13, v72, vcc_lo
	v_lshlrev_b64 v[73:74], 4, v[26:27]
	v_add_nc_u32_e32 v26, -4, v24
	v_add_nc_u32_e32 v24, 48, v24
	v_add_co_u32 v75, vcc_lo, s12, v73
	v_add_co_ci_u32_e64 v76, null, s13, v74, vcc_lo
	s_clause 0x1
	global_load_dwordx4 v[71:74], v[71:72], off
	global_load_dwordx4 v[75:78], v[75:76], off
	global_load_dwordx4 v[79:82], v[28:29], off offset:32
	v_lshlrev_b64 v[25:26], 4, v[26:27]
	v_add_co_u32 v25, vcc_lo, s12, v25
	v_add_co_ci_u32_e64 v26, null, s13, v26, vcc_lo
	v_cmp_ge_i32_e32 vcc_lo, v10, v30
	s_or_b32 s0, vcc_lo, s0
	s_waitcnt vmcnt(8)
	v_fma_f64 v[18:19], v[35:36], v[47:48], v[18:19]
	v_fma_f64 v[11:12], v[37:38], v[47:48], v[12:13]
	;; [unrolled: 1-line block ×6, first 2 shown]
	v_fma_f64 v[18:19], -v[37:38], v[49:50], v[18:19]
	v_fma_f64 v[11:12], v[35:36], v[49:50], v[11:12]
	global_load_dwordx4 v[35:38], v[25:26], off
	v_fma_f64 v[20:21], -v[41:42], v[49:50], v[20:21]
	v_fma_f64 v[22:23], v[39:40], v[49:50], v[22:23]
	global_load_dwordx4 v[39:42], v[83:84], off
	global_load_dwordx4 v[83:86], v[28:29], off offset:48
	v_fma_f64 v[13:14], -v[45:46], v[49:50], v[13:14]
	v_fma_f64 v[15:16], v[43:44], v[49:50], v[15:16]
	s_waitcnt vmcnt(6)
	v_fma_f64 v[17:18], v[31:32], v[67:68], v[18:19]
	v_fma_f64 v[11:12], v[33:34], v[67:68], v[11:12]
	v_fma_f64 v[19:20], v[59:60], v[67:68], v[20:21]
	v_fma_f64 v[21:22], v[61:62], v[67:68], v[22:23]
	v_fma_f64 v[13:14], v[63:64], v[67:68], v[13:14]
	v_fma_f64 v[15:16], v[65:66], v[67:68], v[15:16]
	v_fma_f64 v[17:18], -v[33:34], v[69:70], v[17:18]
	v_fma_f64 v[11:12], v[31:32], v[69:70], v[11:12]
	v_fma_f64 v[19:20], -v[61:62], v[69:70], v[19:20]
	v_fma_f64 v[21:22], v[59:60], v[69:70], v[21:22]
	v_fma_f64 v[13:14], -v[65:66], v[69:70], v[13:14]
	v_fma_f64 v[15:16], v[63:64], v[69:70], v[15:16]
	s_waitcnt vmcnt(3)
	v_fma_f64 v[17:18], v[55:56], v[79:80], v[17:18]
	v_fma_f64 v[11:12], v[57:58], v[79:80], v[11:12]
	v_fma_f64 v[19:20], v[71:72], v[79:80], v[19:20]
	v_fma_f64 v[21:22], v[73:74], v[79:80], v[21:22]
	v_fma_f64 v[13:14], v[75:76], v[79:80], v[13:14]
	v_fma_f64 v[15:16], v[77:78], v[79:80], v[15:16]
	v_fma_f64 v[17:18], -v[57:58], v[81:82], v[17:18]
	v_fma_f64 v[11:12], v[55:56], v[81:82], v[11:12]
	v_fma_f64 v[19:20], -v[73:74], v[81:82], v[19:20]
	v_fma_f64 v[21:22], v[71:72], v[81:82], v[21:22]
	;; [unrolled: 13-line block ×3, first 2 shown]
	v_fma_f64 v[14:15], -v[41:42], v[85:86], v[28:29]
	v_fma_f64 v[16:17], v[39:40], v[85:86], v[31:32]
	s_andn2_b32 exec_lo, exec_lo, s0
	s_cbranch_execnz .LBB121_13
; %bb.14:
	s_or_b32 exec_lo, exec_lo, s0
.LBB121_15:
	s_or_b32 exec_lo, exec_lo, s1
.LBB121_16:
	v_mbcnt_lo_u32_b32 v34, -1, 0
	v_xor_b32_e32 v10, 2, v34
	v_cmp_gt_i32_e32 vcc_lo, 32, v10
	v_cndmask_b32_e32 v10, v34, v10, vcc_lo
	v_lshlrev_b32_e32 v33, 2, v10
	ds_bpermute_b32 v10, v33, v18
	ds_bpermute_b32 v11, v33, v19
	;; [unrolled: 1-line block ×12, first 2 shown]
	s_waitcnt lgkmcnt(10)
	v_add_f64 v[10:11], v[18:19], v[10:11]
	s_waitcnt lgkmcnt(8)
	v_add_f64 v[24:25], v[12:13], v[24:25]
	;; [unrolled: 2-line block ×3, first 2 shown]
	v_xor_b32_e32 v20, 1, v34
	s_waitcnt lgkmcnt(4)
	v_add_f64 v[18:19], v[22:23], v[28:29]
	s_waitcnt lgkmcnt(2)
	v_add_f64 v[14:15], v[14:15], v[30:31]
	;; [unrolled: 2-line block ×3, first 2 shown]
	v_cmp_gt_i32_e32 vcc_lo, 32, v20
	v_cndmask_b32_e32 v20, v34, v20, vcc_lo
	v_cmp_eq_u32_e32 vcc_lo, 3, v0
	v_lshlrev_b32_e32 v27, 2, v20
	ds_bpermute_b32 v32, v27, v10
	ds_bpermute_b32 v33, v27, v11
	;; [unrolled: 1-line block ×12, first 2 shown]
	s_and_b32 exec_lo, exec_lo, vcc_lo
	s_cbranch_execz .LBB121_21
; %bb.17:
	v_cmp_eq_f64_e32 vcc_lo, 0, v[5:6]
	v_cmp_eq_f64_e64 s0, 0, v[7:8]
	s_waitcnt lgkmcnt(10)
	v_add_f64 v[10:11], v[10:11], v[32:33]
	s_waitcnt lgkmcnt(8)
	v_add_f64 v[20:21], v[24:25], v[20:21]
	;; [unrolled: 2-line block ×6, first 2 shown]
	s_load_dwordx2 s[2:3], s[4:5], 0x48
	s_and_b32 s0, vcc_lo, s0
	s_and_saveexec_b32 s1, s0
	s_xor_b32 s0, exec_lo, s1
	s_cbranch_execz .LBB121_19
; %bb.18:
	v_mul_f64 v[5:6], v[20:21], -v[3:4]
	v_mul_f64 v[7:8], v[1:2], v[20:21]
	v_mul_f64 v[20:21], v[18:19], -v[3:4]
	v_mul_f64 v[18:19], v[1:2], v[18:19]
	;; [unrolled: 2-line block ×3, first 2 shown]
	v_lshl_add_u32 v24, v9, 1, v9
	v_ashrrev_i32_e32 v25, 31, v24
	v_fma_f64 v[5:6], v[1:2], v[10:11], v[5:6]
	v_fma_f64 v[7:8], v[3:4], v[10:11], v[7:8]
	;; [unrolled: 1-line block ×6, first 2 shown]
	v_lshlrev_b64 v[13:14], 4, v[24:25]
                                        ; implicit-def: $vgpr20_vgpr21
                                        ; implicit-def: $vgpr18_vgpr19
                                        ; implicit-def: $vgpr16_vgpr17
	s_waitcnt lgkmcnt(0)
	v_add_co_u32 v13, vcc_lo, s2, v13
	v_add_co_ci_u32_e64 v14, null, s3, v14, vcc_lo
	global_store_dwordx4 v[13:14], v[5:8], off
	global_store_dwordx4 v[13:14], v[9:12], off offset:16
	global_store_dwordx4 v[13:14], v[0:3], off offset:32
                                        ; implicit-def: $vgpr9
                                        ; implicit-def: $vgpr10_vgpr11
                                        ; implicit-def: $vgpr12_vgpr13
                                        ; implicit-def: $vgpr14_vgpr15
                                        ; implicit-def: $vgpr7_vgpr8
                                        ; implicit-def: $vgpr3_vgpr4
.LBB121_19:
	s_andn2_saveexec_b32 s0, s0
	s_cbranch_execz .LBB121_21
; %bb.20:
	v_lshl_add_u32 v22, v9, 1, v9
	v_mul_f64 v[36:37], v[20:21], -v[3:4]
	v_mul_f64 v[20:21], v[1:2], v[20:21]
	v_mul_f64 v[38:39], v[18:19], -v[3:4]
	v_mul_f64 v[18:19], v[1:2], v[18:19]
	v_ashrrev_i32_e32 v23, 31, v22
	v_mul_f64 v[40:41], v[16:17], -v[3:4]
	v_mul_f64 v[16:17], v[1:2], v[16:17]
	v_lshlrev_b64 v[22:23], 4, v[22:23]
	s_waitcnt lgkmcnt(0)
	v_add_co_u32 v34, vcc_lo, s2, v22
	v_add_co_ci_u32_e64 v35, null, s3, v23, vcc_lo
	s_clause 0x2
	global_load_dwordx4 v[22:25], v[34:35], off
	global_load_dwordx4 v[26:29], v[34:35], off offset:16
	global_load_dwordx4 v[30:33], v[34:35], off offset:32
	v_fma_f64 v[36:37], v[1:2], v[10:11], v[36:37]
	v_fma_f64 v[9:10], v[3:4], v[10:11], v[20:21]
	;; [unrolled: 1-line block ×6, first 2 shown]
	s_waitcnt vmcnt(2)
	v_fma_f64 v[13:14], v[5:6], v[22:23], v[36:37]
	v_fma_f64 v[9:10], v[7:8], v[22:23], v[9:10]
	s_waitcnt vmcnt(1)
	v_fma_f64 v[15:16], v[5:6], v[26:27], v[20:21]
	v_fma_f64 v[11:12], v[7:8], v[26:27], v[11:12]
	;; [unrolled: 3-line block ×3, first 2 shown]
	v_fma_f64 v[0:1], -v[7:8], v[24:25], v[13:14]
	v_fma_f64 v[2:3], v[5:6], v[24:25], v[9:10]
	v_fma_f64 v[9:10], -v[7:8], v[28:29], v[15:16]
	v_fma_f64 v[11:12], v[5:6], v[28:29], v[11:12]
	;; [unrolled: 2-line block ×3, first 2 shown]
	global_store_dwordx4 v[34:35], v[0:3], off
	global_store_dwordx4 v[34:35], v[9:12], off offset:16
	global_store_dwordx4 v[34:35], v[13:16], off offset:32
.LBB121_21:
	s_endpgm
	.section	.rodata,"a",@progbits
	.p2align	6, 0x0
	.amdhsa_kernel _ZN9rocsparseL19gebsrmvn_3xn_kernelILj128ELj4ELj4E21rocsparse_complex_numIdEEEvi20rocsparse_direction_NS_24const_host_device_scalarIT2_EEPKiS8_PKS5_SA_S6_PS5_21rocsparse_index_base_b
		.amdhsa_group_segment_fixed_size 0
		.amdhsa_private_segment_fixed_size 0
		.amdhsa_kernarg_size 88
		.amdhsa_user_sgpr_count 6
		.amdhsa_user_sgpr_private_segment_buffer 1
		.amdhsa_user_sgpr_dispatch_ptr 0
		.amdhsa_user_sgpr_queue_ptr 0
		.amdhsa_user_sgpr_kernarg_segment_ptr 1
		.amdhsa_user_sgpr_dispatch_id 0
		.amdhsa_user_sgpr_flat_scratch_init 0
		.amdhsa_user_sgpr_private_segment_size 0
		.amdhsa_wavefront_size32 1
		.amdhsa_uses_dynamic_stack 0
		.amdhsa_system_sgpr_private_segment_wavefront_offset 0
		.amdhsa_system_sgpr_workgroup_id_x 1
		.amdhsa_system_sgpr_workgroup_id_y 0
		.amdhsa_system_sgpr_workgroup_id_z 0
		.amdhsa_system_sgpr_workgroup_info 0
		.amdhsa_system_vgpr_workitem_id 0
		.amdhsa_next_free_vgpr 95
		.amdhsa_next_free_sgpr 16
		.amdhsa_reserve_vcc 1
		.amdhsa_reserve_flat_scratch 0
		.amdhsa_float_round_mode_32 0
		.amdhsa_float_round_mode_16_64 0
		.amdhsa_float_denorm_mode_32 3
		.amdhsa_float_denorm_mode_16_64 3
		.amdhsa_dx10_clamp 1
		.amdhsa_ieee_mode 1
		.amdhsa_fp16_overflow 0
		.amdhsa_workgroup_processor_mode 1
		.amdhsa_memory_ordered 1
		.amdhsa_forward_progress 1
		.amdhsa_shared_vgpr_count 0
		.amdhsa_exception_fp_ieee_invalid_op 0
		.amdhsa_exception_fp_denorm_src 0
		.amdhsa_exception_fp_ieee_div_zero 0
		.amdhsa_exception_fp_ieee_overflow 0
		.amdhsa_exception_fp_ieee_underflow 0
		.amdhsa_exception_fp_ieee_inexact 0
		.amdhsa_exception_int_div_zero 0
	.end_amdhsa_kernel
	.section	.text._ZN9rocsparseL19gebsrmvn_3xn_kernelILj128ELj4ELj4E21rocsparse_complex_numIdEEEvi20rocsparse_direction_NS_24const_host_device_scalarIT2_EEPKiS8_PKS5_SA_S6_PS5_21rocsparse_index_base_b,"axG",@progbits,_ZN9rocsparseL19gebsrmvn_3xn_kernelILj128ELj4ELj4E21rocsparse_complex_numIdEEEvi20rocsparse_direction_NS_24const_host_device_scalarIT2_EEPKiS8_PKS5_SA_S6_PS5_21rocsparse_index_base_b,comdat
.Lfunc_end121:
	.size	_ZN9rocsparseL19gebsrmvn_3xn_kernelILj128ELj4ELj4E21rocsparse_complex_numIdEEEvi20rocsparse_direction_NS_24const_host_device_scalarIT2_EEPKiS8_PKS5_SA_S6_PS5_21rocsparse_index_base_b, .Lfunc_end121-_ZN9rocsparseL19gebsrmvn_3xn_kernelILj128ELj4ELj4E21rocsparse_complex_numIdEEEvi20rocsparse_direction_NS_24const_host_device_scalarIT2_EEPKiS8_PKS5_SA_S6_PS5_21rocsparse_index_base_b
                                        ; -- End function
	.set _ZN9rocsparseL19gebsrmvn_3xn_kernelILj128ELj4ELj4E21rocsparse_complex_numIdEEEvi20rocsparse_direction_NS_24const_host_device_scalarIT2_EEPKiS8_PKS5_SA_S6_PS5_21rocsparse_index_base_b.num_vgpr, 95
	.set _ZN9rocsparseL19gebsrmvn_3xn_kernelILj128ELj4ELj4E21rocsparse_complex_numIdEEEvi20rocsparse_direction_NS_24const_host_device_scalarIT2_EEPKiS8_PKS5_SA_S6_PS5_21rocsparse_index_base_b.num_agpr, 0
	.set _ZN9rocsparseL19gebsrmvn_3xn_kernelILj128ELj4ELj4E21rocsparse_complex_numIdEEEvi20rocsparse_direction_NS_24const_host_device_scalarIT2_EEPKiS8_PKS5_SA_S6_PS5_21rocsparse_index_base_b.numbered_sgpr, 16
	.set _ZN9rocsparseL19gebsrmvn_3xn_kernelILj128ELj4ELj4E21rocsparse_complex_numIdEEEvi20rocsparse_direction_NS_24const_host_device_scalarIT2_EEPKiS8_PKS5_SA_S6_PS5_21rocsparse_index_base_b.num_named_barrier, 0
	.set _ZN9rocsparseL19gebsrmvn_3xn_kernelILj128ELj4ELj4E21rocsparse_complex_numIdEEEvi20rocsparse_direction_NS_24const_host_device_scalarIT2_EEPKiS8_PKS5_SA_S6_PS5_21rocsparse_index_base_b.private_seg_size, 0
	.set _ZN9rocsparseL19gebsrmvn_3xn_kernelILj128ELj4ELj4E21rocsparse_complex_numIdEEEvi20rocsparse_direction_NS_24const_host_device_scalarIT2_EEPKiS8_PKS5_SA_S6_PS5_21rocsparse_index_base_b.uses_vcc, 1
	.set _ZN9rocsparseL19gebsrmvn_3xn_kernelILj128ELj4ELj4E21rocsparse_complex_numIdEEEvi20rocsparse_direction_NS_24const_host_device_scalarIT2_EEPKiS8_PKS5_SA_S6_PS5_21rocsparse_index_base_b.uses_flat_scratch, 0
	.set _ZN9rocsparseL19gebsrmvn_3xn_kernelILj128ELj4ELj4E21rocsparse_complex_numIdEEEvi20rocsparse_direction_NS_24const_host_device_scalarIT2_EEPKiS8_PKS5_SA_S6_PS5_21rocsparse_index_base_b.has_dyn_sized_stack, 0
	.set _ZN9rocsparseL19gebsrmvn_3xn_kernelILj128ELj4ELj4E21rocsparse_complex_numIdEEEvi20rocsparse_direction_NS_24const_host_device_scalarIT2_EEPKiS8_PKS5_SA_S6_PS5_21rocsparse_index_base_b.has_recursion, 0
	.set _ZN9rocsparseL19gebsrmvn_3xn_kernelILj128ELj4ELj4E21rocsparse_complex_numIdEEEvi20rocsparse_direction_NS_24const_host_device_scalarIT2_EEPKiS8_PKS5_SA_S6_PS5_21rocsparse_index_base_b.has_indirect_call, 0
	.section	.AMDGPU.csdata,"",@progbits
; Kernel info:
; codeLenInByte = 3244
; TotalNumSgprs: 18
; NumVgprs: 95
; ScratchSize: 0
; MemoryBound: 0
; FloatMode: 240
; IeeeMode: 1
; LDSByteSize: 0 bytes/workgroup (compile time only)
; SGPRBlocks: 0
; VGPRBlocks: 11
; NumSGPRsForWavesPerEU: 18
; NumVGPRsForWavesPerEU: 95
; Occupancy: 10
; WaveLimiterHint : 1
; COMPUTE_PGM_RSRC2:SCRATCH_EN: 0
; COMPUTE_PGM_RSRC2:USER_SGPR: 6
; COMPUTE_PGM_RSRC2:TRAP_HANDLER: 0
; COMPUTE_PGM_RSRC2:TGID_X_EN: 1
; COMPUTE_PGM_RSRC2:TGID_Y_EN: 0
; COMPUTE_PGM_RSRC2:TGID_Z_EN: 0
; COMPUTE_PGM_RSRC2:TIDIG_COMP_CNT: 0
	.section	.text._ZN9rocsparseL19gebsrmvn_3xn_kernelILj128ELj4ELj8E21rocsparse_complex_numIdEEEvi20rocsparse_direction_NS_24const_host_device_scalarIT2_EEPKiS8_PKS5_SA_S6_PS5_21rocsparse_index_base_b,"axG",@progbits,_ZN9rocsparseL19gebsrmvn_3xn_kernelILj128ELj4ELj8E21rocsparse_complex_numIdEEEvi20rocsparse_direction_NS_24const_host_device_scalarIT2_EEPKiS8_PKS5_SA_S6_PS5_21rocsparse_index_base_b,comdat
	.globl	_ZN9rocsparseL19gebsrmvn_3xn_kernelILj128ELj4ELj8E21rocsparse_complex_numIdEEEvi20rocsparse_direction_NS_24const_host_device_scalarIT2_EEPKiS8_PKS5_SA_S6_PS5_21rocsparse_index_base_b ; -- Begin function _ZN9rocsparseL19gebsrmvn_3xn_kernelILj128ELj4ELj8E21rocsparse_complex_numIdEEEvi20rocsparse_direction_NS_24const_host_device_scalarIT2_EEPKiS8_PKS5_SA_S6_PS5_21rocsparse_index_base_b
	.p2align	8
	.type	_ZN9rocsparseL19gebsrmvn_3xn_kernelILj128ELj4ELj8E21rocsparse_complex_numIdEEEvi20rocsparse_direction_NS_24const_host_device_scalarIT2_EEPKiS8_PKS5_SA_S6_PS5_21rocsparse_index_base_b,@function
_ZN9rocsparseL19gebsrmvn_3xn_kernelILj128ELj4ELj8E21rocsparse_complex_numIdEEEvi20rocsparse_direction_NS_24const_host_device_scalarIT2_EEPKiS8_PKS5_SA_S6_PS5_21rocsparse_index_base_b: ; @_ZN9rocsparseL19gebsrmvn_3xn_kernelILj128ELj4ELj8E21rocsparse_complex_numIdEEEvi20rocsparse_direction_NS_24const_host_device_scalarIT2_EEPKiS8_PKS5_SA_S6_PS5_21rocsparse_index_base_b
; %bb.0:
	s_clause 0x1
	s_load_dwordx2 s[2:3], s[4:5], 0x50
	s_load_dwordx2 s[0:1], s[4:5], 0x8
	s_add_u32 s7, s4, 8
	s_addc_u32 s10, s5, 0
	s_add_u32 s11, s4, 56
	s_addc_u32 s12, s5, 0
	s_load_dwordx2 s[8:9], s[4:5], 0x38
	s_waitcnt lgkmcnt(0)
	s_bitcmp1_b32 s3, 0
	s_cselect_b32 s0, s7, s0
	s_cselect_b32 s1, s10, s1
	v_mov_b32_e32 v1, s0
	v_mov_b32_e32 v2, s1
	s_cselect_b32 s0, s11, s8
	s_cselect_b32 s1, s12, s9
	v_mov_b32_e32 v5, s0
	v_mov_b32_e32 v6, s1
	flat_load_dwordx4 v[1:4], v[1:2]
	flat_load_dwordx4 v[5:8], v[5:6]
	s_waitcnt vmcnt(1) lgkmcnt(1)
	v_cmp_eq_f64_e32 vcc_lo, 0, v[1:2]
	v_cmp_eq_f64_e64 s0, 0, v[3:4]
	s_and_b32 s3, vcc_lo, s0
	s_mov_b32 s0, -1
	s_and_saveexec_b32 s1, s3
	s_cbranch_execz .LBB122_2
; %bb.1:
	s_waitcnt vmcnt(0) lgkmcnt(0)
	v_cmp_neq_f64_e32 vcc_lo, 1.0, v[5:6]
	v_cmp_neq_f64_e64 s0, 0, v[7:8]
	s_or_b32 s0, vcc_lo, s0
	s_orn2_b32 s0, s0, exec_lo
.LBB122_2:
	s_or_b32 exec_lo, exec_lo, s1
	s_and_saveexec_b32 s1, s0
	s_cbranch_execz .LBB122_21
; %bb.3:
	s_load_dwordx2 s[0:1], s[4:5], 0x0
	v_lshrrev_b32_e32 v9, 3, v0
	v_lshl_or_b32 v9, s6, 4, v9
	s_waitcnt lgkmcnt(0)
	v_cmp_gt_i32_e32 vcc_lo, s0, v9
	s_and_b32 exec_lo, exec_lo, vcc_lo
	s_cbranch_execz .LBB122_21
; %bb.4:
	s_load_dwordx8 s[8:15], s[4:5], 0x18
	v_ashrrev_i32_e32 v10, 31, v9
	v_and_b32_e32 v0, 7, v0
	s_cmp_lg_u32 s1, 0
	v_lshlrev_b64 v[10:11], 2, v[9:10]
	s_waitcnt lgkmcnt(0)
	v_add_co_u32 v10, vcc_lo, s8, v10
	v_add_co_ci_u32_e64 v11, null, s9, v11, vcc_lo
	global_load_dwordx2 v[10:11], v[10:11], off
	s_waitcnt vmcnt(0)
	v_subrev_nc_u32_e32 v10, s2, v10
	v_subrev_nc_u32_e32 v30, s2, v11
	v_add_nc_u32_e32 v10, v10, v0
	v_cmp_lt_i32_e64 s0, v10, v30
	s_cbranch_scc0 .LBB122_10
; %bb.5:
	v_mov_b32_e32 v12, 0
	v_mov_b32_e32 v18, 0
	;; [unrolled: 1-line block ×12, first 2 shown]
	s_and_saveexec_b32 s1, s0
	s_cbranch_execz .LBB122_9
; %bb.6:
	v_mad_u64_u32 v[24:25], null, v10, 12, 11
	v_mov_b32_e32 v12, 0
	v_mov_b32_e32 v18, 0
	v_mov_b32_e32 v14, 0
	v_mov_b32_e32 v16, 0
	v_mov_b32_e32 v20, 0
	v_mov_b32_e32 v22, 0
	v_mov_b32_e32 v13, 0
	v_mov_b32_e32 v27, 0
	v_mov_b32_e32 v19, 0
	v_mov_b32_e32 v15, 0
	v_mov_b32_e32 v17, 0
	v_mov_b32_e32 v21, 0
	v_mov_b32_e32 v23, 0
	v_mov_b32_e32 v28, v10
	s_mov_b32 s3, 0
.LBB122_7:                              ; =>This Inner Loop Header: Depth=1
	v_ashrrev_i32_e32 v29, 31, v28
	v_mov_b32_e32 v44, v27
	v_lshlrev_b64 v[25:26], 2, v[28:29]
	v_add_nc_u32_e32 v28, 8, v28
	v_add_co_u32 v25, vcc_lo, s10, v25
	v_add_co_ci_u32_e64 v26, null, s11, v26, vcc_lo
	global_load_dword v11, v[25:26], off
	v_add_nc_u32_e32 v26, -11, v24
	v_lshlrev_b64 v[25:26], 4, v[26:27]
	v_add_co_u32 v47, vcc_lo, s12, v25
	v_add_co_ci_u32_e64 v48, null, s13, v26, vcc_lo
	s_clause 0x3
	global_load_dwordx4 v[31:34], v[47:48], off offset:32
	global_load_dwordx4 v[35:38], v[47:48], off offset:16
	global_load_dwordx4 v[39:42], v[47:48], off
	global_load_dwordx4 v[47:50], v[47:48], off offset:48
	s_waitcnt vmcnt(4)
	v_subrev_nc_u32_e32 v11, s2, v11
	v_lshlrev_b32_e32 v43, 2, v11
	v_lshlrev_b64 v[25:26], 4, v[43:44]
	v_add_co_u32 v91, vcc_lo, s14, v25
	v_add_co_ci_u32_e64 v92, null, s15, v26, vcc_lo
	v_add_nc_u32_e32 v26, -7, v24
	global_load_dwordx4 v[43:46], v[91:92], off
	v_lshlrev_b64 v[51:52], 4, v[26:27]
	v_add_nc_u32_e32 v26, -6, v24
	v_lshlrev_b64 v[25:26], 4, v[26:27]
	v_add_co_u32 v51, vcc_lo, s12, v51
	v_add_co_ci_u32_e64 v52, null, s13, v52, vcc_lo
	v_add_co_u32 v25, vcc_lo, s12, v25
	v_add_co_ci_u32_e64 v26, null, s13, v26, vcc_lo
	s_clause 0x1
	global_load_dwordx4 v[51:54], v[51:52], off
	global_load_dwordx4 v[55:58], v[25:26], off
	global_load_dwordx4 v[59:62], v[91:92], off offset:16
	v_add_nc_u32_e32 v26, -5, v24
	v_mov_b32_e32 v25, v27
	v_lshlrev_b64 v[63:64], 4, v[26:27]
	v_add_nc_u32_e32 v26, -4, v24
	v_lshlrev_b64 v[67:68], 4, v[26:27]
	v_add_nc_u32_e32 v26, -3, v24
	v_add_co_u32 v63, vcc_lo, s12, v63
	v_add_co_ci_u32_e64 v64, null, s13, v64, vcc_lo
	v_lshlrev_b64 v[69:70], 4, v[26:27]
	v_add_co_u32 v67, vcc_lo, s12, v67
	v_add_co_ci_u32_e64 v68, null, s13, v68, vcc_lo
	global_load_dwordx4 v[63:66], v[63:64], off
	v_add_co_u32 v71, vcc_lo, s12, v69
	v_add_co_ci_u32_e64 v72, null, s13, v70, vcc_lo
	s_clause 0x1
	global_load_dwordx4 v[67:70], v[67:68], off
	global_load_dwordx4 v[71:74], v[71:72], off
	global_load_dwordx4 v[75:78], v[91:92], off offset:32
	v_lshlrev_b64 v[25:26], 4, v[24:25]
	v_add_co_u32 v25, vcc_lo, s12, v25
	v_add_co_ci_u32_e64 v26, null, s13, v26, vcc_lo
	global_load_dwordx4 v[79:82], v[25:26], off
	v_add_nc_u32_e32 v26, -2, v24
	v_lshlrev_b64 v[83:84], 4, v[26:27]
	v_add_nc_u32_e32 v26, -1, v24
	v_add_nc_u32_e32 v24, 0x60, v24
	v_lshlrev_b64 v[25:26], 4, v[26:27]
	v_add_co_u32 v83, vcc_lo, s12, v83
	v_add_co_ci_u32_e64 v84, null, s13, v84, vcc_lo
	v_add_co_u32 v25, vcc_lo, s12, v25
	v_add_co_ci_u32_e64 v26, null, s13, v26, vcc_lo
	s_clause 0x1
	global_load_dwordx4 v[83:86], v[83:84], off
	global_load_dwordx4 v[87:90], v[25:26], off
	global_load_dwordx4 v[91:94], v[91:92], off offset:48
	v_cmp_ge_i32_e32 vcc_lo, v28, v30
	s_or_b32 s3, vcc_lo, s3
	s_waitcnt vmcnt(11)
	v_fma_f64 v[18:19], v[39:40], v[43:44], v[18:19]
	v_fma_f64 v[11:12], v[41:42], v[43:44], v[12:13]
	v_fma_f64 v[20:21], v[35:36], v[43:44], v[20:21]
	v_fma_f64 v[22:23], v[37:38], v[43:44], v[22:23]
	v_fma_f64 v[13:14], v[31:32], v[43:44], v[14:15]
	v_fma_f64 v[15:16], v[33:34], v[43:44], v[16:17]
	v_fma_f64 v[17:18], -v[41:42], v[45:46], v[18:19]
	v_fma_f64 v[11:12], v[39:40], v[45:46], v[11:12]
	v_fma_f64 v[19:20], -v[37:38], v[45:46], v[20:21]
	v_fma_f64 v[21:22], v[35:36], v[45:46], v[22:23]
	v_fma_f64 v[13:14], -v[33:34], v[45:46], v[13:14]
	v_fma_f64 v[15:16], v[31:32], v[45:46], v[15:16]
	s_waitcnt vmcnt(8)
	v_fma_f64 v[17:18], v[47:48], v[59:60], v[17:18]
	v_fma_f64 v[11:12], v[49:50], v[59:60], v[11:12]
	v_fma_f64 v[19:20], v[51:52], v[59:60], v[19:20]
	v_fma_f64 v[21:22], v[53:54], v[59:60], v[21:22]
	v_fma_f64 v[13:14], v[55:56], v[59:60], v[13:14]
	v_fma_f64 v[15:16], v[57:58], v[59:60], v[15:16]
	v_fma_f64 v[17:18], -v[49:50], v[61:62], v[17:18]
	v_fma_f64 v[11:12], v[47:48], v[61:62], v[11:12]
	v_fma_f64 v[19:20], -v[53:54], v[61:62], v[19:20]
	v_fma_f64 v[21:22], v[51:52], v[61:62], v[21:22]
	v_fma_f64 v[13:14], -v[57:58], v[61:62], v[13:14]
	v_fma_f64 v[15:16], v[55:56], v[61:62], v[15:16]
	;; [unrolled: 13-line block ×4, first 2 shown]
	s_andn2_b32 exec_lo, exec_lo, s3
	s_cbranch_execnz .LBB122_7
; %bb.8:
	s_or_b32 exec_lo, exec_lo, s3
.LBB122_9:
	s_or_b32 exec_lo, exec_lo, s1
	s_cbranch_execz .LBB122_11
	s_branch .LBB122_16
.LBB122_10:
                                        ; implicit-def: $vgpr12_vgpr13
                                        ; implicit-def: $vgpr18_vgpr19
                                        ; implicit-def: $vgpr14_vgpr15
                                        ; implicit-def: $vgpr16_vgpr17
                                        ; implicit-def: $vgpr20_vgpr21
                                        ; implicit-def: $vgpr22_vgpr23
.LBB122_11:
	v_mov_b32_e32 v12, 0
	v_mov_b32_e32 v18, 0
	;; [unrolled: 1-line block ×12, first 2 shown]
	s_and_saveexec_b32 s1, s0
	s_cbranch_execz .LBB122_15
; %bb.12:
	v_mad_u64_u32 v[24:25], null, v10, 12, 11
	v_mov_b32_e32 v12, 0
	v_mov_b32_e32 v18, 0
	;; [unrolled: 1-line block ×13, first 2 shown]
	s_mov_b32 s0, 0
.LBB122_13:                             ; =>This Inner Loop Header: Depth=1
	v_ashrrev_i32_e32 v11, 31, v10
	v_add_nc_u32_e32 v28, -7, v24
	v_mov_b32_e32 v29, v27
	v_add_nc_u32_e32 v31, -3, v24
	v_mov_b32_e32 v32, v27
	v_lshlrev_b64 v[25:26], 2, v[10:11]
	v_mov_b32_e32 v48, v27
	v_lshlrev_b64 v[28:29], 4, v[28:29]
	v_add_nc_u32_e32 v10, 8, v10
	v_lshlrev_b64 v[31:32], 4, v[31:32]
	v_add_co_u32 v25, vcc_lo, s10, v25
	v_add_co_ci_u32_e64 v26, null, s11, v26, vcc_lo
	global_load_dword v11, v[25:26], off
	v_add_nc_u32_e32 v26, -11, v24
	v_lshlrev_b64 v[25:26], 4, v[26:27]
	v_add_co_u32 v55, vcc_lo, s12, v25
	v_add_co_ci_u32_e64 v56, null, s13, v26, vcc_lo
	v_add_co_u32 v25, vcc_lo, s12, v28
	v_add_co_ci_u32_e64 v26, null, s13, v29, vcc_lo
	v_add_co_u32 v28, vcc_lo, s12, v31
	v_add_co_ci_u32_e64 v29, null, s13, v32, vcc_lo
	s_clause 0x3
	global_load_dwordx4 v[31:34], v[55:56], off offset:16
	global_load_dwordx4 v[35:38], v[55:56], off
	global_load_dwordx4 v[39:42], v[25:26], off
	;; [unrolled: 1-line block ×3, first 2 shown]
	s_waitcnt vmcnt(4)
	v_subrev_nc_u32_e32 v11, s2, v11
	v_lshlrev_b32_e32 v47, 2, v11
	v_lshlrev_b64 v[25:26], 4, v[47:48]
	v_add_co_u32 v28, vcc_lo, s14, v25
	v_add_co_ci_u32_e64 v29, null, s15, v26, vcc_lo
	v_add_nc_u32_e32 v26, -6, v24
	v_mov_b32_e32 v25, v27
	global_load_dwordx4 v[47:50], v[28:29], off
	v_lshlrev_b64 v[59:60], 4, v[26:27]
	v_add_nc_u32_e32 v26, -2, v24
	v_lshlrev_b64 v[51:52], 4, v[24:25]
	v_lshlrev_b64 v[61:62], 4, v[26:27]
	v_add_nc_u32_e32 v26, -5, v24
	v_add_co_u32 v83, vcc_lo, s12, v51
	v_add_co_ci_u32_e64 v84, null, s13, v52, vcc_lo
	v_add_co_u32 v59, vcc_lo, s12, v59
	v_add_co_ci_u32_e64 v60, null, s13, v60, vcc_lo
	v_add_co_u32 v25, vcc_lo, s12, v61
	v_lshlrev_b64 v[71:72], 4, v[26:27]
	v_add_co_ci_u32_e64 v26, null, s13, v62, vcc_lo
	s_clause 0x3
	global_load_dwordx4 v[51:54], v[55:56], off offset:48
	global_load_dwordx4 v[55:58], v[55:56], off offset:32
	global_load_dwordx4 v[59:62], v[59:60], off
	global_load_dwordx4 v[63:66], v[25:26], off
	global_load_dwordx4 v[67:70], v[28:29], off offset:16
	v_add_nc_u32_e32 v26, -1, v24
	v_add_co_u32 v71, vcc_lo, s12, v71
	v_add_co_ci_u32_e64 v72, null, s13, v72, vcc_lo
	v_lshlrev_b64 v[73:74], 4, v[26:27]
	v_add_nc_u32_e32 v26, -4, v24
	v_add_nc_u32_e32 v24, 0x60, v24
	v_add_co_u32 v75, vcc_lo, s12, v73
	v_add_co_ci_u32_e64 v76, null, s13, v74, vcc_lo
	s_clause 0x1
	global_load_dwordx4 v[71:74], v[71:72], off
	global_load_dwordx4 v[75:78], v[75:76], off
	global_load_dwordx4 v[79:82], v[28:29], off offset:32
	v_lshlrev_b64 v[25:26], 4, v[26:27]
	v_add_co_u32 v25, vcc_lo, s12, v25
	v_add_co_ci_u32_e64 v26, null, s13, v26, vcc_lo
	v_cmp_ge_i32_e32 vcc_lo, v10, v30
	s_or_b32 s0, vcc_lo, s0
	s_waitcnt vmcnt(8)
	v_fma_f64 v[18:19], v[35:36], v[47:48], v[18:19]
	v_fma_f64 v[11:12], v[37:38], v[47:48], v[12:13]
	v_fma_f64 v[20:21], v[39:40], v[47:48], v[20:21]
	v_fma_f64 v[22:23], v[41:42], v[47:48], v[22:23]
	v_fma_f64 v[13:14], v[43:44], v[47:48], v[14:15]
	v_fma_f64 v[15:16], v[45:46], v[47:48], v[16:17]
	v_fma_f64 v[18:19], -v[37:38], v[49:50], v[18:19]
	v_fma_f64 v[11:12], v[35:36], v[49:50], v[11:12]
	global_load_dwordx4 v[35:38], v[25:26], off
	v_fma_f64 v[20:21], -v[41:42], v[49:50], v[20:21]
	v_fma_f64 v[22:23], v[39:40], v[49:50], v[22:23]
	global_load_dwordx4 v[39:42], v[83:84], off
	global_load_dwordx4 v[83:86], v[28:29], off offset:48
	v_fma_f64 v[13:14], -v[45:46], v[49:50], v[13:14]
	v_fma_f64 v[15:16], v[43:44], v[49:50], v[15:16]
	s_waitcnt vmcnt(6)
	v_fma_f64 v[17:18], v[31:32], v[67:68], v[18:19]
	v_fma_f64 v[11:12], v[33:34], v[67:68], v[11:12]
	v_fma_f64 v[19:20], v[59:60], v[67:68], v[20:21]
	v_fma_f64 v[21:22], v[61:62], v[67:68], v[22:23]
	v_fma_f64 v[13:14], v[63:64], v[67:68], v[13:14]
	v_fma_f64 v[15:16], v[65:66], v[67:68], v[15:16]
	v_fma_f64 v[17:18], -v[33:34], v[69:70], v[17:18]
	v_fma_f64 v[11:12], v[31:32], v[69:70], v[11:12]
	v_fma_f64 v[19:20], -v[61:62], v[69:70], v[19:20]
	v_fma_f64 v[21:22], v[59:60], v[69:70], v[21:22]
	v_fma_f64 v[13:14], -v[65:66], v[69:70], v[13:14]
	v_fma_f64 v[15:16], v[63:64], v[69:70], v[15:16]
	s_waitcnt vmcnt(3)
	v_fma_f64 v[17:18], v[55:56], v[79:80], v[17:18]
	v_fma_f64 v[11:12], v[57:58], v[79:80], v[11:12]
	v_fma_f64 v[19:20], v[71:72], v[79:80], v[19:20]
	v_fma_f64 v[21:22], v[73:74], v[79:80], v[21:22]
	v_fma_f64 v[13:14], v[75:76], v[79:80], v[13:14]
	v_fma_f64 v[15:16], v[77:78], v[79:80], v[15:16]
	v_fma_f64 v[17:18], -v[57:58], v[81:82], v[17:18]
	v_fma_f64 v[11:12], v[55:56], v[81:82], v[11:12]
	v_fma_f64 v[19:20], -v[73:74], v[81:82], v[19:20]
	v_fma_f64 v[21:22], v[71:72], v[81:82], v[21:22]
	;; [unrolled: 13-line block ×3, first 2 shown]
	v_fma_f64 v[14:15], -v[41:42], v[85:86], v[28:29]
	v_fma_f64 v[16:17], v[39:40], v[85:86], v[31:32]
	s_andn2_b32 exec_lo, exec_lo, s0
	s_cbranch_execnz .LBB122_13
; %bb.14:
	s_or_b32 exec_lo, exec_lo, s0
.LBB122_15:
	s_or_b32 exec_lo, exec_lo, s1
.LBB122_16:
	v_mbcnt_lo_u32_b32 v34, -1, 0
	v_xor_b32_e32 v10, 4, v34
	v_cmp_gt_i32_e32 vcc_lo, 32, v10
	v_cndmask_b32_e32 v10, v34, v10, vcc_lo
	v_lshlrev_b32_e32 v33, 2, v10
	ds_bpermute_b32 v10, v33, v18
	ds_bpermute_b32 v11, v33, v19
	ds_bpermute_b32 v24, v33, v12
	ds_bpermute_b32 v25, v33, v13
	ds_bpermute_b32 v26, v33, v20
	ds_bpermute_b32 v27, v33, v21
	ds_bpermute_b32 v28, v33, v22
	ds_bpermute_b32 v29, v33, v23
	ds_bpermute_b32 v30, v33, v14
	ds_bpermute_b32 v31, v33, v15
	ds_bpermute_b32 v32, v33, v16
	ds_bpermute_b32 v33, v33, v17
	s_waitcnt lgkmcnt(10)
	v_add_f64 v[10:11], v[18:19], v[10:11]
	s_waitcnt lgkmcnt(8)
	v_add_f64 v[12:13], v[12:13], v[24:25]
	;; [unrolled: 2-line block ×3, first 2 shown]
	v_xor_b32_e32 v20, 2, v34
	s_waitcnt lgkmcnt(4)
	v_add_f64 v[22:23], v[22:23], v[28:29]
	s_waitcnt lgkmcnt(2)
	v_add_f64 v[14:15], v[14:15], v[30:31]
	s_waitcnt lgkmcnt(0)
	v_add_f64 v[16:17], v[16:17], v[32:33]
	v_cmp_gt_i32_e32 vcc_lo, 32, v20
	v_cndmask_b32_e32 v20, v34, v20, vcc_lo
	v_lshlrev_b32_e32 v33, 2, v20
	ds_bpermute_b32 v20, v33, v10
	ds_bpermute_b32 v21, v33, v11
	;; [unrolled: 1-line block ×12, first 2 shown]
	s_waitcnt lgkmcnt(10)
	v_add_f64 v[10:11], v[10:11], v[20:21]
	s_waitcnt lgkmcnt(8)
	v_add_f64 v[20:21], v[12:13], v[24:25]
	v_xor_b32_e32 v24, 1, v34
	s_waitcnt lgkmcnt(6)
	v_add_f64 v[12:13], v[18:19], v[26:27]
	s_waitcnt lgkmcnt(4)
	v_add_f64 v[18:19], v[22:23], v[28:29]
	;; [unrolled: 2-line block ×3, first 2 shown]
	v_cmp_gt_i32_e32 vcc_lo, 32, v24
	s_waitcnt lgkmcnt(0)
	v_add_f64 v[16:17], v[16:17], v[32:33]
	v_cndmask_b32_e32 v22, v34, v24, vcc_lo
	v_cmp_eq_u32_e32 vcc_lo, 7, v0
	v_lshlrev_b32_e32 v25, 2, v22
	ds_bpermute_b32 v32, v25, v10
	ds_bpermute_b32 v33, v25, v11
	ds_bpermute_b32 v30, v25, v20
	ds_bpermute_b32 v31, v25, v21
	ds_bpermute_b32 v28, v25, v12
	ds_bpermute_b32 v29, v25, v13
	ds_bpermute_b32 v26, v25, v18
	ds_bpermute_b32 v27, v25, v19
	ds_bpermute_b32 v22, v25, v14
	ds_bpermute_b32 v23, v25, v15
	ds_bpermute_b32 v24, v25, v16
	ds_bpermute_b32 v25, v25, v17
	s_and_b32 exec_lo, exec_lo, vcc_lo
	s_cbranch_execz .LBB122_21
; %bb.17:
	v_cmp_eq_f64_e32 vcc_lo, 0, v[5:6]
	v_cmp_eq_f64_e64 s0, 0, v[7:8]
	s_waitcnt lgkmcnt(10)
	v_add_f64 v[10:11], v[10:11], v[32:33]
	s_waitcnt lgkmcnt(8)
	v_add_f64 v[20:21], v[20:21], v[30:31]
	s_waitcnt lgkmcnt(6)
	v_add_f64 v[12:13], v[12:13], v[28:29]
	s_waitcnt lgkmcnt(4)
	v_add_f64 v[18:19], v[18:19], v[26:27]
	s_waitcnt lgkmcnt(2)
	v_add_f64 v[14:15], v[14:15], v[22:23]
	s_waitcnt lgkmcnt(0)
	v_add_f64 v[16:17], v[16:17], v[24:25]
	s_load_dwordx2 s[2:3], s[4:5], 0x48
	s_and_b32 s0, vcc_lo, s0
	s_and_saveexec_b32 s1, s0
	s_xor_b32 s0, exec_lo, s1
	s_cbranch_execz .LBB122_19
; %bb.18:
	v_mul_f64 v[5:6], v[20:21], -v[3:4]
	v_mul_f64 v[7:8], v[1:2], v[20:21]
	v_mul_f64 v[20:21], v[18:19], -v[3:4]
	v_mul_f64 v[18:19], v[1:2], v[18:19]
	;; [unrolled: 2-line block ×3, first 2 shown]
	v_lshl_add_u32 v24, v9, 1, v9
	v_ashrrev_i32_e32 v25, 31, v24
	v_fma_f64 v[5:6], v[1:2], v[10:11], v[5:6]
	v_fma_f64 v[7:8], v[3:4], v[10:11], v[7:8]
	;; [unrolled: 1-line block ×6, first 2 shown]
	v_lshlrev_b64 v[13:14], 4, v[24:25]
                                        ; implicit-def: $vgpr20_vgpr21
                                        ; implicit-def: $vgpr18_vgpr19
                                        ; implicit-def: $vgpr16_vgpr17
	s_waitcnt lgkmcnt(0)
	v_add_co_u32 v13, vcc_lo, s2, v13
	v_add_co_ci_u32_e64 v14, null, s3, v14, vcc_lo
	global_store_dwordx4 v[13:14], v[5:8], off
	global_store_dwordx4 v[13:14], v[9:12], off offset:16
	global_store_dwordx4 v[13:14], v[0:3], off offset:32
                                        ; implicit-def: $vgpr9
                                        ; implicit-def: $vgpr10_vgpr11
                                        ; implicit-def: $vgpr12_vgpr13
                                        ; implicit-def: $vgpr14_vgpr15
                                        ; implicit-def: $vgpr7_vgpr8
                                        ; implicit-def: $vgpr3_vgpr4
.LBB122_19:
	s_andn2_saveexec_b32 s0, s0
	s_cbranch_execz .LBB122_21
; %bb.20:
	v_lshl_add_u32 v22, v9, 1, v9
	v_mul_f64 v[36:37], v[20:21], -v[3:4]
	v_mul_f64 v[20:21], v[1:2], v[20:21]
	v_mul_f64 v[38:39], v[18:19], -v[3:4]
	v_mul_f64 v[18:19], v[1:2], v[18:19]
	v_ashrrev_i32_e32 v23, 31, v22
	v_mul_f64 v[40:41], v[16:17], -v[3:4]
	v_mul_f64 v[16:17], v[1:2], v[16:17]
	v_lshlrev_b64 v[22:23], 4, v[22:23]
	s_waitcnt lgkmcnt(0)
	v_add_co_u32 v34, vcc_lo, s2, v22
	v_add_co_ci_u32_e64 v35, null, s3, v23, vcc_lo
	s_clause 0x2
	global_load_dwordx4 v[22:25], v[34:35], off
	global_load_dwordx4 v[26:29], v[34:35], off offset:16
	global_load_dwordx4 v[30:33], v[34:35], off offset:32
	v_fma_f64 v[36:37], v[1:2], v[10:11], v[36:37]
	v_fma_f64 v[9:10], v[3:4], v[10:11], v[20:21]
	;; [unrolled: 1-line block ×6, first 2 shown]
	s_waitcnt vmcnt(2)
	v_fma_f64 v[13:14], v[5:6], v[22:23], v[36:37]
	v_fma_f64 v[9:10], v[7:8], v[22:23], v[9:10]
	s_waitcnt vmcnt(1)
	v_fma_f64 v[15:16], v[5:6], v[26:27], v[20:21]
	v_fma_f64 v[11:12], v[7:8], v[26:27], v[11:12]
	;; [unrolled: 3-line block ×3, first 2 shown]
	v_fma_f64 v[0:1], -v[7:8], v[24:25], v[13:14]
	v_fma_f64 v[2:3], v[5:6], v[24:25], v[9:10]
	v_fma_f64 v[9:10], -v[7:8], v[28:29], v[15:16]
	v_fma_f64 v[11:12], v[5:6], v[28:29], v[11:12]
	;; [unrolled: 2-line block ×3, first 2 shown]
	global_store_dwordx4 v[34:35], v[0:3], off
	global_store_dwordx4 v[34:35], v[9:12], off offset:16
	global_store_dwordx4 v[34:35], v[13:16], off offset:32
.LBB122_21:
	s_endpgm
	.section	.rodata,"a",@progbits
	.p2align	6, 0x0
	.amdhsa_kernel _ZN9rocsparseL19gebsrmvn_3xn_kernelILj128ELj4ELj8E21rocsparse_complex_numIdEEEvi20rocsparse_direction_NS_24const_host_device_scalarIT2_EEPKiS8_PKS5_SA_S6_PS5_21rocsparse_index_base_b
		.amdhsa_group_segment_fixed_size 0
		.amdhsa_private_segment_fixed_size 0
		.amdhsa_kernarg_size 88
		.amdhsa_user_sgpr_count 6
		.amdhsa_user_sgpr_private_segment_buffer 1
		.amdhsa_user_sgpr_dispatch_ptr 0
		.amdhsa_user_sgpr_queue_ptr 0
		.amdhsa_user_sgpr_kernarg_segment_ptr 1
		.amdhsa_user_sgpr_dispatch_id 0
		.amdhsa_user_sgpr_flat_scratch_init 0
		.amdhsa_user_sgpr_private_segment_size 0
		.amdhsa_wavefront_size32 1
		.amdhsa_uses_dynamic_stack 0
		.amdhsa_system_sgpr_private_segment_wavefront_offset 0
		.amdhsa_system_sgpr_workgroup_id_x 1
		.amdhsa_system_sgpr_workgroup_id_y 0
		.amdhsa_system_sgpr_workgroup_id_z 0
		.amdhsa_system_sgpr_workgroup_info 0
		.amdhsa_system_vgpr_workitem_id 0
		.amdhsa_next_free_vgpr 95
		.amdhsa_next_free_sgpr 16
		.amdhsa_reserve_vcc 1
		.amdhsa_reserve_flat_scratch 0
		.amdhsa_float_round_mode_32 0
		.amdhsa_float_round_mode_16_64 0
		.amdhsa_float_denorm_mode_32 3
		.amdhsa_float_denorm_mode_16_64 3
		.amdhsa_dx10_clamp 1
		.amdhsa_ieee_mode 1
		.amdhsa_fp16_overflow 0
		.amdhsa_workgroup_processor_mode 1
		.amdhsa_memory_ordered 1
		.amdhsa_forward_progress 1
		.amdhsa_shared_vgpr_count 0
		.amdhsa_exception_fp_ieee_invalid_op 0
		.amdhsa_exception_fp_denorm_src 0
		.amdhsa_exception_fp_ieee_div_zero 0
		.amdhsa_exception_fp_ieee_overflow 0
		.amdhsa_exception_fp_ieee_underflow 0
		.amdhsa_exception_fp_ieee_inexact 0
		.amdhsa_exception_int_div_zero 0
	.end_amdhsa_kernel
	.section	.text._ZN9rocsparseL19gebsrmvn_3xn_kernelILj128ELj4ELj8E21rocsparse_complex_numIdEEEvi20rocsparse_direction_NS_24const_host_device_scalarIT2_EEPKiS8_PKS5_SA_S6_PS5_21rocsparse_index_base_b,"axG",@progbits,_ZN9rocsparseL19gebsrmvn_3xn_kernelILj128ELj4ELj8E21rocsparse_complex_numIdEEEvi20rocsparse_direction_NS_24const_host_device_scalarIT2_EEPKiS8_PKS5_SA_S6_PS5_21rocsparse_index_base_b,comdat
.Lfunc_end122:
	.size	_ZN9rocsparseL19gebsrmvn_3xn_kernelILj128ELj4ELj8E21rocsparse_complex_numIdEEEvi20rocsparse_direction_NS_24const_host_device_scalarIT2_EEPKiS8_PKS5_SA_S6_PS5_21rocsparse_index_base_b, .Lfunc_end122-_ZN9rocsparseL19gebsrmvn_3xn_kernelILj128ELj4ELj8E21rocsparse_complex_numIdEEEvi20rocsparse_direction_NS_24const_host_device_scalarIT2_EEPKiS8_PKS5_SA_S6_PS5_21rocsparse_index_base_b
                                        ; -- End function
	.set _ZN9rocsparseL19gebsrmvn_3xn_kernelILj128ELj4ELj8E21rocsparse_complex_numIdEEEvi20rocsparse_direction_NS_24const_host_device_scalarIT2_EEPKiS8_PKS5_SA_S6_PS5_21rocsparse_index_base_b.num_vgpr, 95
	.set _ZN9rocsparseL19gebsrmvn_3xn_kernelILj128ELj4ELj8E21rocsparse_complex_numIdEEEvi20rocsparse_direction_NS_24const_host_device_scalarIT2_EEPKiS8_PKS5_SA_S6_PS5_21rocsparse_index_base_b.num_agpr, 0
	.set _ZN9rocsparseL19gebsrmvn_3xn_kernelILj128ELj4ELj8E21rocsparse_complex_numIdEEEvi20rocsparse_direction_NS_24const_host_device_scalarIT2_EEPKiS8_PKS5_SA_S6_PS5_21rocsparse_index_base_b.numbered_sgpr, 16
	.set _ZN9rocsparseL19gebsrmvn_3xn_kernelILj128ELj4ELj8E21rocsparse_complex_numIdEEEvi20rocsparse_direction_NS_24const_host_device_scalarIT2_EEPKiS8_PKS5_SA_S6_PS5_21rocsparse_index_base_b.num_named_barrier, 0
	.set _ZN9rocsparseL19gebsrmvn_3xn_kernelILj128ELj4ELj8E21rocsparse_complex_numIdEEEvi20rocsparse_direction_NS_24const_host_device_scalarIT2_EEPKiS8_PKS5_SA_S6_PS5_21rocsparse_index_base_b.private_seg_size, 0
	.set _ZN9rocsparseL19gebsrmvn_3xn_kernelILj128ELj4ELj8E21rocsparse_complex_numIdEEEvi20rocsparse_direction_NS_24const_host_device_scalarIT2_EEPKiS8_PKS5_SA_S6_PS5_21rocsparse_index_base_b.uses_vcc, 1
	.set _ZN9rocsparseL19gebsrmvn_3xn_kernelILj128ELj4ELj8E21rocsparse_complex_numIdEEEvi20rocsparse_direction_NS_24const_host_device_scalarIT2_EEPKiS8_PKS5_SA_S6_PS5_21rocsparse_index_base_b.uses_flat_scratch, 0
	.set _ZN9rocsparseL19gebsrmvn_3xn_kernelILj128ELj4ELj8E21rocsparse_complex_numIdEEEvi20rocsparse_direction_NS_24const_host_device_scalarIT2_EEPKiS8_PKS5_SA_S6_PS5_21rocsparse_index_base_b.has_dyn_sized_stack, 0
	.set _ZN9rocsparseL19gebsrmvn_3xn_kernelILj128ELj4ELj8E21rocsparse_complex_numIdEEEvi20rocsparse_direction_NS_24const_host_device_scalarIT2_EEPKiS8_PKS5_SA_S6_PS5_21rocsparse_index_base_b.has_recursion, 0
	.set _ZN9rocsparseL19gebsrmvn_3xn_kernelILj128ELj4ELj8E21rocsparse_complex_numIdEEEvi20rocsparse_direction_NS_24const_host_device_scalarIT2_EEPKiS8_PKS5_SA_S6_PS5_21rocsparse_index_base_b.has_indirect_call, 0
	.section	.AMDGPU.csdata,"",@progbits
; Kernel info:
; codeLenInByte = 3436
; TotalNumSgprs: 18
; NumVgprs: 95
; ScratchSize: 0
; MemoryBound: 0
; FloatMode: 240
; IeeeMode: 1
; LDSByteSize: 0 bytes/workgroup (compile time only)
; SGPRBlocks: 0
; VGPRBlocks: 11
; NumSGPRsForWavesPerEU: 18
; NumVGPRsForWavesPerEU: 95
; Occupancy: 10
; WaveLimiterHint : 1
; COMPUTE_PGM_RSRC2:SCRATCH_EN: 0
; COMPUTE_PGM_RSRC2:USER_SGPR: 6
; COMPUTE_PGM_RSRC2:TRAP_HANDLER: 0
; COMPUTE_PGM_RSRC2:TGID_X_EN: 1
; COMPUTE_PGM_RSRC2:TGID_Y_EN: 0
; COMPUTE_PGM_RSRC2:TGID_Z_EN: 0
; COMPUTE_PGM_RSRC2:TIDIG_COMP_CNT: 0
	.section	.text._ZN9rocsparseL19gebsrmvn_3xn_kernelILj128ELj4ELj16E21rocsparse_complex_numIdEEEvi20rocsparse_direction_NS_24const_host_device_scalarIT2_EEPKiS8_PKS5_SA_S6_PS5_21rocsparse_index_base_b,"axG",@progbits,_ZN9rocsparseL19gebsrmvn_3xn_kernelILj128ELj4ELj16E21rocsparse_complex_numIdEEEvi20rocsparse_direction_NS_24const_host_device_scalarIT2_EEPKiS8_PKS5_SA_S6_PS5_21rocsparse_index_base_b,comdat
	.globl	_ZN9rocsparseL19gebsrmvn_3xn_kernelILj128ELj4ELj16E21rocsparse_complex_numIdEEEvi20rocsparse_direction_NS_24const_host_device_scalarIT2_EEPKiS8_PKS5_SA_S6_PS5_21rocsparse_index_base_b ; -- Begin function _ZN9rocsparseL19gebsrmvn_3xn_kernelILj128ELj4ELj16E21rocsparse_complex_numIdEEEvi20rocsparse_direction_NS_24const_host_device_scalarIT2_EEPKiS8_PKS5_SA_S6_PS5_21rocsparse_index_base_b
	.p2align	8
	.type	_ZN9rocsparseL19gebsrmvn_3xn_kernelILj128ELj4ELj16E21rocsparse_complex_numIdEEEvi20rocsparse_direction_NS_24const_host_device_scalarIT2_EEPKiS8_PKS5_SA_S6_PS5_21rocsparse_index_base_b,@function
_ZN9rocsparseL19gebsrmvn_3xn_kernelILj128ELj4ELj16E21rocsparse_complex_numIdEEEvi20rocsparse_direction_NS_24const_host_device_scalarIT2_EEPKiS8_PKS5_SA_S6_PS5_21rocsparse_index_base_b: ; @_ZN9rocsparseL19gebsrmvn_3xn_kernelILj128ELj4ELj16E21rocsparse_complex_numIdEEEvi20rocsparse_direction_NS_24const_host_device_scalarIT2_EEPKiS8_PKS5_SA_S6_PS5_21rocsparse_index_base_b
; %bb.0:
	s_clause 0x1
	s_load_dwordx2 s[2:3], s[4:5], 0x50
	s_load_dwordx2 s[0:1], s[4:5], 0x8
	s_add_u32 s7, s4, 8
	s_addc_u32 s10, s5, 0
	s_add_u32 s11, s4, 56
	s_addc_u32 s12, s5, 0
	s_load_dwordx2 s[8:9], s[4:5], 0x38
	s_waitcnt lgkmcnt(0)
	s_bitcmp1_b32 s3, 0
	s_cselect_b32 s0, s7, s0
	s_cselect_b32 s1, s10, s1
	v_mov_b32_e32 v1, s0
	v_mov_b32_e32 v2, s1
	s_cselect_b32 s0, s11, s8
	s_cselect_b32 s1, s12, s9
	v_mov_b32_e32 v5, s0
	v_mov_b32_e32 v6, s1
	flat_load_dwordx4 v[1:4], v[1:2]
	flat_load_dwordx4 v[5:8], v[5:6]
	s_waitcnt vmcnt(1) lgkmcnt(1)
	v_cmp_eq_f64_e32 vcc_lo, 0, v[1:2]
	v_cmp_eq_f64_e64 s0, 0, v[3:4]
	s_and_b32 s3, vcc_lo, s0
	s_mov_b32 s0, -1
	s_and_saveexec_b32 s1, s3
	s_cbranch_execz .LBB123_2
; %bb.1:
	s_waitcnt vmcnt(0) lgkmcnt(0)
	v_cmp_neq_f64_e32 vcc_lo, 1.0, v[5:6]
	v_cmp_neq_f64_e64 s0, 0, v[7:8]
	s_or_b32 s0, vcc_lo, s0
	s_orn2_b32 s0, s0, exec_lo
.LBB123_2:
	s_or_b32 exec_lo, exec_lo, s1
	s_and_saveexec_b32 s1, s0
	s_cbranch_execz .LBB123_21
; %bb.3:
	s_load_dwordx2 s[0:1], s[4:5], 0x0
	v_lshrrev_b32_e32 v9, 4, v0
	v_lshl_or_b32 v9, s6, 3, v9
	s_waitcnt lgkmcnt(0)
	v_cmp_gt_i32_e32 vcc_lo, s0, v9
	s_and_b32 exec_lo, exec_lo, vcc_lo
	s_cbranch_execz .LBB123_21
; %bb.4:
	s_load_dwordx8 s[8:15], s[4:5], 0x18
	v_ashrrev_i32_e32 v10, 31, v9
	v_and_b32_e32 v0, 15, v0
	s_cmp_lg_u32 s1, 0
	v_lshlrev_b64 v[10:11], 2, v[9:10]
	s_waitcnt lgkmcnt(0)
	v_add_co_u32 v10, vcc_lo, s8, v10
	v_add_co_ci_u32_e64 v11, null, s9, v11, vcc_lo
	global_load_dwordx2 v[10:11], v[10:11], off
	s_waitcnt vmcnt(0)
	v_subrev_nc_u32_e32 v10, s2, v10
	v_subrev_nc_u32_e32 v30, s2, v11
	v_add_nc_u32_e32 v16, v10, v0
	v_cmp_lt_i32_e64 s0, v16, v30
	s_cbranch_scc0 .LBB123_10
; %bb.5:
	v_mov_b32_e32 v10, 0
	v_mov_b32_e32 v18, 0
	;; [unrolled: 1-line block ×12, first 2 shown]
	s_and_saveexec_b32 s1, s0
	s_cbranch_execz .LBB123_9
; %bb.6:
	v_mad_u64_u32 v[24:25], null, v16, 12, 11
	v_mov_b32_e32 v10, 0
	v_mov_b32_e32 v18, 0
	;; [unrolled: 1-line block ×14, first 2 shown]
	s_mov_b32 s3, 0
.LBB123_7:                              ; =>This Inner Loop Header: Depth=1
	v_ashrrev_i32_e32 v29, 31, v28
	v_mov_b32_e32 v44, v27
	v_lshlrev_b64 v[25:26], 2, v[28:29]
	v_add_nc_u32_e32 v28, 16, v28
	v_add_co_u32 v25, vcc_lo, s10, v25
	v_add_co_ci_u32_e64 v26, null, s11, v26, vcc_lo
	global_load_dword v17, v[25:26], off
	v_add_nc_u32_e32 v26, -11, v24
	v_lshlrev_b64 v[25:26], 4, v[26:27]
	v_add_co_u32 v47, vcc_lo, s12, v25
	v_add_co_ci_u32_e64 v48, null, s13, v26, vcc_lo
	s_clause 0x3
	global_load_dwordx4 v[31:34], v[47:48], off offset:32
	global_load_dwordx4 v[35:38], v[47:48], off offset:16
	global_load_dwordx4 v[39:42], v[47:48], off
	global_load_dwordx4 v[47:50], v[47:48], off offset:48
	s_waitcnt vmcnt(4)
	v_subrev_nc_u32_e32 v17, s2, v17
	v_lshlrev_b32_e32 v43, 2, v17
	v_lshlrev_b64 v[25:26], 4, v[43:44]
	v_add_co_u32 v91, vcc_lo, s14, v25
	v_add_co_ci_u32_e64 v92, null, s15, v26, vcc_lo
	v_add_nc_u32_e32 v26, -7, v24
	global_load_dwordx4 v[43:46], v[91:92], off
	v_lshlrev_b64 v[51:52], 4, v[26:27]
	v_add_nc_u32_e32 v26, -6, v24
	v_lshlrev_b64 v[25:26], 4, v[26:27]
	v_add_co_u32 v51, vcc_lo, s12, v51
	v_add_co_ci_u32_e64 v52, null, s13, v52, vcc_lo
	v_add_co_u32 v25, vcc_lo, s12, v25
	v_add_co_ci_u32_e64 v26, null, s13, v26, vcc_lo
	s_clause 0x1
	global_load_dwordx4 v[51:54], v[51:52], off
	global_load_dwordx4 v[55:58], v[25:26], off
	global_load_dwordx4 v[59:62], v[91:92], off offset:16
	v_add_nc_u32_e32 v26, -5, v24
	v_mov_b32_e32 v25, v27
	v_lshlrev_b64 v[63:64], 4, v[26:27]
	v_add_nc_u32_e32 v26, -4, v24
	v_lshlrev_b64 v[67:68], 4, v[26:27]
	v_add_nc_u32_e32 v26, -3, v24
	v_add_co_u32 v63, vcc_lo, s12, v63
	v_add_co_ci_u32_e64 v64, null, s13, v64, vcc_lo
	v_lshlrev_b64 v[69:70], 4, v[26:27]
	v_add_co_u32 v67, vcc_lo, s12, v67
	v_add_co_ci_u32_e64 v68, null, s13, v68, vcc_lo
	global_load_dwordx4 v[63:66], v[63:64], off
	v_add_co_u32 v71, vcc_lo, s12, v69
	v_add_co_ci_u32_e64 v72, null, s13, v70, vcc_lo
	s_clause 0x1
	global_load_dwordx4 v[67:70], v[67:68], off
	global_load_dwordx4 v[71:74], v[71:72], off
	global_load_dwordx4 v[75:78], v[91:92], off offset:32
	v_lshlrev_b64 v[25:26], 4, v[24:25]
	v_add_co_u32 v25, vcc_lo, s12, v25
	v_add_co_ci_u32_e64 v26, null, s13, v26, vcc_lo
	global_load_dwordx4 v[79:82], v[25:26], off
	v_add_nc_u32_e32 v26, -2, v24
	v_lshlrev_b64 v[83:84], 4, v[26:27]
	v_add_nc_u32_e32 v26, -1, v24
	v_add_nc_u32_e32 v24, 0xc0, v24
	v_lshlrev_b64 v[25:26], 4, v[26:27]
	v_add_co_u32 v83, vcc_lo, s12, v83
	v_add_co_ci_u32_e64 v84, null, s13, v84, vcc_lo
	v_add_co_u32 v25, vcc_lo, s12, v25
	v_add_co_ci_u32_e64 v26, null, s13, v26, vcc_lo
	s_clause 0x1
	global_load_dwordx4 v[83:86], v[83:84], off
	global_load_dwordx4 v[87:90], v[25:26], off
	global_load_dwordx4 v[91:94], v[91:92], off offset:48
	v_cmp_ge_i32_e32 vcc_lo, v28, v30
	s_or_b32 s3, vcc_lo, s3
	s_waitcnt vmcnt(11)
	v_fma_f64 v[17:18], v[39:40], v[43:44], v[18:19]
	v_fma_f64 v[10:11], v[41:42], v[43:44], v[10:11]
	v_fma_f64 v[19:20], v[35:36], v[43:44], v[20:21]
	v_fma_f64 v[21:22], v[37:38], v[43:44], v[22:23]
	v_fma_f64 v[12:13], v[31:32], v[43:44], v[12:13]
	v_fma_f64 v[14:15], v[33:34], v[43:44], v[14:15]
	v_fma_f64 v[17:18], -v[41:42], v[45:46], v[17:18]
	v_fma_f64 v[10:11], v[39:40], v[45:46], v[10:11]
	v_fma_f64 v[19:20], -v[37:38], v[45:46], v[19:20]
	v_fma_f64 v[21:22], v[35:36], v[45:46], v[21:22]
	v_fma_f64 v[12:13], -v[33:34], v[45:46], v[12:13]
	v_fma_f64 v[14:15], v[31:32], v[45:46], v[14:15]
	s_waitcnt vmcnt(8)
	v_fma_f64 v[17:18], v[47:48], v[59:60], v[17:18]
	v_fma_f64 v[10:11], v[49:50], v[59:60], v[10:11]
	v_fma_f64 v[19:20], v[51:52], v[59:60], v[19:20]
	v_fma_f64 v[21:22], v[53:54], v[59:60], v[21:22]
	v_fma_f64 v[12:13], v[55:56], v[59:60], v[12:13]
	v_fma_f64 v[14:15], v[57:58], v[59:60], v[14:15]
	v_fma_f64 v[17:18], -v[49:50], v[61:62], v[17:18]
	v_fma_f64 v[10:11], v[47:48], v[61:62], v[10:11]
	v_fma_f64 v[19:20], -v[53:54], v[61:62], v[19:20]
	v_fma_f64 v[21:22], v[51:52], v[61:62], v[21:22]
	v_fma_f64 v[12:13], -v[57:58], v[61:62], v[12:13]
	v_fma_f64 v[14:15], v[55:56], v[61:62], v[14:15]
	;; [unrolled: 13-line block ×4, first 2 shown]
	s_andn2_b32 exec_lo, exec_lo, s3
	s_cbranch_execnz .LBB123_7
; %bb.8:
	s_or_b32 exec_lo, exec_lo, s3
.LBB123_9:
	s_or_b32 exec_lo, exec_lo, s1
	s_cbranch_execz .LBB123_11
	s_branch .LBB123_16
.LBB123_10:
                                        ; implicit-def: $vgpr10_vgpr11
                                        ; implicit-def: $vgpr18_vgpr19
                                        ; implicit-def: $vgpr12_vgpr13
                                        ; implicit-def: $vgpr14_vgpr15
                                        ; implicit-def: $vgpr20_vgpr21
                                        ; implicit-def: $vgpr22_vgpr23
.LBB123_11:
	v_mov_b32_e32 v10, 0
	v_mov_b32_e32 v18, 0
	;; [unrolled: 1-line block ×12, first 2 shown]
	s_and_saveexec_b32 s1, s0
	s_cbranch_execz .LBB123_15
; %bb.12:
	v_mad_u64_u32 v[24:25], null, v16, 12, 11
	v_mov_b32_e32 v10, 0
	v_mov_b32_e32 v18, 0
	;; [unrolled: 1-line block ×13, first 2 shown]
	s_mov_b32 s0, 0
.LBB123_13:                             ; =>This Inner Loop Header: Depth=1
	v_ashrrev_i32_e32 v17, 31, v16
	v_add_nc_u32_e32 v28, -7, v24
	v_mov_b32_e32 v29, v27
	v_add_nc_u32_e32 v31, -3, v24
	v_mov_b32_e32 v32, v27
	v_lshlrev_b64 v[25:26], 2, v[16:17]
	v_mov_b32_e32 v48, v27
	v_lshlrev_b64 v[28:29], 4, v[28:29]
	v_add_nc_u32_e32 v16, 16, v16
	v_lshlrev_b64 v[31:32], 4, v[31:32]
	v_add_co_u32 v25, vcc_lo, s10, v25
	v_add_co_ci_u32_e64 v26, null, s11, v26, vcc_lo
	global_load_dword v17, v[25:26], off
	v_add_nc_u32_e32 v26, -11, v24
	v_lshlrev_b64 v[25:26], 4, v[26:27]
	v_add_co_u32 v55, vcc_lo, s12, v25
	v_add_co_ci_u32_e64 v56, null, s13, v26, vcc_lo
	v_add_co_u32 v25, vcc_lo, s12, v28
	v_add_co_ci_u32_e64 v26, null, s13, v29, vcc_lo
	;; [unrolled: 2-line block ×3, first 2 shown]
	s_clause 0x3
	global_load_dwordx4 v[31:34], v[55:56], off offset:16
	global_load_dwordx4 v[35:38], v[55:56], off
	global_load_dwordx4 v[39:42], v[25:26], off
	global_load_dwordx4 v[43:46], v[28:29], off
	s_waitcnt vmcnt(4)
	v_subrev_nc_u32_e32 v17, s2, v17
	v_lshlrev_b32_e32 v47, 2, v17
	v_lshlrev_b64 v[25:26], 4, v[47:48]
	v_add_co_u32 v28, vcc_lo, s14, v25
	v_add_co_ci_u32_e64 v29, null, s15, v26, vcc_lo
	v_add_nc_u32_e32 v26, -6, v24
	v_mov_b32_e32 v25, v27
	global_load_dwordx4 v[47:50], v[28:29], off
	v_lshlrev_b64 v[59:60], 4, v[26:27]
	v_add_nc_u32_e32 v26, -2, v24
	v_lshlrev_b64 v[51:52], 4, v[24:25]
	v_lshlrev_b64 v[61:62], 4, v[26:27]
	v_add_nc_u32_e32 v26, -5, v24
	v_add_co_u32 v83, vcc_lo, s12, v51
	v_add_co_ci_u32_e64 v84, null, s13, v52, vcc_lo
	v_add_co_u32 v59, vcc_lo, s12, v59
	v_add_co_ci_u32_e64 v60, null, s13, v60, vcc_lo
	v_add_co_u32 v25, vcc_lo, s12, v61
	v_lshlrev_b64 v[71:72], 4, v[26:27]
	v_add_co_ci_u32_e64 v26, null, s13, v62, vcc_lo
	s_clause 0x3
	global_load_dwordx4 v[51:54], v[55:56], off offset:48
	global_load_dwordx4 v[55:58], v[55:56], off offset:32
	global_load_dwordx4 v[59:62], v[59:60], off
	global_load_dwordx4 v[63:66], v[25:26], off
	global_load_dwordx4 v[67:70], v[28:29], off offset:16
	v_add_nc_u32_e32 v26, -1, v24
	v_add_co_u32 v71, vcc_lo, s12, v71
	v_add_co_ci_u32_e64 v72, null, s13, v72, vcc_lo
	v_lshlrev_b64 v[73:74], 4, v[26:27]
	v_add_nc_u32_e32 v26, -4, v24
	v_add_nc_u32_e32 v24, 0xc0, v24
	v_add_co_u32 v75, vcc_lo, s12, v73
	v_add_co_ci_u32_e64 v76, null, s13, v74, vcc_lo
	s_clause 0x1
	global_load_dwordx4 v[71:74], v[71:72], off
	global_load_dwordx4 v[75:78], v[75:76], off
	global_load_dwordx4 v[79:82], v[28:29], off offset:32
	v_lshlrev_b64 v[25:26], 4, v[26:27]
	v_add_co_u32 v25, vcc_lo, s12, v25
	v_add_co_ci_u32_e64 v26, null, s13, v26, vcc_lo
	v_cmp_ge_i32_e32 vcc_lo, v16, v30
	s_or_b32 s0, vcc_lo, s0
	s_waitcnt vmcnt(8)
	v_fma_f64 v[17:18], v[35:36], v[47:48], v[18:19]
	v_fma_f64 v[10:11], v[37:38], v[47:48], v[10:11]
	;; [unrolled: 1-line block ×6, first 2 shown]
	v_fma_f64 v[17:18], -v[37:38], v[49:50], v[17:18]
	v_fma_f64 v[10:11], v[35:36], v[49:50], v[10:11]
	global_load_dwordx4 v[35:38], v[25:26], off
	v_fma_f64 v[19:20], -v[41:42], v[49:50], v[19:20]
	v_fma_f64 v[21:22], v[39:40], v[49:50], v[21:22]
	global_load_dwordx4 v[39:42], v[83:84], off
	global_load_dwordx4 v[83:86], v[28:29], off offset:48
	v_fma_f64 v[12:13], -v[45:46], v[49:50], v[12:13]
	v_fma_f64 v[14:15], v[43:44], v[49:50], v[14:15]
	s_waitcnt vmcnt(6)
	v_fma_f64 v[17:18], v[31:32], v[67:68], v[17:18]
	v_fma_f64 v[10:11], v[33:34], v[67:68], v[10:11]
	v_fma_f64 v[19:20], v[59:60], v[67:68], v[19:20]
	v_fma_f64 v[21:22], v[61:62], v[67:68], v[21:22]
	v_fma_f64 v[12:13], v[63:64], v[67:68], v[12:13]
	v_fma_f64 v[14:15], v[65:66], v[67:68], v[14:15]
	v_fma_f64 v[17:18], -v[33:34], v[69:70], v[17:18]
	v_fma_f64 v[10:11], v[31:32], v[69:70], v[10:11]
	v_fma_f64 v[19:20], -v[61:62], v[69:70], v[19:20]
	v_fma_f64 v[21:22], v[59:60], v[69:70], v[21:22]
	v_fma_f64 v[12:13], -v[65:66], v[69:70], v[12:13]
	v_fma_f64 v[14:15], v[63:64], v[69:70], v[14:15]
	s_waitcnt vmcnt(3)
	v_fma_f64 v[17:18], v[55:56], v[79:80], v[17:18]
	v_fma_f64 v[10:11], v[57:58], v[79:80], v[10:11]
	v_fma_f64 v[19:20], v[71:72], v[79:80], v[19:20]
	v_fma_f64 v[21:22], v[73:74], v[79:80], v[21:22]
	v_fma_f64 v[12:13], v[75:76], v[79:80], v[12:13]
	v_fma_f64 v[14:15], v[77:78], v[79:80], v[14:15]
	v_fma_f64 v[17:18], -v[57:58], v[81:82], v[17:18]
	v_fma_f64 v[10:11], v[55:56], v[81:82], v[10:11]
	v_fma_f64 v[19:20], -v[73:74], v[81:82], v[19:20]
	v_fma_f64 v[21:22], v[71:72], v[81:82], v[21:22]
	;; [unrolled: 13-line block ×3, first 2 shown]
	v_fma_f64 v[12:13], -v[41:42], v[85:86], v[12:13]
	v_fma_f64 v[14:15], v[39:40], v[85:86], v[14:15]
	s_andn2_b32 exec_lo, exec_lo, s0
	s_cbranch_execnz .LBB123_13
; %bb.14:
	s_or_b32 exec_lo, exec_lo, s0
.LBB123_15:
	s_or_b32 exec_lo, exec_lo, s1
.LBB123_16:
	v_mbcnt_lo_u32_b32 v36, -1, 0
	v_xor_b32_e32 v16, 8, v36
	v_cmp_gt_i32_e32 vcc_lo, 32, v16
	v_cndmask_b32_e32 v16, v36, v16, vcc_lo
	v_lshlrev_b32_e32 v33, 2, v16
	ds_bpermute_b32 v16, v33, v18
	ds_bpermute_b32 v17, v33, v19
	ds_bpermute_b32 v24, v33, v10
	ds_bpermute_b32 v25, v33, v11
	ds_bpermute_b32 v26, v33, v20
	ds_bpermute_b32 v27, v33, v21
	ds_bpermute_b32 v28, v33, v22
	ds_bpermute_b32 v29, v33, v23
	ds_bpermute_b32 v30, v33, v12
	ds_bpermute_b32 v31, v33, v13
	ds_bpermute_b32 v32, v33, v14
	ds_bpermute_b32 v33, v33, v15
	s_waitcnt lgkmcnt(10)
	v_add_f64 v[16:17], v[18:19], v[16:17]
	s_waitcnt lgkmcnt(8)
	v_add_f64 v[10:11], v[10:11], v[24:25]
	v_xor_b32_e32 v24, 4, v36
	s_waitcnt lgkmcnt(6)
	v_add_f64 v[18:19], v[20:21], v[26:27]
	s_waitcnt lgkmcnt(4)
	v_add_f64 v[20:21], v[22:23], v[28:29]
	s_waitcnt lgkmcnt(2)
	v_add_f64 v[12:13], v[12:13], v[30:31]
	v_cmp_gt_i32_e32 vcc_lo, 32, v24
	s_waitcnt lgkmcnt(0)
	v_add_f64 v[14:15], v[14:15], v[32:33]
	v_cndmask_b32_e32 v22, v36, v24, vcc_lo
	v_lshlrev_b32_e32 v33, 2, v22
	ds_bpermute_b32 v22, v33, v16
	ds_bpermute_b32 v23, v33, v17
	ds_bpermute_b32 v24, v33, v10
	ds_bpermute_b32 v25, v33, v11
	ds_bpermute_b32 v26, v33, v18
	ds_bpermute_b32 v27, v33, v19
	ds_bpermute_b32 v28, v33, v20
	ds_bpermute_b32 v29, v33, v21
	ds_bpermute_b32 v30, v33, v12
	ds_bpermute_b32 v31, v33, v13
	ds_bpermute_b32 v32, v33, v14
	ds_bpermute_b32 v33, v33, v15
	s_waitcnt lgkmcnt(10)
	v_add_f64 v[16:17], v[16:17], v[22:23]
	s_waitcnt lgkmcnt(8)
	v_add_f64 v[22:23], v[10:11], v[24:25]
	v_xor_b32_e32 v10, 2, v36
	s_waitcnt lgkmcnt(6)
	v_add_f64 v[18:19], v[18:19], v[26:27]
	s_waitcnt lgkmcnt(4)
	v_add_f64 v[24:25], v[20:21], v[28:29]
	s_waitcnt lgkmcnt(2)
	v_add_f64 v[26:27], v[12:13], v[30:31]
	v_cmp_gt_i32_e32 vcc_lo, 32, v10
	s_waitcnt lgkmcnt(0)
	v_add_f64 v[28:29], v[14:15], v[32:33]
	v_cndmask_b32_e32 v10, v36, v10, vcc_lo
	v_lshlrev_b32_e32 v20, 2, v10
	ds_bpermute_b32 v10, v20, v16
	ds_bpermute_b32 v11, v20, v17
	ds_bpermute_b32 v12, v20, v22
	ds_bpermute_b32 v13, v20, v23
	ds_bpermute_b32 v14, v20, v18
	ds_bpermute_b32 v15, v20, v19
	ds_bpermute_b32 v30, v20, v24
	ds_bpermute_b32 v31, v20, v25
	ds_bpermute_b32 v32, v20, v26
	ds_bpermute_b32 v33, v20, v27
	ds_bpermute_b32 v34, v20, v28
	ds_bpermute_b32 v35, v20, v29
	s_waitcnt lgkmcnt(10)
	v_add_f64 v[10:11], v[16:17], v[10:11]
	s_waitcnt lgkmcnt(8)
	v_add_f64 v[20:21], v[22:23], v[12:13]
	v_xor_b32_e32 v22, 1, v36
	s_waitcnt lgkmcnt(6)
	v_add_f64 v[12:13], v[18:19], v[14:15]
	s_waitcnt lgkmcnt(4)
	v_add_f64 v[18:19], v[24:25], v[30:31]
	s_waitcnt lgkmcnt(2)
	v_add_f64 v[14:15], v[26:27], v[32:33]
	v_cmp_gt_i32_e32 vcc_lo, 32, v22
	s_waitcnt lgkmcnt(0)
	v_add_f64 v[16:17], v[28:29], v[34:35]
	v_cndmask_b32_e32 v22, v36, v22, vcc_lo
	v_cmp_eq_u32_e32 vcc_lo, 15, v0
	v_lshlrev_b32_e32 v25, 2, v22
	ds_bpermute_b32 v32, v25, v10
	ds_bpermute_b32 v33, v25, v11
	;; [unrolled: 1-line block ×12, first 2 shown]
	s_and_b32 exec_lo, exec_lo, vcc_lo
	s_cbranch_execz .LBB123_21
; %bb.17:
	v_cmp_eq_f64_e32 vcc_lo, 0, v[5:6]
	v_cmp_eq_f64_e64 s0, 0, v[7:8]
	s_waitcnt lgkmcnt(10)
	v_add_f64 v[10:11], v[10:11], v[32:33]
	s_waitcnt lgkmcnt(8)
	v_add_f64 v[20:21], v[20:21], v[30:31]
	;; [unrolled: 2-line block ×6, first 2 shown]
	s_load_dwordx2 s[2:3], s[4:5], 0x48
	s_and_b32 s0, vcc_lo, s0
	s_and_saveexec_b32 s1, s0
	s_xor_b32 s0, exec_lo, s1
	s_cbranch_execz .LBB123_19
; %bb.18:
	v_mul_f64 v[5:6], v[20:21], -v[3:4]
	v_mul_f64 v[7:8], v[1:2], v[20:21]
	v_mul_f64 v[20:21], v[18:19], -v[3:4]
	v_mul_f64 v[18:19], v[1:2], v[18:19]
	;; [unrolled: 2-line block ×3, first 2 shown]
	v_lshl_add_u32 v24, v9, 1, v9
	v_ashrrev_i32_e32 v25, 31, v24
	v_fma_f64 v[5:6], v[1:2], v[10:11], v[5:6]
	v_fma_f64 v[7:8], v[3:4], v[10:11], v[7:8]
	;; [unrolled: 1-line block ×6, first 2 shown]
	v_lshlrev_b64 v[13:14], 4, v[24:25]
                                        ; implicit-def: $vgpr20_vgpr21
                                        ; implicit-def: $vgpr18_vgpr19
                                        ; implicit-def: $vgpr16_vgpr17
	s_waitcnt lgkmcnt(0)
	v_add_co_u32 v13, vcc_lo, s2, v13
	v_add_co_ci_u32_e64 v14, null, s3, v14, vcc_lo
	global_store_dwordx4 v[13:14], v[5:8], off
	global_store_dwordx4 v[13:14], v[9:12], off offset:16
	global_store_dwordx4 v[13:14], v[0:3], off offset:32
                                        ; implicit-def: $vgpr9
                                        ; implicit-def: $vgpr10_vgpr11
                                        ; implicit-def: $vgpr12_vgpr13
                                        ; implicit-def: $vgpr14_vgpr15
                                        ; implicit-def: $vgpr7_vgpr8
                                        ; implicit-def: $vgpr3_vgpr4
.LBB123_19:
	s_andn2_saveexec_b32 s0, s0
	s_cbranch_execz .LBB123_21
; %bb.20:
	v_lshl_add_u32 v22, v9, 1, v9
	v_mul_f64 v[36:37], v[20:21], -v[3:4]
	v_mul_f64 v[20:21], v[1:2], v[20:21]
	v_mul_f64 v[38:39], v[18:19], -v[3:4]
	v_mul_f64 v[18:19], v[1:2], v[18:19]
	v_ashrrev_i32_e32 v23, 31, v22
	v_mul_f64 v[40:41], v[16:17], -v[3:4]
	v_mul_f64 v[16:17], v[1:2], v[16:17]
	v_lshlrev_b64 v[22:23], 4, v[22:23]
	s_waitcnt lgkmcnt(0)
	v_add_co_u32 v34, vcc_lo, s2, v22
	v_add_co_ci_u32_e64 v35, null, s3, v23, vcc_lo
	s_clause 0x2
	global_load_dwordx4 v[22:25], v[34:35], off
	global_load_dwordx4 v[26:29], v[34:35], off offset:16
	global_load_dwordx4 v[30:33], v[34:35], off offset:32
	v_fma_f64 v[36:37], v[1:2], v[10:11], v[36:37]
	v_fma_f64 v[9:10], v[3:4], v[10:11], v[20:21]
	;; [unrolled: 1-line block ×6, first 2 shown]
	s_waitcnt vmcnt(2)
	v_fma_f64 v[13:14], v[5:6], v[22:23], v[36:37]
	v_fma_f64 v[9:10], v[7:8], v[22:23], v[9:10]
	s_waitcnt vmcnt(1)
	v_fma_f64 v[15:16], v[5:6], v[26:27], v[20:21]
	v_fma_f64 v[11:12], v[7:8], v[26:27], v[11:12]
	;; [unrolled: 3-line block ×3, first 2 shown]
	v_fma_f64 v[0:1], -v[7:8], v[24:25], v[13:14]
	v_fma_f64 v[2:3], v[5:6], v[24:25], v[9:10]
	v_fma_f64 v[9:10], -v[7:8], v[28:29], v[15:16]
	v_fma_f64 v[11:12], v[5:6], v[28:29], v[11:12]
	v_fma_f64 v[13:14], -v[7:8], v[32:33], v[17:18]
	v_fma_f64 v[15:16], v[5:6], v[32:33], v[19:20]
	global_store_dwordx4 v[34:35], v[0:3], off
	global_store_dwordx4 v[34:35], v[9:12], off offset:16
	global_store_dwordx4 v[34:35], v[13:16], off offset:32
.LBB123_21:
	s_endpgm
	.section	.rodata,"a",@progbits
	.p2align	6, 0x0
	.amdhsa_kernel _ZN9rocsparseL19gebsrmvn_3xn_kernelILj128ELj4ELj16E21rocsparse_complex_numIdEEEvi20rocsparse_direction_NS_24const_host_device_scalarIT2_EEPKiS8_PKS5_SA_S6_PS5_21rocsparse_index_base_b
		.amdhsa_group_segment_fixed_size 0
		.amdhsa_private_segment_fixed_size 0
		.amdhsa_kernarg_size 88
		.amdhsa_user_sgpr_count 6
		.amdhsa_user_sgpr_private_segment_buffer 1
		.amdhsa_user_sgpr_dispatch_ptr 0
		.amdhsa_user_sgpr_queue_ptr 0
		.amdhsa_user_sgpr_kernarg_segment_ptr 1
		.amdhsa_user_sgpr_dispatch_id 0
		.amdhsa_user_sgpr_flat_scratch_init 0
		.amdhsa_user_sgpr_private_segment_size 0
		.amdhsa_wavefront_size32 1
		.amdhsa_uses_dynamic_stack 0
		.amdhsa_system_sgpr_private_segment_wavefront_offset 0
		.amdhsa_system_sgpr_workgroup_id_x 1
		.amdhsa_system_sgpr_workgroup_id_y 0
		.amdhsa_system_sgpr_workgroup_id_z 0
		.amdhsa_system_sgpr_workgroup_info 0
		.amdhsa_system_vgpr_workitem_id 0
		.amdhsa_next_free_vgpr 95
		.amdhsa_next_free_sgpr 16
		.amdhsa_reserve_vcc 1
		.amdhsa_reserve_flat_scratch 0
		.amdhsa_float_round_mode_32 0
		.amdhsa_float_round_mode_16_64 0
		.amdhsa_float_denorm_mode_32 3
		.amdhsa_float_denorm_mode_16_64 3
		.amdhsa_dx10_clamp 1
		.amdhsa_ieee_mode 1
		.amdhsa_fp16_overflow 0
		.amdhsa_workgroup_processor_mode 1
		.amdhsa_memory_ordered 1
		.amdhsa_forward_progress 1
		.amdhsa_shared_vgpr_count 0
		.amdhsa_exception_fp_ieee_invalid_op 0
		.amdhsa_exception_fp_denorm_src 0
		.amdhsa_exception_fp_ieee_div_zero 0
		.amdhsa_exception_fp_ieee_overflow 0
		.amdhsa_exception_fp_ieee_underflow 0
		.amdhsa_exception_fp_ieee_inexact 0
		.amdhsa_exception_int_div_zero 0
	.end_amdhsa_kernel
	.section	.text._ZN9rocsparseL19gebsrmvn_3xn_kernelILj128ELj4ELj16E21rocsparse_complex_numIdEEEvi20rocsparse_direction_NS_24const_host_device_scalarIT2_EEPKiS8_PKS5_SA_S6_PS5_21rocsparse_index_base_b,"axG",@progbits,_ZN9rocsparseL19gebsrmvn_3xn_kernelILj128ELj4ELj16E21rocsparse_complex_numIdEEEvi20rocsparse_direction_NS_24const_host_device_scalarIT2_EEPKiS8_PKS5_SA_S6_PS5_21rocsparse_index_base_b,comdat
.Lfunc_end123:
	.size	_ZN9rocsparseL19gebsrmvn_3xn_kernelILj128ELj4ELj16E21rocsparse_complex_numIdEEEvi20rocsparse_direction_NS_24const_host_device_scalarIT2_EEPKiS8_PKS5_SA_S6_PS5_21rocsparse_index_base_b, .Lfunc_end123-_ZN9rocsparseL19gebsrmvn_3xn_kernelILj128ELj4ELj16E21rocsparse_complex_numIdEEEvi20rocsparse_direction_NS_24const_host_device_scalarIT2_EEPKiS8_PKS5_SA_S6_PS5_21rocsparse_index_base_b
                                        ; -- End function
	.set _ZN9rocsparseL19gebsrmvn_3xn_kernelILj128ELj4ELj16E21rocsparse_complex_numIdEEEvi20rocsparse_direction_NS_24const_host_device_scalarIT2_EEPKiS8_PKS5_SA_S6_PS5_21rocsparse_index_base_b.num_vgpr, 95
	.set _ZN9rocsparseL19gebsrmvn_3xn_kernelILj128ELj4ELj16E21rocsparse_complex_numIdEEEvi20rocsparse_direction_NS_24const_host_device_scalarIT2_EEPKiS8_PKS5_SA_S6_PS5_21rocsparse_index_base_b.num_agpr, 0
	.set _ZN9rocsparseL19gebsrmvn_3xn_kernelILj128ELj4ELj16E21rocsparse_complex_numIdEEEvi20rocsparse_direction_NS_24const_host_device_scalarIT2_EEPKiS8_PKS5_SA_S6_PS5_21rocsparse_index_base_b.numbered_sgpr, 16
	.set _ZN9rocsparseL19gebsrmvn_3xn_kernelILj128ELj4ELj16E21rocsparse_complex_numIdEEEvi20rocsparse_direction_NS_24const_host_device_scalarIT2_EEPKiS8_PKS5_SA_S6_PS5_21rocsparse_index_base_b.num_named_barrier, 0
	.set _ZN9rocsparseL19gebsrmvn_3xn_kernelILj128ELj4ELj16E21rocsparse_complex_numIdEEEvi20rocsparse_direction_NS_24const_host_device_scalarIT2_EEPKiS8_PKS5_SA_S6_PS5_21rocsparse_index_base_b.private_seg_size, 0
	.set _ZN9rocsparseL19gebsrmvn_3xn_kernelILj128ELj4ELj16E21rocsparse_complex_numIdEEEvi20rocsparse_direction_NS_24const_host_device_scalarIT2_EEPKiS8_PKS5_SA_S6_PS5_21rocsparse_index_base_b.uses_vcc, 1
	.set _ZN9rocsparseL19gebsrmvn_3xn_kernelILj128ELj4ELj16E21rocsparse_complex_numIdEEEvi20rocsparse_direction_NS_24const_host_device_scalarIT2_EEPKiS8_PKS5_SA_S6_PS5_21rocsparse_index_base_b.uses_flat_scratch, 0
	.set _ZN9rocsparseL19gebsrmvn_3xn_kernelILj128ELj4ELj16E21rocsparse_complex_numIdEEEvi20rocsparse_direction_NS_24const_host_device_scalarIT2_EEPKiS8_PKS5_SA_S6_PS5_21rocsparse_index_base_b.has_dyn_sized_stack, 0
	.set _ZN9rocsparseL19gebsrmvn_3xn_kernelILj128ELj4ELj16E21rocsparse_complex_numIdEEEvi20rocsparse_direction_NS_24const_host_device_scalarIT2_EEPKiS8_PKS5_SA_S6_PS5_21rocsparse_index_base_b.has_recursion, 0
	.set _ZN9rocsparseL19gebsrmvn_3xn_kernelILj128ELj4ELj16E21rocsparse_complex_numIdEEEvi20rocsparse_direction_NS_24const_host_device_scalarIT2_EEPKiS8_PKS5_SA_S6_PS5_21rocsparse_index_base_b.has_indirect_call, 0
	.section	.AMDGPU.csdata,"",@progbits
; Kernel info:
; codeLenInByte = 3620
; TotalNumSgprs: 18
; NumVgprs: 95
; ScratchSize: 0
; MemoryBound: 0
; FloatMode: 240
; IeeeMode: 1
; LDSByteSize: 0 bytes/workgroup (compile time only)
; SGPRBlocks: 0
; VGPRBlocks: 11
; NumSGPRsForWavesPerEU: 18
; NumVGPRsForWavesPerEU: 95
; Occupancy: 10
; WaveLimiterHint : 1
; COMPUTE_PGM_RSRC2:SCRATCH_EN: 0
; COMPUTE_PGM_RSRC2:USER_SGPR: 6
; COMPUTE_PGM_RSRC2:TRAP_HANDLER: 0
; COMPUTE_PGM_RSRC2:TGID_X_EN: 1
; COMPUTE_PGM_RSRC2:TGID_Y_EN: 0
; COMPUTE_PGM_RSRC2:TGID_Z_EN: 0
; COMPUTE_PGM_RSRC2:TIDIG_COMP_CNT: 0
	.section	.text._ZN9rocsparseL19gebsrmvn_3xn_kernelILj128ELj4ELj32E21rocsparse_complex_numIdEEEvi20rocsparse_direction_NS_24const_host_device_scalarIT2_EEPKiS8_PKS5_SA_S6_PS5_21rocsparse_index_base_b,"axG",@progbits,_ZN9rocsparseL19gebsrmvn_3xn_kernelILj128ELj4ELj32E21rocsparse_complex_numIdEEEvi20rocsparse_direction_NS_24const_host_device_scalarIT2_EEPKiS8_PKS5_SA_S6_PS5_21rocsparse_index_base_b,comdat
	.globl	_ZN9rocsparseL19gebsrmvn_3xn_kernelILj128ELj4ELj32E21rocsparse_complex_numIdEEEvi20rocsparse_direction_NS_24const_host_device_scalarIT2_EEPKiS8_PKS5_SA_S6_PS5_21rocsparse_index_base_b ; -- Begin function _ZN9rocsparseL19gebsrmvn_3xn_kernelILj128ELj4ELj32E21rocsparse_complex_numIdEEEvi20rocsparse_direction_NS_24const_host_device_scalarIT2_EEPKiS8_PKS5_SA_S6_PS5_21rocsparse_index_base_b
	.p2align	8
	.type	_ZN9rocsparseL19gebsrmvn_3xn_kernelILj128ELj4ELj32E21rocsparse_complex_numIdEEEvi20rocsparse_direction_NS_24const_host_device_scalarIT2_EEPKiS8_PKS5_SA_S6_PS5_21rocsparse_index_base_b,@function
_ZN9rocsparseL19gebsrmvn_3xn_kernelILj128ELj4ELj32E21rocsparse_complex_numIdEEEvi20rocsparse_direction_NS_24const_host_device_scalarIT2_EEPKiS8_PKS5_SA_S6_PS5_21rocsparse_index_base_b: ; @_ZN9rocsparseL19gebsrmvn_3xn_kernelILj128ELj4ELj32E21rocsparse_complex_numIdEEEvi20rocsparse_direction_NS_24const_host_device_scalarIT2_EEPKiS8_PKS5_SA_S6_PS5_21rocsparse_index_base_b
; %bb.0:
	s_clause 0x1
	s_load_dwordx2 s[2:3], s[4:5], 0x50
	s_load_dwordx2 s[0:1], s[4:5], 0x8
	s_add_u32 s7, s4, 8
	s_addc_u32 s10, s5, 0
	s_add_u32 s11, s4, 56
	s_addc_u32 s12, s5, 0
	s_load_dwordx2 s[8:9], s[4:5], 0x38
	s_waitcnt lgkmcnt(0)
	s_bitcmp1_b32 s3, 0
	s_cselect_b32 s0, s7, s0
	s_cselect_b32 s1, s10, s1
	v_mov_b32_e32 v1, s0
	v_mov_b32_e32 v2, s1
	s_cselect_b32 s0, s11, s8
	s_cselect_b32 s1, s12, s9
	v_mov_b32_e32 v5, s0
	v_mov_b32_e32 v6, s1
	flat_load_dwordx4 v[1:4], v[1:2]
	flat_load_dwordx4 v[5:8], v[5:6]
	s_waitcnt vmcnt(1) lgkmcnt(1)
	v_cmp_eq_f64_e32 vcc_lo, 0, v[1:2]
	v_cmp_eq_f64_e64 s0, 0, v[3:4]
	s_and_b32 s3, vcc_lo, s0
	s_mov_b32 s0, -1
	s_and_saveexec_b32 s1, s3
	s_cbranch_execz .LBB124_2
; %bb.1:
	s_waitcnt vmcnt(0) lgkmcnt(0)
	v_cmp_neq_f64_e32 vcc_lo, 1.0, v[5:6]
	v_cmp_neq_f64_e64 s0, 0, v[7:8]
	s_or_b32 s0, vcc_lo, s0
	s_orn2_b32 s0, s0, exec_lo
.LBB124_2:
	s_or_b32 exec_lo, exec_lo, s1
	s_and_saveexec_b32 s1, s0
	s_cbranch_execz .LBB124_21
; %bb.3:
	s_load_dwordx2 s[0:1], s[4:5], 0x0
	v_lshrrev_b32_e32 v9, 5, v0
	v_lshl_or_b32 v9, s6, 2, v9
	s_waitcnt lgkmcnt(0)
	v_cmp_gt_i32_e32 vcc_lo, s0, v9
	s_and_b32 exec_lo, exec_lo, vcc_lo
	s_cbranch_execz .LBB124_21
; %bb.4:
	s_load_dwordx8 s[8:15], s[4:5], 0x18
	v_ashrrev_i32_e32 v10, 31, v9
	v_and_b32_e32 v0, 31, v0
	s_cmp_lg_u32 s1, 0
	v_lshlrev_b64 v[10:11], 2, v[9:10]
	s_waitcnt lgkmcnt(0)
	v_add_co_u32 v10, vcc_lo, s8, v10
	v_add_co_ci_u32_e64 v11, null, s9, v11, vcc_lo
	global_load_dwordx2 v[10:11], v[10:11], off
	s_waitcnt vmcnt(0)
	v_subrev_nc_u32_e32 v10, s2, v10
	v_subrev_nc_u32_e32 v29, s2, v11
	v_add_nc_u32_e32 v22, v10, v0
	v_cmp_lt_i32_e64 s0, v22, v29
	s_cbranch_scc0 .LBB124_10
; %bb.5:
	v_mov_b32_e32 v10, 0
	v_mov_b32_e32 v16, 0
	;; [unrolled: 1-line block ×12, first 2 shown]
	s_and_saveexec_b32 s1, s0
	s_cbranch_execz .LBB124_9
; %bb.6:
	v_mad_u64_u32 v[23:24], null, v22, 12, 11
	v_mov_b32_e32 v10, 0
	v_mov_b32_e32 v16, 0
	;; [unrolled: 1-line block ×14, first 2 shown]
	s_mov_b32 s3, 0
.LBB124_7:                              ; =>This Inner Loop Header: Depth=1
	v_ashrrev_i32_e32 v28, 31, v27
	v_mov_b32_e32 v43, v26
	v_lshlrev_b64 v[24:25], 2, v[27:28]
	v_add_nc_u32_e32 v27, 32, v27
	v_add_co_u32 v24, vcc_lo, s10, v24
	v_add_co_ci_u32_e64 v25, null, s11, v25, vcc_lo
	global_load_dword v28, v[24:25], off
	v_add_nc_u32_e32 v25, -11, v23
	v_lshlrev_b64 v[24:25], 4, v[25:26]
	v_add_co_u32 v46, vcc_lo, s12, v24
	v_add_co_ci_u32_e64 v47, null, s13, v25, vcc_lo
	s_clause 0x3
	global_load_dwordx4 v[30:33], v[46:47], off offset:32
	global_load_dwordx4 v[34:37], v[46:47], off offset:16
	global_load_dwordx4 v[38:41], v[46:47], off
	global_load_dwordx4 v[46:49], v[46:47], off offset:48
	s_waitcnt vmcnt(4)
	v_subrev_nc_u32_e32 v24, s2, v28
	v_lshlrev_b32_e32 v42, 2, v24
	v_lshlrev_b64 v[24:25], 4, v[42:43]
	v_add_co_u32 v90, vcc_lo, s14, v24
	v_add_co_ci_u32_e64 v91, null, s15, v25, vcc_lo
	v_add_nc_u32_e32 v25, -7, v23
	global_load_dwordx4 v[42:45], v[90:91], off
	v_lshlrev_b64 v[50:51], 4, v[25:26]
	v_add_nc_u32_e32 v25, -6, v23
	v_lshlrev_b64 v[24:25], 4, v[25:26]
	v_add_co_u32 v50, vcc_lo, s12, v50
	v_add_co_ci_u32_e64 v51, null, s13, v51, vcc_lo
	v_add_co_u32 v24, vcc_lo, s12, v24
	v_add_co_ci_u32_e64 v25, null, s13, v25, vcc_lo
	s_clause 0x1
	global_load_dwordx4 v[50:53], v[50:51], off
	global_load_dwordx4 v[54:57], v[24:25], off
	global_load_dwordx4 v[58:61], v[90:91], off offset:16
	v_add_nc_u32_e32 v25, -5, v23
	v_mov_b32_e32 v24, v26
	v_lshlrev_b64 v[62:63], 4, v[25:26]
	v_add_nc_u32_e32 v25, -4, v23
	v_lshlrev_b64 v[66:67], 4, v[25:26]
	v_add_nc_u32_e32 v25, -3, v23
	v_add_co_u32 v62, vcc_lo, s12, v62
	v_add_co_ci_u32_e64 v63, null, s13, v63, vcc_lo
	v_lshlrev_b64 v[68:69], 4, v[25:26]
	v_add_co_u32 v66, vcc_lo, s12, v66
	v_add_co_ci_u32_e64 v67, null, s13, v67, vcc_lo
	global_load_dwordx4 v[62:65], v[62:63], off
	v_add_co_u32 v70, vcc_lo, s12, v68
	v_add_co_ci_u32_e64 v71, null, s13, v69, vcc_lo
	s_clause 0x1
	global_load_dwordx4 v[66:69], v[66:67], off
	global_load_dwordx4 v[70:73], v[70:71], off
	global_load_dwordx4 v[74:77], v[90:91], off offset:32
	v_lshlrev_b64 v[24:25], 4, v[23:24]
	v_add_co_u32 v24, vcc_lo, s12, v24
	v_add_co_ci_u32_e64 v25, null, s13, v25, vcc_lo
	global_load_dwordx4 v[78:81], v[24:25], off
	v_add_nc_u32_e32 v25, -2, v23
	v_lshlrev_b64 v[82:83], 4, v[25:26]
	v_add_nc_u32_e32 v25, -1, v23
	v_add_nc_u32_e32 v23, 0x180, v23
	v_lshlrev_b64 v[24:25], 4, v[25:26]
	v_add_co_u32 v82, vcc_lo, s12, v82
	v_add_co_ci_u32_e64 v83, null, s13, v83, vcc_lo
	v_add_co_u32 v24, vcc_lo, s12, v24
	v_add_co_ci_u32_e64 v25, null, s13, v25, vcc_lo
	s_clause 0x1
	global_load_dwordx4 v[82:85], v[82:83], off
	global_load_dwordx4 v[86:89], v[24:25], off
	global_load_dwordx4 v[90:93], v[90:91], off offset:48
	v_cmp_ge_i32_e32 vcc_lo, v27, v29
	s_or_b32 s3, vcc_lo, s3
	s_waitcnt vmcnt(11)
	v_fma_f64 v[16:17], v[38:39], v[42:43], v[16:17]
	v_fma_f64 v[10:11], v[40:41], v[42:43], v[10:11]
	v_fma_f64 v[18:19], v[34:35], v[42:43], v[18:19]
	v_fma_f64 v[20:21], v[36:37], v[42:43], v[20:21]
	v_fma_f64 v[12:13], v[30:31], v[42:43], v[12:13]
	v_fma_f64 v[14:15], v[32:33], v[42:43], v[14:15]
	v_fma_f64 v[16:17], -v[40:41], v[44:45], v[16:17]
	v_fma_f64 v[10:11], v[38:39], v[44:45], v[10:11]
	v_fma_f64 v[18:19], -v[36:37], v[44:45], v[18:19]
	v_fma_f64 v[20:21], v[34:35], v[44:45], v[20:21]
	v_fma_f64 v[12:13], -v[32:33], v[44:45], v[12:13]
	v_fma_f64 v[14:15], v[30:31], v[44:45], v[14:15]
	s_waitcnt vmcnt(8)
	v_fma_f64 v[16:17], v[46:47], v[58:59], v[16:17]
	v_fma_f64 v[10:11], v[48:49], v[58:59], v[10:11]
	v_fma_f64 v[18:19], v[50:51], v[58:59], v[18:19]
	v_fma_f64 v[20:21], v[52:53], v[58:59], v[20:21]
	v_fma_f64 v[12:13], v[54:55], v[58:59], v[12:13]
	v_fma_f64 v[14:15], v[56:57], v[58:59], v[14:15]
	v_fma_f64 v[16:17], -v[48:49], v[60:61], v[16:17]
	v_fma_f64 v[10:11], v[46:47], v[60:61], v[10:11]
	v_fma_f64 v[18:19], -v[52:53], v[60:61], v[18:19]
	v_fma_f64 v[20:21], v[50:51], v[60:61], v[20:21]
	v_fma_f64 v[12:13], -v[56:57], v[60:61], v[12:13]
	v_fma_f64 v[14:15], v[54:55], v[60:61], v[14:15]
	;; [unrolled: 13-line block ×4, first 2 shown]
	s_andn2_b32 exec_lo, exec_lo, s3
	s_cbranch_execnz .LBB124_7
; %bb.8:
	s_or_b32 exec_lo, exec_lo, s3
.LBB124_9:
	s_or_b32 exec_lo, exec_lo, s1
	s_cbranch_execz .LBB124_11
	s_branch .LBB124_16
.LBB124_10:
                                        ; implicit-def: $vgpr10_vgpr11
                                        ; implicit-def: $vgpr16_vgpr17
                                        ; implicit-def: $vgpr12_vgpr13
                                        ; implicit-def: $vgpr14_vgpr15
                                        ; implicit-def: $vgpr18_vgpr19
                                        ; implicit-def: $vgpr20_vgpr21
.LBB124_11:
	v_mov_b32_e32 v10, 0
	v_mov_b32_e32 v16, 0
	;; [unrolled: 1-line block ×12, first 2 shown]
	s_and_saveexec_b32 s1, s0
	s_cbranch_execz .LBB124_15
; %bb.12:
	v_mad_u64_u32 v[24:25], null, v22, 12, 11
	v_mov_b32_e32 v10, 0
	v_mov_b32_e32 v16, 0
	;; [unrolled: 1-line block ×13, first 2 shown]
	s_mov_b32 s0, 0
.LBB124_13:                             ; =>This Inner Loop Header: Depth=1
	v_ashrrev_i32_e32 v23, 31, v22
	v_add_nc_u32_e32 v30, -7, v24
	v_mov_b32_e32 v31, v27
	v_add_nc_u32_e32 v32, -3, v24
	v_mov_b32_e32 v33, v27
	v_lshlrev_b64 v[25:26], 2, v[22:23]
	v_mov_b32_e32 v47, v27
	v_lshlrev_b64 v[30:31], 4, v[30:31]
	v_add_nc_u32_e32 v22, 32, v22
	v_lshlrev_b64 v[32:33], 4, v[32:33]
	v_add_co_u32 v25, vcc_lo, s10, v25
	v_add_co_ci_u32_e64 v26, null, s11, v26, vcc_lo
	global_load_dword v23, v[25:26], off
	v_add_nc_u32_e32 v26, -11, v24
	v_lshlrev_b64 v[25:26], 4, v[26:27]
	v_add_co_u32 v54, vcc_lo, s12, v25
	v_add_co_ci_u32_e64 v55, null, s13, v26, vcc_lo
	v_add_co_u32 v25, vcc_lo, s12, v30
	v_add_co_ci_u32_e64 v26, null, s13, v31, vcc_lo
	;; [unrolled: 2-line block ×3, first 2 shown]
	s_clause 0x3
	global_load_dwordx4 v[30:33], v[54:55], off offset:16
	global_load_dwordx4 v[34:37], v[54:55], off
	global_load_dwordx4 v[38:41], v[25:26], off
	global_load_dwordx4 v[42:45], v[42:43], off
	s_waitcnt vmcnt(4)
	v_subrev_nc_u32_e32 v23, s2, v23
	v_lshlrev_b32_e32 v46, 2, v23
	v_lshlrev_b64 v[25:26], 4, v[46:47]
	v_add_co_u32 v82, vcc_lo, s14, v25
	v_add_co_ci_u32_e64 v83, null, s15, v26, vcc_lo
	v_add_nc_u32_e32 v26, -6, v24
	v_mov_b32_e32 v25, v27
	global_load_dwordx4 v[46:49], v[82:83], off
	v_lshlrev_b64 v[58:59], 4, v[26:27]
	v_add_nc_u32_e32 v26, -2, v24
	v_lshlrev_b64 v[50:51], 4, v[24:25]
	v_lshlrev_b64 v[60:61], 4, v[26:27]
	v_add_nc_u32_e32 v26, -5, v24
	v_add_co_u32 v84, vcc_lo, s12, v50
	v_add_co_ci_u32_e64 v85, null, s13, v51, vcc_lo
	v_add_co_u32 v58, vcc_lo, s12, v58
	v_add_co_ci_u32_e64 v59, null, s13, v59, vcc_lo
	v_add_co_u32 v25, vcc_lo, s12, v60
	v_lshlrev_b64 v[70:71], 4, v[26:27]
	v_add_co_ci_u32_e64 v26, null, s13, v61, vcc_lo
	s_clause 0x3
	global_load_dwordx4 v[50:53], v[54:55], off offset:48
	global_load_dwordx4 v[54:57], v[54:55], off offset:32
	global_load_dwordx4 v[58:61], v[58:59], off
	global_load_dwordx4 v[62:65], v[25:26], off
	global_load_dwordx4 v[66:69], v[82:83], off offset:16
	v_add_nc_u32_e32 v26, -1, v24
	v_add_co_u32 v70, vcc_lo, s12, v70
	v_add_co_ci_u32_e64 v71, null, s13, v71, vcc_lo
	v_lshlrev_b64 v[72:73], 4, v[26:27]
	v_add_nc_u32_e32 v26, -4, v24
	v_add_nc_u32_e32 v24, 0x180, v24
	v_add_co_u32 v74, vcc_lo, s12, v72
	v_add_co_ci_u32_e64 v75, null, s13, v73, vcc_lo
	s_clause 0x1
	global_load_dwordx4 v[70:73], v[70:71], off
	global_load_dwordx4 v[74:77], v[74:75], off
	global_load_dwordx4 v[78:81], v[82:83], off offset:32
	v_lshlrev_b64 v[25:26], 4, v[26:27]
	v_add_co_u32 v25, vcc_lo, s12, v25
	v_add_co_ci_u32_e64 v26, null, s13, v26, vcc_lo
	v_cmp_ge_i32_e32 vcc_lo, v22, v29
	s_or_b32 s0, vcc_lo, s0
	s_waitcnt vmcnt(8)
	v_fma_f64 v[16:17], v[34:35], v[46:47], v[16:17]
	v_fma_f64 v[10:11], v[36:37], v[46:47], v[10:11]
	;; [unrolled: 1-line block ×6, first 2 shown]
	v_fma_f64 v[16:17], -v[36:37], v[48:49], v[16:17]
	v_fma_f64 v[10:11], v[34:35], v[48:49], v[10:11]
	global_load_dwordx4 v[34:37], v[25:26], off
	v_fma_f64 v[18:19], -v[40:41], v[48:49], v[18:19]
	v_fma_f64 v[20:21], v[38:39], v[48:49], v[20:21]
	global_load_dwordx4 v[38:41], v[84:85], off
	global_load_dwordx4 v[82:85], v[82:83], off offset:48
	v_fma_f64 v[12:13], -v[44:45], v[48:49], v[12:13]
	v_fma_f64 v[14:15], v[42:43], v[48:49], v[14:15]
	s_waitcnt vmcnt(6)
	v_fma_f64 v[16:17], v[30:31], v[66:67], v[16:17]
	v_fma_f64 v[10:11], v[32:33], v[66:67], v[10:11]
	v_fma_f64 v[18:19], v[58:59], v[66:67], v[18:19]
	v_fma_f64 v[20:21], v[60:61], v[66:67], v[20:21]
	v_fma_f64 v[12:13], v[62:63], v[66:67], v[12:13]
	v_fma_f64 v[14:15], v[64:65], v[66:67], v[14:15]
	v_fma_f64 v[16:17], -v[32:33], v[68:69], v[16:17]
	v_fma_f64 v[10:11], v[30:31], v[68:69], v[10:11]
	v_fma_f64 v[18:19], -v[60:61], v[68:69], v[18:19]
	v_fma_f64 v[20:21], v[58:59], v[68:69], v[20:21]
	v_fma_f64 v[12:13], -v[64:65], v[68:69], v[12:13]
	v_fma_f64 v[14:15], v[62:63], v[68:69], v[14:15]
	s_waitcnt vmcnt(3)
	v_fma_f64 v[16:17], v[54:55], v[78:79], v[16:17]
	v_fma_f64 v[10:11], v[56:57], v[78:79], v[10:11]
	v_fma_f64 v[18:19], v[70:71], v[78:79], v[18:19]
	v_fma_f64 v[20:21], v[72:73], v[78:79], v[20:21]
	v_fma_f64 v[12:13], v[74:75], v[78:79], v[12:13]
	v_fma_f64 v[14:15], v[76:77], v[78:79], v[14:15]
	v_fma_f64 v[16:17], -v[56:57], v[80:81], v[16:17]
	v_fma_f64 v[10:11], v[54:55], v[80:81], v[10:11]
	v_fma_f64 v[18:19], -v[72:73], v[80:81], v[18:19]
	v_fma_f64 v[20:21], v[70:71], v[80:81], v[20:21]
	;; [unrolled: 13-line block ×3, first 2 shown]
	v_fma_f64 v[12:13], -v[40:41], v[84:85], v[12:13]
	v_fma_f64 v[14:15], v[38:39], v[84:85], v[14:15]
	s_andn2_b32 exec_lo, exec_lo, s0
	s_cbranch_execnz .LBB124_13
; %bb.14:
	s_or_b32 exec_lo, exec_lo, s0
.LBB124_15:
	s_or_b32 exec_lo, exec_lo, s1
.LBB124_16:
	v_mbcnt_lo_u32_b32 v36, -1, 0
	v_xor_b32_e32 v22, 16, v36
	v_cmp_gt_i32_e32 vcc_lo, 32, v22
	v_cndmask_b32_e32 v22, v36, v22, vcc_lo
	v_lshlrev_b32_e32 v33, 2, v22
	ds_bpermute_b32 v22, v33, v16
	ds_bpermute_b32 v23, v33, v17
	;; [unrolled: 1-line block ×12, first 2 shown]
	s_waitcnt lgkmcnt(10)
	v_add_f64 v[16:17], v[16:17], v[22:23]
	v_xor_b32_e32 v22, 8, v36
	s_waitcnt lgkmcnt(8)
	v_add_f64 v[10:11], v[10:11], v[24:25]
	s_waitcnt lgkmcnt(6)
	v_add_f64 v[18:19], v[18:19], v[26:27]
	;; [unrolled: 2-line block ×3, first 2 shown]
	v_cmp_gt_i32_e32 vcc_lo, 32, v22
	s_waitcnt lgkmcnt(2)
	v_add_f64 v[12:13], v[12:13], v[30:31]
	s_waitcnt lgkmcnt(0)
	v_add_f64 v[14:15], v[14:15], v[32:33]
	v_cndmask_b32_e32 v22, v36, v22, vcc_lo
	v_lshlrev_b32_e32 v33, 2, v22
	ds_bpermute_b32 v22, v33, v16
	ds_bpermute_b32 v23, v33, v17
	ds_bpermute_b32 v24, v33, v10
	ds_bpermute_b32 v25, v33, v11
	ds_bpermute_b32 v26, v33, v18
	ds_bpermute_b32 v27, v33, v19
	ds_bpermute_b32 v28, v33, v20
	ds_bpermute_b32 v29, v33, v21
	ds_bpermute_b32 v30, v33, v12
	ds_bpermute_b32 v31, v33, v13
	ds_bpermute_b32 v32, v33, v14
	ds_bpermute_b32 v33, v33, v15
	s_waitcnt lgkmcnt(10)
	v_add_f64 v[16:17], v[16:17], v[22:23]
	v_xor_b32_e32 v22, 4, v36
	s_waitcnt lgkmcnt(8)
	v_add_f64 v[10:11], v[10:11], v[24:25]
	s_waitcnt lgkmcnt(6)
	v_add_f64 v[18:19], v[18:19], v[26:27]
	;; [unrolled: 2-line block ×3, first 2 shown]
	v_cmp_gt_i32_e32 vcc_lo, 32, v22
	s_waitcnt lgkmcnt(2)
	v_add_f64 v[12:13], v[12:13], v[30:31]
	s_waitcnt lgkmcnt(0)
	v_add_f64 v[14:15], v[14:15], v[32:33]
	v_cndmask_b32_e32 v22, v36, v22, vcc_lo
	v_lshlrev_b32_e32 v33, 2, v22
	ds_bpermute_b32 v22, v33, v16
	ds_bpermute_b32 v23, v33, v17
	;; [unrolled: 1-line block ×12, first 2 shown]
	s_waitcnt lgkmcnt(10)
	v_add_f64 v[16:17], v[16:17], v[22:23]
	s_waitcnt lgkmcnt(8)
	v_add_f64 v[22:23], v[10:11], v[24:25]
	v_xor_b32_e32 v10, 2, v36
	s_waitcnt lgkmcnt(6)
	v_add_f64 v[18:19], v[18:19], v[26:27]
	s_waitcnt lgkmcnt(4)
	v_add_f64 v[24:25], v[20:21], v[28:29]
	;; [unrolled: 2-line block ×3, first 2 shown]
	v_cmp_gt_i32_e32 vcc_lo, 32, v10
	s_waitcnt lgkmcnt(0)
	v_add_f64 v[28:29], v[14:15], v[32:33]
	v_cndmask_b32_e32 v10, v36, v10, vcc_lo
	v_lshlrev_b32_e32 v20, 2, v10
	ds_bpermute_b32 v10, v20, v16
	ds_bpermute_b32 v11, v20, v17
	;; [unrolled: 1-line block ×12, first 2 shown]
	s_waitcnt lgkmcnt(10)
	v_add_f64 v[10:11], v[16:17], v[10:11]
	s_waitcnt lgkmcnt(8)
	v_add_f64 v[20:21], v[22:23], v[12:13]
	v_xor_b32_e32 v22, 1, v36
	s_waitcnt lgkmcnt(6)
	v_add_f64 v[12:13], v[18:19], v[14:15]
	s_waitcnt lgkmcnt(4)
	v_add_f64 v[18:19], v[24:25], v[30:31]
	;; [unrolled: 2-line block ×3, first 2 shown]
	v_cmp_gt_i32_e32 vcc_lo, 32, v22
	s_waitcnt lgkmcnt(0)
	v_add_f64 v[16:17], v[28:29], v[34:35]
	v_cndmask_b32_e32 v22, v36, v22, vcc_lo
	v_cmp_eq_u32_e32 vcc_lo, 31, v0
	v_lshlrev_b32_e32 v25, 2, v22
	ds_bpermute_b32 v32, v25, v10
	ds_bpermute_b32 v33, v25, v11
	;; [unrolled: 1-line block ×12, first 2 shown]
	s_and_b32 exec_lo, exec_lo, vcc_lo
	s_cbranch_execz .LBB124_21
; %bb.17:
	v_cmp_eq_f64_e32 vcc_lo, 0, v[5:6]
	v_cmp_eq_f64_e64 s0, 0, v[7:8]
	s_waitcnt lgkmcnt(10)
	v_add_f64 v[10:11], v[10:11], v[32:33]
	s_waitcnt lgkmcnt(8)
	v_add_f64 v[20:21], v[20:21], v[30:31]
	;; [unrolled: 2-line block ×6, first 2 shown]
	s_load_dwordx2 s[2:3], s[4:5], 0x48
	s_and_b32 s0, vcc_lo, s0
	s_and_saveexec_b32 s1, s0
	s_xor_b32 s0, exec_lo, s1
	s_cbranch_execz .LBB124_19
; %bb.18:
	v_mul_f64 v[5:6], v[20:21], -v[3:4]
	v_mul_f64 v[7:8], v[1:2], v[20:21]
	v_mul_f64 v[20:21], v[18:19], -v[3:4]
	v_mul_f64 v[18:19], v[1:2], v[18:19]
	;; [unrolled: 2-line block ×3, first 2 shown]
	v_lshl_add_u32 v24, v9, 1, v9
	v_ashrrev_i32_e32 v25, 31, v24
	v_fma_f64 v[5:6], v[1:2], v[10:11], v[5:6]
	v_fma_f64 v[7:8], v[3:4], v[10:11], v[7:8]
	;; [unrolled: 1-line block ×6, first 2 shown]
	v_lshlrev_b64 v[13:14], 4, v[24:25]
                                        ; implicit-def: $vgpr20_vgpr21
                                        ; implicit-def: $vgpr18_vgpr19
                                        ; implicit-def: $vgpr16_vgpr17
	s_waitcnt lgkmcnt(0)
	v_add_co_u32 v13, vcc_lo, s2, v13
	v_add_co_ci_u32_e64 v14, null, s3, v14, vcc_lo
	global_store_dwordx4 v[13:14], v[5:8], off
	global_store_dwordx4 v[13:14], v[9:12], off offset:16
	global_store_dwordx4 v[13:14], v[0:3], off offset:32
                                        ; implicit-def: $vgpr9
                                        ; implicit-def: $vgpr10_vgpr11
                                        ; implicit-def: $vgpr12_vgpr13
                                        ; implicit-def: $vgpr14_vgpr15
                                        ; implicit-def: $vgpr7_vgpr8
                                        ; implicit-def: $vgpr3_vgpr4
.LBB124_19:
	s_andn2_saveexec_b32 s0, s0
	s_cbranch_execz .LBB124_21
; %bb.20:
	v_lshl_add_u32 v22, v9, 1, v9
	v_mul_f64 v[36:37], v[20:21], -v[3:4]
	v_mul_f64 v[20:21], v[1:2], v[20:21]
	v_mul_f64 v[38:39], v[18:19], -v[3:4]
	v_mul_f64 v[18:19], v[1:2], v[18:19]
	v_ashrrev_i32_e32 v23, 31, v22
	v_mul_f64 v[40:41], v[16:17], -v[3:4]
	v_mul_f64 v[16:17], v[1:2], v[16:17]
	v_lshlrev_b64 v[22:23], 4, v[22:23]
	s_waitcnt lgkmcnt(0)
	v_add_co_u32 v34, vcc_lo, s2, v22
	v_add_co_ci_u32_e64 v35, null, s3, v23, vcc_lo
	s_clause 0x2
	global_load_dwordx4 v[22:25], v[34:35], off
	global_load_dwordx4 v[26:29], v[34:35], off offset:16
	global_load_dwordx4 v[30:33], v[34:35], off offset:32
	v_fma_f64 v[36:37], v[1:2], v[10:11], v[36:37]
	v_fma_f64 v[9:10], v[3:4], v[10:11], v[20:21]
	;; [unrolled: 1-line block ×6, first 2 shown]
	s_waitcnt vmcnt(2)
	v_fma_f64 v[13:14], v[5:6], v[22:23], v[36:37]
	v_fma_f64 v[9:10], v[7:8], v[22:23], v[9:10]
	s_waitcnt vmcnt(1)
	v_fma_f64 v[15:16], v[5:6], v[26:27], v[20:21]
	v_fma_f64 v[11:12], v[7:8], v[26:27], v[11:12]
	;; [unrolled: 3-line block ×3, first 2 shown]
	v_fma_f64 v[0:1], -v[7:8], v[24:25], v[13:14]
	v_fma_f64 v[2:3], v[5:6], v[24:25], v[9:10]
	v_fma_f64 v[9:10], -v[7:8], v[28:29], v[15:16]
	v_fma_f64 v[11:12], v[5:6], v[28:29], v[11:12]
	;; [unrolled: 2-line block ×3, first 2 shown]
	global_store_dwordx4 v[34:35], v[0:3], off
	global_store_dwordx4 v[34:35], v[9:12], off offset:16
	global_store_dwordx4 v[34:35], v[13:16], off offset:32
.LBB124_21:
	s_endpgm
	.section	.rodata,"a",@progbits
	.p2align	6, 0x0
	.amdhsa_kernel _ZN9rocsparseL19gebsrmvn_3xn_kernelILj128ELj4ELj32E21rocsparse_complex_numIdEEEvi20rocsparse_direction_NS_24const_host_device_scalarIT2_EEPKiS8_PKS5_SA_S6_PS5_21rocsparse_index_base_b
		.amdhsa_group_segment_fixed_size 0
		.amdhsa_private_segment_fixed_size 0
		.amdhsa_kernarg_size 88
		.amdhsa_user_sgpr_count 6
		.amdhsa_user_sgpr_private_segment_buffer 1
		.amdhsa_user_sgpr_dispatch_ptr 0
		.amdhsa_user_sgpr_queue_ptr 0
		.amdhsa_user_sgpr_kernarg_segment_ptr 1
		.amdhsa_user_sgpr_dispatch_id 0
		.amdhsa_user_sgpr_flat_scratch_init 0
		.amdhsa_user_sgpr_private_segment_size 0
		.amdhsa_wavefront_size32 1
		.amdhsa_uses_dynamic_stack 0
		.amdhsa_system_sgpr_private_segment_wavefront_offset 0
		.amdhsa_system_sgpr_workgroup_id_x 1
		.amdhsa_system_sgpr_workgroup_id_y 0
		.amdhsa_system_sgpr_workgroup_id_z 0
		.amdhsa_system_sgpr_workgroup_info 0
		.amdhsa_system_vgpr_workitem_id 0
		.amdhsa_next_free_vgpr 94
		.amdhsa_next_free_sgpr 16
		.amdhsa_reserve_vcc 1
		.amdhsa_reserve_flat_scratch 0
		.amdhsa_float_round_mode_32 0
		.amdhsa_float_round_mode_16_64 0
		.amdhsa_float_denorm_mode_32 3
		.amdhsa_float_denorm_mode_16_64 3
		.amdhsa_dx10_clamp 1
		.amdhsa_ieee_mode 1
		.amdhsa_fp16_overflow 0
		.amdhsa_workgroup_processor_mode 1
		.amdhsa_memory_ordered 1
		.amdhsa_forward_progress 1
		.amdhsa_shared_vgpr_count 0
		.amdhsa_exception_fp_ieee_invalid_op 0
		.amdhsa_exception_fp_denorm_src 0
		.amdhsa_exception_fp_ieee_div_zero 0
		.amdhsa_exception_fp_ieee_overflow 0
		.amdhsa_exception_fp_ieee_underflow 0
		.amdhsa_exception_fp_ieee_inexact 0
		.amdhsa_exception_int_div_zero 0
	.end_amdhsa_kernel
	.section	.text._ZN9rocsparseL19gebsrmvn_3xn_kernelILj128ELj4ELj32E21rocsparse_complex_numIdEEEvi20rocsparse_direction_NS_24const_host_device_scalarIT2_EEPKiS8_PKS5_SA_S6_PS5_21rocsparse_index_base_b,"axG",@progbits,_ZN9rocsparseL19gebsrmvn_3xn_kernelILj128ELj4ELj32E21rocsparse_complex_numIdEEEvi20rocsparse_direction_NS_24const_host_device_scalarIT2_EEPKiS8_PKS5_SA_S6_PS5_21rocsparse_index_base_b,comdat
.Lfunc_end124:
	.size	_ZN9rocsparseL19gebsrmvn_3xn_kernelILj128ELj4ELj32E21rocsparse_complex_numIdEEEvi20rocsparse_direction_NS_24const_host_device_scalarIT2_EEPKiS8_PKS5_SA_S6_PS5_21rocsparse_index_base_b, .Lfunc_end124-_ZN9rocsparseL19gebsrmvn_3xn_kernelILj128ELj4ELj32E21rocsparse_complex_numIdEEEvi20rocsparse_direction_NS_24const_host_device_scalarIT2_EEPKiS8_PKS5_SA_S6_PS5_21rocsparse_index_base_b
                                        ; -- End function
	.set _ZN9rocsparseL19gebsrmvn_3xn_kernelILj128ELj4ELj32E21rocsparse_complex_numIdEEEvi20rocsparse_direction_NS_24const_host_device_scalarIT2_EEPKiS8_PKS5_SA_S6_PS5_21rocsparse_index_base_b.num_vgpr, 94
	.set _ZN9rocsparseL19gebsrmvn_3xn_kernelILj128ELj4ELj32E21rocsparse_complex_numIdEEEvi20rocsparse_direction_NS_24const_host_device_scalarIT2_EEPKiS8_PKS5_SA_S6_PS5_21rocsparse_index_base_b.num_agpr, 0
	.set _ZN9rocsparseL19gebsrmvn_3xn_kernelILj128ELj4ELj32E21rocsparse_complex_numIdEEEvi20rocsparse_direction_NS_24const_host_device_scalarIT2_EEPKiS8_PKS5_SA_S6_PS5_21rocsparse_index_base_b.numbered_sgpr, 16
	.set _ZN9rocsparseL19gebsrmvn_3xn_kernelILj128ELj4ELj32E21rocsparse_complex_numIdEEEvi20rocsparse_direction_NS_24const_host_device_scalarIT2_EEPKiS8_PKS5_SA_S6_PS5_21rocsparse_index_base_b.num_named_barrier, 0
	.set _ZN9rocsparseL19gebsrmvn_3xn_kernelILj128ELj4ELj32E21rocsparse_complex_numIdEEEvi20rocsparse_direction_NS_24const_host_device_scalarIT2_EEPKiS8_PKS5_SA_S6_PS5_21rocsparse_index_base_b.private_seg_size, 0
	.set _ZN9rocsparseL19gebsrmvn_3xn_kernelILj128ELj4ELj32E21rocsparse_complex_numIdEEEvi20rocsparse_direction_NS_24const_host_device_scalarIT2_EEPKiS8_PKS5_SA_S6_PS5_21rocsparse_index_base_b.uses_vcc, 1
	.set _ZN9rocsparseL19gebsrmvn_3xn_kernelILj128ELj4ELj32E21rocsparse_complex_numIdEEEvi20rocsparse_direction_NS_24const_host_device_scalarIT2_EEPKiS8_PKS5_SA_S6_PS5_21rocsparse_index_base_b.uses_flat_scratch, 0
	.set _ZN9rocsparseL19gebsrmvn_3xn_kernelILj128ELj4ELj32E21rocsparse_complex_numIdEEEvi20rocsparse_direction_NS_24const_host_device_scalarIT2_EEPKiS8_PKS5_SA_S6_PS5_21rocsparse_index_base_b.has_dyn_sized_stack, 0
	.set _ZN9rocsparseL19gebsrmvn_3xn_kernelILj128ELj4ELj32E21rocsparse_complex_numIdEEEvi20rocsparse_direction_NS_24const_host_device_scalarIT2_EEPKiS8_PKS5_SA_S6_PS5_21rocsparse_index_base_b.has_recursion, 0
	.set _ZN9rocsparseL19gebsrmvn_3xn_kernelILj128ELj4ELj32E21rocsparse_complex_numIdEEEvi20rocsparse_direction_NS_24const_host_device_scalarIT2_EEPKiS8_PKS5_SA_S6_PS5_21rocsparse_index_base_b.has_indirect_call, 0
	.section	.AMDGPU.csdata,"",@progbits
; Kernel info:
; codeLenInByte = 3804
; TotalNumSgprs: 18
; NumVgprs: 94
; ScratchSize: 0
; MemoryBound: 0
; FloatMode: 240
; IeeeMode: 1
; LDSByteSize: 0 bytes/workgroup (compile time only)
; SGPRBlocks: 0
; VGPRBlocks: 11
; NumSGPRsForWavesPerEU: 18
; NumVGPRsForWavesPerEU: 94
; Occupancy: 10
; WaveLimiterHint : 1
; COMPUTE_PGM_RSRC2:SCRATCH_EN: 0
; COMPUTE_PGM_RSRC2:USER_SGPR: 6
; COMPUTE_PGM_RSRC2:TRAP_HANDLER: 0
; COMPUTE_PGM_RSRC2:TGID_X_EN: 1
; COMPUTE_PGM_RSRC2:TGID_Y_EN: 0
; COMPUTE_PGM_RSRC2:TGID_Z_EN: 0
; COMPUTE_PGM_RSRC2:TIDIG_COMP_CNT: 0
	.section	.text._ZN9rocsparseL19gebsrmvn_3xn_kernelILj128ELj4ELj64E21rocsparse_complex_numIdEEEvi20rocsparse_direction_NS_24const_host_device_scalarIT2_EEPKiS8_PKS5_SA_S6_PS5_21rocsparse_index_base_b,"axG",@progbits,_ZN9rocsparseL19gebsrmvn_3xn_kernelILj128ELj4ELj64E21rocsparse_complex_numIdEEEvi20rocsparse_direction_NS_24const_host_device_scalarIT2_EEPKiS8_PKS5_SA_S6_PS5_21rocsparse_index_base_b,comdat
	.globl	_ZN9rocsparseL19gebsrmvn_3xn_kernelILj128ELj4ELj64E21rocsparse_complex_numIdEEEvi20rocsparse_direction_NS_24const_host_device_scalarIT2_EEPKiS8_PKS5_SA_S6_PS5_21rocsparse_index_base_b ; -- Begin function _ZN9rocsparseL19gebsrmvn_3xn_kernelILj128ELj4ELj64E21rocsparse_complex_numIdEEEvi20rocsparse_direction_NS_24const_host_device_scalarIT2_EEPKiS8_PKS5_SA_S6_PS5_21rocsparse_index_base_b
	.p2align	8
	.type	_ZN9rocsparseL19gebsrmvn_3xn_kernelILj128ELj4ELj64E21rocsparse_complex_numIdEEEvi20rocsparse_direction_NS_24const_host_device_scalarIT2_EEPKiS8_PKS5_SA_S6_PS5_21rocsparse_index_base_b,@function
_ZN9rocsparseL19gebsrmvn_3xn_kernelILj128ELj4ELj64E21rocsparse_complex_numIdEEEvi20rocsparse_direction_NS_24const_host_device_scalarIT2_EEPKiS8_PKS5_SA_S6_PS5_21rocsparse_index_base_b: ; @_ZN9rocsparseL19gebsrmvn_3xn_kernelILj128ELj4ELj64E21rocsparse_complex_numIdEEEvi20rocsparse_direction_NS_24const_host_device_scalarIT2_EEPKiS8_PKS5_SA_S6_PS5_21rocsparse_index_base_b
; %bb.0:
	s_clause 0x1
	s_load_dwordx2 s[2:3], s[4:5], 0x50
	s_load_dwordx2 s[0:1], s[4:5], 0x8
	s_add_u32 s7, s4, 8
	s_addc_u32 s10, s5, 0
	s_add_u32 s11, s4, 56
	s_addc_u32 s12, s5, 0
	s_load_dwordx2 s[8:9], s[4:5], 0x38
	s_waitcnt lgkmcnt(0)
	s_bitcmp1_b32 s3, 0
	s_cselect_b32 s0, s7, s0
	s_cselect_b32 s1, s10, s1
	v_mov_b32_e32 v1, s0
	v_mov_b32_e32 v2, s1
	s_cselect_b32 s0, s11, s8
	s_cselect_b32 s1, s12, s9
	v_mov_b32_e32 v5, s0
	v_mov_b32_e32 v6, s1
	flat_load_dwordx4 v[1:4], v[1:2]
	flat_load_dwordx4 v[5:8], v[5:6]
	s_waitcnt vmcnt(1) lgkmcnt(1)
	v_cmp_eq_f64_e32 vcc_lo, 0, v[1:2]
	v_cmp_eq_f64_e64 s0, 0, v[3:4]
	s_and_b32 s3, vcc_lo, s0
	s_mov_b32 s0, -1
	s_and_saveexec_b32 s1, s3
	s_cbranch_execz .LBB125_2
; %bb.1:
	s_waitcnt vmcnt(0) lgkmcnt(0)
	v_cmp_neq_f64_e32 vcc_lo, 1.0, v[5:6]
	v_cmp_neq_f64_e64 s0, 0, v[7:8]
	s_or_b32 s0, vcc_lo, s0
	s_orn2_b32 s0, s0, exec_lo
.LBB125_2:
	s_or_b32 exec_lo, exec_lo, s1
	s_and_saveexec_b32 s1, s0
	s_cbranch_execz .LBB125_21
; %bb.3:
	s_load_dwordx2 s[0:1], s[4:5], 0x0
	v_lshrrev_b32_e32 v9, 6, v0
	v_lshl_or_b32 v9, s6, 1, v9
	s_waitcnt lgkmcnt(0)
	v_cmp_gt_i32_e32 vcc_lo, s0, v9
	s_and_b32 exec_lo, exec_lo, vcc_lo
	s_cbranch_execz .LBB125_21
; %bb.4:
	s_load_dwordx8 s[8:15], s[4:5], 0x18
	v_ashrrev_i32_e32 v10, 31, v9
	v_and_b32_e32 v0, 63, v0
	s_cmp_lg_u32 s1, 0
	v_lshlrev_b64 v[10:11], 2, v[9:10]
	s_waitcnt lgkmcnt(0)
	v_add_co_u32 v10, vcc_lo, s8, v10
	v_add_co_ci_u32_e64 v11, null, s9, v11, vcc_lo
	global_load_dwordx2 v[10:11], v[10:11], off
	s_waitcnt vmcnt(0)
	v_subrev_nc_u32_e32 v10, s2, v10
	v_subrev_nc_u32_e32 v29, s2, v11
	v_add_nc_u32_e32 v22, v10, v0
	v_cmp_lt_i32_e64 s0, v22, v29
	s_cbranch_scc0 .LBB125_10
; %bb.5:
	v_mov_b32_e32 v10, 0
	v_mov_b32_e32 v16, 0
	;; [unrolled: 1-line block ×12, first 2 shown]
	s_and_saveexec_b32 s1, s0
	s_cbranch_execz .LBB125_9
; %bb.6:
	v_mad_u64_u32 v[23:24], null, v22, 12, 11
	v_mov_b32_e32 v10, 0
	v_mov_b32_e32 v16, 0
	;; [unrolled: 1-line block ×14, first 2 shown]
	s_mov_b32 s3, 0
.LBB125_7:                              ; =>This Inner Loop Header: Depth=1
	v_ashrrev_i32_e32 v28, 31, v27
	v_mov_b32_e32 v43, v26
	v_lshlrev_b64 v[24:25], 2, v[27:28]
	v_add_nc_u32_e32 v27, 64, v27
	v_add_co_u32 v24, vcc_lo, s10, v24
	v_add_co_ci_u32_e64 v25, null, s11, v25, vcc_lo
	global_load_dword v28, v[24:25], off
	v_add_nc_u32_e32 v25, -11, v23
	v_lshlrev_b64 v[24:25], 4, v[25:26]
	v_add_co_u32 v46, vcc_lo, s12, v24
	v_add_co_ci_u32_e64 v47, null, s13, v25, vcc_lo
	s_clause 0x3
	global_load_dwordx4 v[30:33], v[46:47], off offset:32
	global_load_dwordx4 v[34:37], v[46:47], off offset:16
	global_load_dwordx4 v[38:41], v[46:47], off
	global_load_dwordx4 v[46:49], v[46:47], off offset:48
	s_waitcnt vmcnt(4)
	v_subrev_nc_u32_e32 v24, s2, v28
	v_lshlrev_b32_e32 v42, 2, v24
	v_lshlrev_b64 v[24:25], 4, v[42:43]
	v_add_co_u32 v90, vcc_lo, s14, v24
	v_add_co_ci_u32_e64 v91, null, s15, v25, vcc_lo
	v_add_nc_u32_e32 v25, -7, v23
	global_load_dwordx4 v[42:45], v[90:91], off
	v_lshlrev_b64 v[50:51], 4, v[25:26]
	v_add_nc_u32_e32 v25, -6, v23
	v_lshlrev_b64 v[24:25], 4, v[25:26]
	v_add_co_u32 v50, vcc_lo, s12, v50
	v_add_co_ci_u32_e64 v51, null, s13, v51, vcc_lo
	v_add_co_u32 v24, vcc_lo, s12, v24
	v_add_co_ci_u32_e64 v25, null, s13, v25, vcc_lo
	s_clause 0x1
	global_load_dwordx4 v[50:53], v[50:51], off
	global_load_dwordx4 v[54:57], v[24:25], off
	global_load_dwordx4 v[58:61], v[90:91], off offset:16
	v_add_nc_u32_e32 v25, -5, v23
	v_mov_b32_e32 v24, v26
	v_lshlrev_b64 v[62:63], 4, v[25:26]
	v_add_nc_u32_e32 v25, -4, v23
	v_lshlrev_b64 v[66:67], 4, v[25:26]
	v_add_nc_u32_e32 v25, -3, v23
	v_add_co_u32 v62, vcc_lo, s12, v62
	v_add_co_ci_u32_e64 v63, null, s13, v63, vcc_lo
	v_lshlrev_b64 v[68:69], 4, v[25:26]
	v_add_co_u32 v66, vcc_lo, s12, v66
	v_add_co_ci_u32_e64 v67, null, s13, v67, vcc_lo
	global_load_dwordx4 v[62:65], v[62:63], off
	v_add_co_u32 v70, vcc_lo, s12, v68
	v_add_co_ci_u32_e64 v71, null, s13, v69, vcc_lo
	s_clause 0x1
	global_load_dwordx4 v[66:69], v[66:67], off
	global_load_dwordx4 v[70:73], v[70:71], off
	global_load_dwordx4 v[74:77], v[90:91], off offset:32
	v_lshlrev_b64 v[24:25], 4, v[23:24]
	v_add_co_u32 v24, vcc_lo, s12, v24
	v_add_co_ci_u32_e64 v25, null, s13, v25, vcc_lo
	global_load_dwordx4 v[78:81], v[24:25], off
	v_add_nc_u32_e32 v25, -2, v23
	v_lshlrev_b64 v[82:83], 4, v[25:26]
	v_add_nc_u32_e32 v25, -1, v23
	v_add_nc_u32_e32 v23, 0x300, v23
	v_lshlrev_b64 v[24:25], 4, v[25:26]
	v_add_co_u32 v82, vcc_lo, s12, v82
	v_add_co_ci_u32_e64 v83, null, s13, v83, vcc_lo
	v_add_co_u32 v24, vcc_lo, s12, v24
	v_add_co_ci_u32_e64 v25, null, s13, v25, vcc_lo
	s_clause 0x1
	global_load_dwordx4 v[82:85], v[82:83], off
	global_load_dwordx4 v[86:89], v[24:25], off
	global_load_dwordx4 v[90:93], v[90:91], off offset:48
	v_cmp_ge_i32_e32 vcc_lo, v27, v29
	s_or_b32 s3, vcc_lo, s3
	s_waitcnt vmcnt(11)
	v_fma_f64 v[16:17], v[38:39], v[42:43], v[16:17]
	v_fma_f64 v[10:11], v[40:41], v[42:43], v[10:11]
	v_fma_f64 v[18:19], v[34:35], v[42:43], v[18:19]
	v_fma_f64 v[20:21], v[36:37], v[42:43], v[20:21]
	v_fma_f64 v[12:13], v[30:31], v[42:43], v[12:13]
	v_fma_f64 v[14:15], v[32:33], v[42:43], v[14:15]
	v_fma_f64 v[16:17], -v[40:41], v[44:45], v[16:17]
	v_fma_f64 v[10:11], v[38:39], v[44:45], v[10:11]
	v_fma_f64 v[18:19], -v[36:37], v[44:45], v[18:19]
	v_fma_f64 v[20:21], v[34:35], v[44:45], v[20:21]
	v_fma_f64 v[12:13], -v[32:33], v[44:45], v[12:13]
	v_fma_f64 v[14:15], v[30:31], v[44:45], v[14:15]
	s_waitcnt vmcnt(8)
	v_fma_f64 v[16:17], v[46:47], v[58:59], v[16:17]
	v_fma_f64 v[10:11], v[48:49], v[58:59], v[10:11]
	v_fma_f64 v[18:19], v[50:51], v[58:59], v[18:19]
	v_fma_f64 v[20:21], v[52:53], v[58:59], v[20:21]
	v_fma_f64 v[12:13], v[54:55], v[58:59], v[12:13]
	v_fma_f64 v[14:15], v[56:57], v[58:59], v[14:15]
	v_fma_f64 v[16:17], -v[48:49], v[60:61], v[16:17]
	v_fma_f64 v[10:11], v[46:47], v[60:61], v[10:11]
	v_fma_f64 v[18:19], -v[52:53], v[60:61], v[18:19]
	v_fma_f64 v[20:21], v[50:51], v[60:61], v[20:21]
	v_fma_f64 v[12:13], -v[56:57], v[60:61], v[12:13]
	v_fma_f64 v[14:15], v[54:55], v[60:61], v[14:15]
	s_waitcnt vmcnt(4)
	v_fma_f64 v[16:17], v[62:63], v[74:75], v[16:17]
	v_fma_f64 v[10:11], v[64:65], v[74:75], v[10:11]
	v_fma_f64 v[18:19], v[66:67], v[74:75], v[18:19]
	v_fma_f64 v[20:21], v[68:69], v[74:75], v[20:21]
	v_fma_f64 v[12:13], v[70:71], v[74:75], v[12:13]
	v_fma_f64 v[14:15], v[72:73], v[74:75], v[14:15]
	v_fma_f64 v[16:17], -v[64:65], v[76:77], v[16:17]
	v_fma_f64 v[10:11], v[62:63], v[76:77], v[10:11]
	v_fma_f64 v[18:19], -v[68:69], v[76:77], v[18:19]
	v_fma_f64 v[20:21], v[66:67], v[76:77], v[20:21]
	v_fma_f64 v[12:13], -v[72:73], v[76:77], v[12:13]
	v_fma_f64 v[14:15], v[70:71], v[76:77], v[14:15]
	s_waitcnt vmcnt(0)
	v_fma_f64 v[16:17], v[82:83], v[90:91], v[16:17]
	v_fma_f64 v[10:11], v[84:85], v[90:91], v[10:11]
	v_fma_f64 v[18:19], v[86:87], v[90:91], v[18:19]
	v_fma_f64 v[20:21], v[88:89], v[90:91], v[20:21]
	v_fma_f64 v[12:13], v[78:79], v[90:91], v[12:13]
	v_fma_f64 v[14:15], v[80:81], v[90:91], v[14:15]
	v_fma_f64 v[16:17], -v[84:85], v[92:93], v[16:17]
	v_fma_f64 v[10:11], v[82:83], v[92:93], v[10:11]
	v_fma_f64 v[18:19], -v[88:89], v[92:93], v[18:19]
	v_fma_f64 v[20:21], v[86:87], v[92:93], v[20:21]
	v_fma_f64 v[12:13], -v[80:81], v[92:93], v[12:13]
	v_fma_f64 v[14:15], v[78:79], v[92:93], v[14:15]
	s_andn2_b32 exec_lo, exec_lo, s3
	s_cbranch_execnz .LBB125_7
; %bb.8:
	s_or_b32 exec_lo, exec_lo, s3
.LBB125_9:
	s_or_b32 exec_lo, exec_lo, s1
	s_cbranch_execz .LBB125_11
	s_branch .LBB125_16
.LBB125_10:
                                        ; implicit-def: $vgpr10_vgpr11
                                        ; implicit-def: $vgpr16_vgpr17
                                        ; implicit-def: $vgpr12_vgpr13
                                        ; implicit-def: $vgpr14_vgpr15
                                        ; implicit-def: $vgpr18_vgpr19
                                        ; implicit-def: $vgpr20_vgpr21
.LBB125_11:
	v_mov_b32_e32 v10, 0
	v_mov_b32_e32 v16, 0
	v_mov_b32_e32 v12, 0
	v_mov_b32_e32 v14, 0
	v_mov_b32_e32 v18, 0
	v_mov_b32_e32 v20, 0
	v_mov_b32_e32 v11, 0
	v_mov_b32_e32 v17, 0
	v_mov_b32_e32 v13, 0
	v_mov_b32_e32 v15, 0
	v_mov_b32_e32 v19, 0
	v_mov_b32_e32 v21, 0
	s_and_saveexec_b32 s1, s0
	s_cbranch_execz .LBB125_15
; %bb.12:
	v_mad_u64_u32 v[24:25], null, v22, 12, 11
	v_mov_b32_e32 v10, 0
	v_mov_b32_e32 v16, 0
	;; [unrolled: 1-line block ×13, first 2 shown]
	s_mov_b32 s0, 0
.LBB125_13:                             ; =>This Inner Loop Header: Depth=1
	v_ashrrev_i32_e32 v23, 31, v22
	v_add_nc_u32_e32 v30, -7, v24
	v_mov_b32_e32 v31, v27
	v_add_nc_u32_e32 v32, -3, v24
	v_mov_b32_e32 v33, v27
	v_lshlrev_b64 v[25:26], 2, v[22:23]
	v_mov_b32_e32 v47, v27
	v_lshlrev_b64 v[30:31], 4, v[30:31]
	v_add_nc_u32_e32 v22, 64, v22
	v_lshlrev_b64 v[32:33], 4, v[32:33]
	v_add_co_u32 v25, vcc_lo, s10, v25
	v_add_co_ci_u32_e64 v26, null, s11, v26, vcc_lo
	global_load_dword v23, v[25:26], off
	v_add_nc_u32_e32 v26, -11, v24
	v_lshlrev_b64 v[25:26], 4, v[26:27]
	v_add_co_u32 v54, vcc_lo, s12, v25
	v_add_co_ci_u32_e64 v55, null, s13, v26, vcc_lo
	v_add_co_u32 v25, vcc_lo, s12, v30
	v_add_co_ci_u32_e64 v26, null, s13, v31, vcc_lo
	;; [unrolled: 2-line block ×3, first 2 shown]
	s_clause 0x3
	global_load_dwordx4 v[30:33], v[54:55], off offset:16
	global_load_dwordx4 v[34:37], v[54:55], off
	global_load_dwordx4 v[38:41], v[25:26], off
	;; [unrolled: 1-line block ×3, first 2 shown]
	s_waitcnt vmcnt(4)
	v_subrev_nc_u32_e32 v23, s2, v23
	v_lshlrev_b32_e32 v46, 2, v23
	v_lshlrev_b64 v[25:26], 4, v[46:47]
	v_add_co_u32 v82, vcc_lo, s14, v25
	v_add_co_ci_u32_e64 v83, null, s15, v26, vcc_lo
	v_add_nc_u32_e32 v26, -6, v24
	v_mov_b32_e32 v25, v27
	global_load_dwordx4 v[46:49], v[82:83], off
	v_lshlrev_b64 v[58:59], 4, v[26:27]
	v_add_nc_u32_e32 v26, -2, v24
	v_lshlrev_b64 v[50:51], 4, v[24:25]
	v_lshlrev_b64 v[60:61], 4, v[26:27]
	v_add_nc_u32_e32 v26, -5, v24
	v_add_co_u32 v84, vcc_lo, s12, v50
	v_add_co_ci_u32_e64 v85, null, s13, v51, vcc_lo
	v_add_co_u32 v58, vcc_lo, s12, v58
	v_add_co_ci_u32_e64 v59, null, s13, v59, vcc_lo
	v_add_co_u32 v25, vcc_lo, s12, v60
	v_lshlrev_b64 v[70:71], 4, v[26:27]
	v_add_co_ci_u32_e64 v26, null, s13, v61, vcc_lo
	s_clause 0x3
	global_load_dwordx4 v[50:53], v[54:55], off offset:48
	global_load_dwordx4 v[54:57], v[54:55], off offset:32
	global_load_dwordx4 v[58:61], v[58:59], off
	global_load_dwordx4 v[62:65], v[25:26], off
	global_load_dwordx4 v[66:69], v[82:83], off offset:16
	v_add_nc_u32_e32 v26, -1, v24
	v_add_co_u32 v70, vcc_lo, s12, v70
	v_add_co_ci_u32_e64 v71, null, s13, v71, vcc_lo
	v_lshlrev_b64 v[72:73], 4, v[26:27]
	v_add_nc_u32_e32 v26, -4, v24
	v_add_nc_u32_e32 v24, 0x300, v24
	v_add_co_u32 v74, vcc_lo, s12, v72
	v_add_co_ci_u32_e64 v75, null, s13, v73, vcc_lo
	s_clause 0x1
	global_load_dwordx4 v[70:73], v[70:71], off
	global_load_dwordx4 v[74:77], v[74:75], off
	global_load_dwordx4 v[78:81], v[82:83], off offset:32
	v_lshlrev_b64 v[25:26], 4, v[26:27]
	v_add_co_u32 v25, vcc_lo, s12, v25
	v_add_co_ci_u32_e64 v26, null, s13, v26, vcc_lo
	v_cmp_ge_i32_e32 vcc_lo, v22, v29
	s_or_b32 s0, vcc_lo, s0
	s_waitcnt vmcnt(8)
	v_fma_f64 v[16:17], v[34:35], v[46:47], v[16:17]
	v_fma_f64 v[10:11], v[36:37], v[46:47], v[10:11]
	;; [unrolled: 1-line block ×6, first 2 shown]
	v_fma_f64 v[16:17], -v[36:37], v[48:49], v[16:17]
	v_fma_f64 v[10:11], v[34:35], v[48:49], v[10:11]
	global_load_dwordx4 v[34:37], v[25:26], off
	v_fma_f64 v[18:19], -v[40:41], v[48:49], v[18:19]
	v_fma_f64 v[20:21], v[38:39], v[48:49], v[20:21]
	global_load_dwordx4 v[38:41], v[84:85], off
	global_load_dwordx4 v[82:85], v[82:83], off offset:48
	v_fma_f64 v[12:13], -v[44:45], v[48:49], v[12:13]
	v_fma_f64 v[14:15], v[42:43], v[48:49], v[14:15]
	s_waitcnt vmcnt(6)
	v_fma_f64 v[16:17], v[30:31], v[66:67], v[16:17]
	v_fma_f64 v[10:11], v[32:33], v[66:67], v[10:11]
	v_fma_f64 v[18:19], v[58:59], v[66:67], v[18:19]
	v_fma_f64 v[20:21], v[60:61], v[66:67], v[20:21]
	v_fma_f64 v[12:13], v[62:63], v[66:67], v[12:13]
	v_fma_f64 v[14:15], v[64:65], v[66:67], v[14:15]
	v_fma_f64 v[16:17], -v[32:33], v[68:69], v[16:17]
	v_fma_f64 v[10:11], v[30:31], v[68:69], v[10:11]
	v_fma_f64 v[18:19], -v[60:61], v[68:69], v[18:19]
	v_fma_f64 v[20:21], v[58:59], v[68:69], v[20:21]
	v_fma_f64 v[12:13], -v[64:65], v[68:69], v[12:13]
	v_fma_f64 v[14:15], v[62:63], v[68:69], v[14:15]
	s_waitcnt vmcnt(3)
	v_fma_f64 v[16:17], v[54:55], v[78:79], v[16:17]
	v_fma_f64 v[10:11], v[56:57], v[78:79], v[10:11]
	v_fma_f64 v[18:19], v[70:71], v[78:79], v[18:19]
	v_fma_f64 v[20:21], v[72:73], v[78:79], v[20:21]
	v_fma_f64 v[12:13], v[74:75], v[78:79], v[12:13]
	v_fma_f64 v[14:15], v[76:77], v[78:79], v[14:15]
	v_fma_f64 v[16:17], -v[56:57], v[80:81], v[16:17]
	v_fma_f64 v[10:11], v[54:55], v[80:81], v[10:11]
	v_fma_f64 v[18:19], -v[72:73], v[80:81], v[18:19]
	v_fma_f64 v[20:21], v[70:71], v[80:81], v[20:21]
	;; [unrolled: 13-line block ×3, first 2 shown]
	v_fma_f64 v[12:13], -v[40:41], v[84:85], v[12:13]
	v_fma_f64 v[14:15], v[38:39], v[84:85], v[14:15]
	s_andn2_b32 exec_lo, exec_lo, s0
	s_cbranch_execnz .LBB125_13
; %bb.14:
	s_or_b32 exec_lo, exec_lo, s0
.LBB125_15:
	s_or_b32 exec_lo, exec_lo, s1
.LBB125_16:
	v_mbcnt_lo_u32_b32 v36, -1, 0
	v_or_b32_e32 v22, 32, v36
	v_cmp_gt_i32_e32 vcc_lo, 32, v22
	v_cndmask_b32_e32 v22, v36, v22, vcc_lo
	v_lshlrev_b32_e32 v33, 2, v22
	ds_bpermute_b32 v22, v33, v16
	ds_bpermute_b32 v23, v33, v17
	ds_bpermute_b32 v24, v33, v10
	ds_bpermute_b32 v25, v33, v11
	ds_bpermute_b32 v26, v33, v18
	ds_bpermute_b32 v27, v33, v19
	ds_bpermute_b32 v28, v33, v20
	ds_bpermute_b32 v29, v33, v21
	ds_bpermute_b32 v30, v33, v12
	ds_bpermute_b32 v31, v33, v13
	ds_bpermute_b32 v32, v33, v14
	ds_bpermute_b32 v33, v33, v15
	s_waitcnt lgkmcnt(10)
	v_add_f64 v[16:17], v[16:17], v[22:23]
	v_xor_b32_e32 v22, 16, v36
	s_waitcnt lgkmcnt(8)
	v_add_f64 v[10:11], v[10:11], v[24:25]
	s_waitcnt lgkmcnt(6)
	v_add_f64 v[18:19], v[18:19], v[26:27]
	s_waitcnt lgkmcnt(4)
	v_add_f64 v[20:21], v[20:21], v[28:29]
	v_cmp_gt_i32_e32 vcc_lo, 32, v22
	s_waitcnt lgkmcnt(2)
	v_add_f64 v[12:13], v[12:13], v[30:31]
	s_waitcnt lgkmcnt(0)
	v_add_f64 v[14:15], v[14:15], v[32:33]
	v_cndmask_b32_e32 v22, v36, v22, vcc_lo
	v_lshlrev_b32_e32 v33, 2, v22
	ds_bpermute_b32 v22, v33, v16
	ds_bpermute_b32 v23, v33, v17
	ds_bpermute_b32 v24, v33, v10
	ds_bpermute_b32 v25, v33, v11
	ds_bpermute_b32 v26, v33, v18
	ds_bpermute_b32 v27, v33, v19
	ds_bpermute_b32 v28, v33, v20
	ds_bpermute_b32 v29, v33, v21
	ds_bpermute_b32 v30, v33, v12
	ds_bpermute_b32 v31, v33, v13
	ds_bpermute_b32 v32, v33, v14
	ds_bpermute_b32 v33, v33, v15
	s_waitcnt lgkmcnt(10)
	v_add_f64 v[16:17], v[16:17], v[22:23]
	v_xor_b32_e32 v22, 8, v36
	s_waitcnt lgkmcnt(8)
	v_add_f64 v[10:11], v[10:11], v[24:25]
	s_waitcnt lgkmcnt(6)
	v_add_f64 v[18:19], v[18:19], v[26:27]
	s_waitcnt lgkmcnt(4)
	v_add_f64 v[20:21], v[20:21], v[28:29]
	v_cmp_gt_i32_e32 vcc_lo, 32, v22
	s_waitcnt lgkmcnt(2)
	v_add_f64 v[12:13], v[12:13], v[30:31]
	s_waitcnt lgkmcnt(0)
	v_add_f64 v[14:15], v[14:15], v[32:33]
	;; [unrolled: 28-line block ×3, first 2 shown]
	v_cndmask_b32_e32 v22, v36, v22, vcc_lo
	v_lshlrev_b32_e32 v33, 2, v22
	ds_bpermute_b32 v22, v33, v16
	ds_bpermute_b32 v23, v33, v17
	;; [unrolled: 1-line block ×12, first 2 shown]
	s_waitcnt lgkmcnt(10)
	v_add_f64 v[16:17], v[16:17], v[22:23]
	s_waitcnt lgkmcnt(8)
	v_add_f64 v[22:23], v[10:11], v[24:25]
	v_xor_b32_e32 v10, 2, v36
	s_waitcnt lgkmcnt(6)
	v_add_f64 v[18:19], v[18:19], v[26:27]
	s_waitcnt lgkmcnt(4)
	v_add_f64 v[24:25], v[20:21], v[28:29]
	;; [unrolled: 2-line block ×3, first 2 shown]
	v_cmp_gt_i32_e32 vcc_lo, 32, v10
	s_waitcnt lgkmcnt(0)
	v_add_f64 v[28:29], v[14:15], v[32:33]
	v_cndmask_b32_e32 v10, v36, v10, vcc_lo
	v_lshlrev_b32_e32 v20, 2, v10
	ds_bpermute_b32 v10, v20, v16
	ds_bpermute_b32 v11, v20, v17
	;; [unrolled: 1-line block ×12, first 2 shown]
	s_waitcnt lgkmcnt(10)
	v_add_f64 v[10:11], v[16:17], v[10:11]
	s_waitcnt lgkmcnt(8)
	v_add_f64 v[20:21], v[22:23], v[12:13]
	v_xor_b32_e32 v22, 1, v36
	s_waitcnt lgkmcnt(6)
	v_add_f64 v[12:13], v[18:19], v[14:15]
	s_waitcnt lgkmcnt(4)
	v_add_f64 v[18:19], v[24:25], v[30:31]
	;; [unrolled: 2-line block ×3, first 2 shown]
	v_cmp_gt_i32_e32 vcc_lo, 32, v22
	s_waitcnt lgkmcnt(0)
	v_add_f64 v[16:17], v[28:29], v[34:35]
	v_cndmask_b32_e32 v22, v36, v22, vcc_lo
	v_cmp_eq_u32_e32 vcc_lo, 63, v0
	v_lshlrev_b32_e32 v25, 2, v22
	ds_bpermute_b32 v32, v25, v10
	ds_bpermute_b32 v33, v25, v11
	;; [unrolled: 1-line block ×12, first 2 shown]
	s_and_b32 exec_lo, exec_lo, vcc_lo
	s_cbranch_execz .LBB125_21
; %bb.17:
	v_cmp_eq_f64_e32 vcc_lo, 0, v[5:6]
	v_cmp_eq_f64_e64 s0, 0, v[7:8]
	s_waitcnt lgkmcnt(10)
	v_add_f64 v[10:11], v[10:11], v[32:33]
	s_waitcnt lgkmcnt(8)
	v_add_f64 v[20:21], v[20:21], v[30:31]
	;; [unrolled: 2-line block ×6, first 2 shown]
	s_load_dwordx2 s[2:3], s[4:5], 0x48
	s_and_b32 s0, vcc_lo, s0
	s_and_saveexec_b32 s1, s0
	s_xor_b32 s0, exec_lo, s1
	s_cbranch_execz .LBB125_19
; %bb.18:
	v_mul_f64 v[5:6], v[20:21], -v[3:4]
	v_mul_f64 v[7:8], v[1:2], v[20:21]
	v_mul_f64 v[20:21], v[18:19], -v[3:4]
	v_mul_f64 v[18:19], v[1:2], v[18:19]
	v_mul_f64 v[22:23], v[16:17], -v[3:4]
	v_mul_f64 v[16:17], v[1:2], v[16:17]
	v_lshl_add_u32 v24, v9, 1, v9
	v_ashrrev_i32_e32 v25, 31, v24
	v_fma_f64 v[5:6], v[1:2], v[10:11], v[5:6]
	v_fma_f64 v[7:8], v[3:4], v[10:11], v[7:8]
	;; [unrolled: 1-line block ×6, first 2 shown]
	v_lshlrev_b64 v[13:14], 4, v[24:25]
                                        ; implicit-def: $vgpr20_vgpr21
                                        ; implicit-def: $vgpr18_vgpr19
                                        ; implicit-def: $vgpr16_vgpr17
	s_waitcnt lgkmcnt(0)
	v_add_co_u32 v13, vcc_lo, s2, v13
	v_add_co_ci_u32_e64 v14, null, s3, v14, vcc_lo
	global_store_dwordx4 v[13:14], v[5:8], off
	global_store_dwordx4 v[13:14], v[9:12], off offset:16
	global_store_dwordx4 v[13:14], v[0:3], off offset:32
                                        ; implicit-def: $vgpr9
                                        ; implicit-def: $vgpr10_vgpr11
                                        ; implicit-def: $vgpr12_vgpr13
                                        ; implicit-def: $vgpr14_vgpr15
                                        ; implicit-def: $vgpr7_vgpr8
                                        ; implicit-def: $vgpr3_vgpr4
.LBB125_19:
	s_andn2_saveexec_b32 s0, s0
	s_cbranch_execz .LBB125_21
; %bb.20:
	v_lshl_add_u32 v22, v9, 1, v9
	v_mul_f64 v[36:37], v[20:21], -v[3:4]
	v_mul_f64 v[20:21], v[1:2], v[20:21]
	v_mul_f64 v[38:39], v[18:19], -v[3:4]
	v_mul_f64 v[18:19], v[1:2], v[18:19]
	v_ashrrev_i32_e32 v23, 31, v22
	v_mul_f64 v[40:41], v[16:17], -v[3:4]
	v_mul_f64 v[16:17], v[1:2], v[16:17]
	v_lshlrev_b64 v[22:23], 4, v[22:23]
	s_waitcnt lgkmcnt(0)
	v_add_co_u32 v34, vcc_lo, s2, v22
	v_add_co_ci_u32_e64 v35, null, s3, v23, vcc_lo
	s_clause 0x2
	global_load_dwordx4 v[22:25], v[34:35], off
	global_load_dwordx4 v[26:29], v[34:35], off offset:16
	global_load_dwordx4 v[30:33], v[34:35], off offset:32
	v_fma_f64 v[36:37], v[1:2], v[10:11], v[36:37]
	v_fma_f64 v[9:10], v[3:4], v[10:11], v[20:21]
	;; [unrolled: 1-line block ×6, first 2 shown]
	s_waitcnt vmcnt(2)
	v_fma_f64 v[13:14], v[5:6], v[22:23], v[36:37]
	v_fma_f64 v[9:10], v[7:8], v[22:23], v[9:10]
	s_waitcnt vmcnt(1)
	v_fma_f64 v[15:16], v[5:6], v[26:27], v[20:21]
	v_fma_f64 v[11:12], v[7:8], v[26:27], v[11:12]
	;; [unrolled: 3-line block ×3, first 2 shown]
	v_fma_f64 v[0:1], -v[7:8], v[24:25], v[13:14]
	v_fma_f64 v[2:3], v[5:6], v[24:25], v[9:10]
	v_fma_f64 v[9:10], -v[7:8], v[28:29], v[15:16]
	v_fma_f64 v[11:12], v[5:6], v[28:29], v[11:12]
	;; [unrolled: 2-line block ×3, first 2 shown]
	global_store_dwordx4 v[34:35], v[0:3], off
	global_store_dwordx4 v[34:35], v[9:12], off offset:16
	global_store_dwordx4 v[34:35], v[13:16], off offset:32
.LBB125_21:
	s_endpgm
	.section	.rodata,"a",@progbits
	.p2align	6, 0x0
	.amdhsa_kernel _ZN9rocsparseL19gebsrmvn_3xn_kernelILj128ELj4ELj64E21rocsparse_complex_numIdEEEvi20rocsparse_direction_NS_24const_host_device_scalarIT2_EEPKiS8_PKS5_SA_S6_PS5_21rocsparse_index_base_b
		.amdhsa_group_segment_fixed_size 0
		.amdhsa_private_segment_fixed_size 0
		.amdhsa_kernarg_size 88
		.amdhsa_user_sgpr_count 6
		.amdhsa_user_sgpr_private_segment_buffer 1
		.amdhsa_user_sgpr_dispatch_ptr 0
		.amdhsa_user_sgpr_queue_ptr 0
		.amdhsa_user_sgpr_kernarg_segment_ptr 1
		.amdhsa_user_sgpr_dispatch_id 0
		.amdhsa_user_sgpr_flat_scratch_init 0
		.amdhsa_user_sgpr_private_segment_size 0
		.amdhsa_wavefront_size32 1
		.amdhsa_uses_dynamic_stack 0
		.amdhsa_system_sgpr_private_segment_wavefront_offset 0
		.amdhsa_system_sgpr_workgroup_id_x 1
		.amdhsa_system_sgpr_workgroup_id_y 0
		.amdhsa_system_sgpr_workgroup_id_z 0
		.amdhsa_system_sgpr_workgroup_info 0
		.amdhsa_system_vgpr_workitem_id 0
		.amdhsa_next_free_vgpr 94
		.amdhsa_next_free_sgpr 16
		.amdhsa_reserve_vcc 1
		.amdhsa_reserve_flat_scratch 0
		.amdhsa_float_round_mode_32 0
		.amdhsa_float_round_mode_16_64 0
		.amdhsa_float_denorm_mode_32 3
		.amdhsa_float_denorm_mode_16_64 3
		.amdhsa_dx10_clamp 1
		.amdhsa_ieee_mode 1
		.amdhsa_fp16_overflow 0
		.amdhsa_workgroup_processor_mode 1
		.amdhsa_memory_ordered 1
		.amdhsa_forward_progress 1
		.amdhsa_shared_vgpr_count 0
		.amdhsa_exception_fp_ieee_invalid_op 0
		.amdhsa_exception_fp_denorm_src 0
		.amdhsa_exception_fp_ieee_div_zero 0
		.amdhsa_exception_fp_ieee_overflow 0
		.amdhsa_exception_fp_ieee_underflow 0
		.amdhsa_exception_fp_ieee_inexact 0
		.amdhsa_exception_int_div_zero 0
	.end_amdhsa_kernel
	.section	.text._ZN9rocsparseL19gebsrmvn_3xn_kernelILj128ELj4ELj64E21rocsparse_complex_numIdEEEvi20rocsparse_direction_NS_24const_host_device_scalarIT2_EEPKiS8_PKS5_SA_S6_PS5_21rocsparse_index_base_b,"axG",@progbits,_ZN9rocsparseL19gebsrmvn_3xn_kernelILj128ELj4ELj64E21rocsparse_complex_numIdEEEvi20rocsparse_direction_NS_24const_host_device_scalarIT2_EEPKiS8_PKS5_SA_S6_PS5_21rocsparse_index_base_b,comdat
.Lfunc_end125:
	.size	_ZN9rocsparseL19gebsrmvn_3xn_kernelILj128ELj4ELj64E21rocsparse_complex_numIdEEEvi20rocsparse_direction_NS_24const_host_device_scalarIT2_EEPKiS8_PKS5_SA_S6_PS5_21rocsparse_index_base_b, .Lfunc_end125-_ZN9rocsparseL19gebsrmvn_3xn_kernelILj128ELj4ELj64E21rocsparse_complex_numIdEEEvi20rocsparse_direction_NS_24const_host_device_scalarIT2_EEPKiS8_PKS5_SA_S6_PS5_21rocsparse_index_base_b
                                        ; -- End function
	.set _ZN9rocsparseL19gebsrmvn_3xn_kernelILj128ELj4ELj64E21rocsparse_complex_numIdEEEvi20rocsparse_direction_NS_24const_host_device_scalarIT2_EEPKiS8_PKS5_SA_S6_PS5_21rocsparse_index_base_b.num_vgpr, 94
	.set _ZN9rocsparseL19gebsrmvn_3xn_kernelILj128ELj4ELj64E21rocsparse_complex_numIdEEEvi20rocsparse_direction_NS_24const_host_device_scalarIT2_EEPKiS8_PKS5_SA_S6_PS5_21rocsparse_index_base_b.num_agpr, 0
	.set _ZN9rocsparseL19gebsrmvn_3xn_kernelILj128ELj4ELj64E21rocsparse_complex_numIdEEEvi20rocsparse_direction_NS_24const_host_device_scalarIT2_EEPKiS8_PKS5_SA_S6_PS5_21rocsparse_index_base_b.numbered_sgpr, 16
	.set _ZN9rocsparseL19gebsrmvn_3xn_kernelILj128ELj4ELj64E21rocsparse_complex_numIdEEEvi20rocsparse_direction_NS_24const_host_device_scalarIT2_EEPKiS8_PKS5_SA_S6_PS5_21rocsparse_index_base_b.num_named_barrier, 0
	.set _ZN9rocsparseL19gebsrmvn_3xn_kernelILj128ELj4ELj64E21rocsparse_complex_numIdEEEvi20rocsparse_direction_NS_24const_host_device_scalarIT2_EEPKiS8_PKS5_SA_S6_PS5_21rocsparse_index_base_b.private_seg_size, 0
	.set _ZN9rocsparseL19gebsrmvn_3xn_kernelILj128ELj4ELj64E21rocsparse_complex_numIdEEEvi20rocsparse_direction_NS_24const_host_device_scalarIT2_EEPKiS8_PKS5_SA_S6_PS5_21rocsparse_index_base_b.uses_vcc, 1
	.set _ZN9rocsparseL19gebsrmvn_3xn_kernelILj128ELj4ELj64E21rocsparse_complex_numIdEEEvi20rocsparse_direction_NS_24const_host_device_scalarIT2_EEPKiS8_PKS5_SA_S6_PS5_21rocsparse_index_base_b.uses_flat_scratch, 0
	.set _ZN9rocsparseL19gebsrmvn_3xn_kernelILj128ELj4ELj64E21rocsparse_complex_numIdEEEvi20rocsparse_direction_NS_24const_host_device_scalarIT2_EEPKiS8_PKS5_SA_S6_PS5_21rocsparse_index_base_b.has_dyn_sized_stack, 0
	.set _ZN9rocsparseL19gebsrmvn_3xn_kernelILj128ELj4ELj64E21rocsparse_complex_numIdEEEvi20rocsparse_direction_NS_24const_host_device_scalarIT2_EEPKiS8_PKS5_SA_S6_PS5_21rocsparse_index_base_b.has_recursion, 0
	.set _ZN9rocsparseL19gebsrmvn_3xn_kernelILj128ELj4ELj64E21rocsparse_complex_numIdEEEvi20rocsparse_direction_NS_24const_host_device_scalarIT2_EEPKiS8_PKS5_SA_S6_PS5_21rocsparse_index_base_b.has_indirect_call, 0
	.section	.AMDGPU.csdata,"",@progbits
; Kernel info:
; codeLenInByte = 3988
; TotalNumSgprs: 18
; NumVgprs: 94
; ScratchSize: 0
; MemoryBound: 0
; FloatMode: 240
; IeeeMode: 1
; LDSByteSize: 0 bytes/workgroup (compile time only)
; SGPRBlocks: 0
; VGPRBlocks: 11
; NumSGPRsForWavesPerEU: 18
; NumVGPRsForWavesPerEU: 94
; Occupancy: 10
; WaveLimiterHint : 1
; COMPUTE_PGM_RSRC2:SCRATCH_EN: 0
; COMPUTE_PGM_RSRC2:USER_SGPR: 6
; COMPUTE_PGM_RSRC2:TRAP_HANDLER: 0
; COMPUTE_PGM_RSRC2:TGID_X_EN: 1
; COMPUTE_PGM_RSRC2:TGID_Y_EN: 0
; COMPUTE_PGM_RSRC2:TGID_Z_EN: 0
; COMPUTE_PGM_RSRC2:TIDIG_COMP_CNT: 0
	.section	.text._ZN9rocsparseL19gebsrmvn_3xn_kernelILj128ELj5ELj4E21rocsparse_complex_numIdEEEvi20rocsparse_direction_NS_24const_host_device_scalarIT2_EEPKiS8_PKS5_SA_S6_PS5_21rocsparse_index_base_b,"axG",@progbits,_ZN9rocsparseL19gebsrmvn_3xn_kernelILj128ELj5ELj4E21rocsparse_complex_numIdEEEvi20rocsparse_direction_NS_24const_host_device_scalarIT2_EEPKiS8_PKS5_SA_S6_PS5_21rocsparse_index_base_b,comdat
	.globl	_ZN9rocsparseL19gebsrmvn_3xn_kernelILj128ELj5ELj4E21rocsparse_complex_numIdEEEvi20rocsparse_direction_NS_24const_host_device_scalarIT2_EEPKiS8_PKS5_SA_S6_PS5_21rocsparse_index_base_b ; -- Begin function _ZN9rocsparseL19gebsrmvn_3xn_kernelILj128ELj5ELj4E21rocsparse_complex_numIdEEEvi20rocsparse_direction_NS_24const_host_device_scalarIT2_EEPKiS8_PKS5_SA_S6_PS5_21rocsparse_index_base_b
	.p2align	8
	.type	_ZN9rocsparseL19gebsrmvn_3xn_kernelILj128ELj5ELj4E21rocsparse_complex_numIdEEEvi20rocsparse_direction_NS_24const_host_device_scalarIT2_EEPKiS8_PKS5_SA_S6_PS5_21rocsparse_index_base_b,@function
_ZN9rocsparseL19gebsrmvn_3xn_kernelILj128ELj5ELj4E21rocsparse_complex_numIdEEEvi20rocsparse_direction_NS_24const_host_device_scalarIT2_EEPKiS8_PKS5_SA_S6_PS5_21rocsparse_index_base_b: ; @_ZN9rocsparseL19gebsrmvn_3xn_kernelILj128ELj5ELj4E21rocsparse_complex_numIdEEEvi20rocsparse_direction_NS_24const_host_device_scalarIT2_EEPKiS8_PKS5_SA_S6_PS5_21rocsparse_index_base_b
; %bb.0:
	s_clause 0x1
	s_load_dwordx2 s[2:3], s[4:5], 0x50
	s_load_dwordx2 s[0:1], s[4:5], 0x8
	s_add_u32 s7, s4, 8
	s_addc_u32 s10, s5, 0
	s_add_u32 s11, s4, 56
	s_addc_u32 s12, s5, 0
	s_load_dwordx2 s[8:9], s[4:5], 0x38
	s_waitcnt lgkmcnt(0)
	s_bitcmp1_b32 s3, 0
	s_cselect_b32 s0, s7, s0
	s_cselect_b32 s1, s10, s1
	v_mov_b32_e32 v1, s0
	v_mov_b32_e32 v2, s1
	s_cselect_b32 s0, s11, s8
	s_cselect_b32 s1, s12, s9
	v_mov_b32_e32 v5, s0
	v_mov_b32_e32 v6, s1
	flat_load_dwordx4 v[1:4], v[1:2]
	flat_load_dwordx4 v[5:8], v[5:6]
	s_waitcnt vmcnt(1) lgkmcnt(1)
	v_cmp_eq_f64_e32 vcc_lo, 0, v[1:2]
	v_cmp_eq_f64_e64 s0, 0, v[3:4]
	s_and_b32 s3, vcc_lo, s0
	s_mov_b32 s0, -1
	s_and_saveexec_b32 s1, s3
	s_cbranch_execz .LBB126_2
; %bb.1:
	s_waitcnt vmcnt(0) lgkmcnt(0)
	v_cmp_neq_f64_e32 vcc_lo, 1.0, v[5:6]
	v_cmp_neq_f64_e64 s0, 0, v[7:8]
	s_or_b32 s0, vcc_lo, s0
	s_orn2_b32 s0, s0, exec_lo
.LBB126_2:
	s_or_b32 exec_lo, exec_lo, s1
	s_and_saveexec_b32 s1, s0
	s_cbranch_execz .LBB126_21
; %bb.3:
	s_load_dwordx2 s[0:1], s[4:5], 0x0
	v_lshrrev_b32_e32 v9, 2, v0
	v_lshl_or_b32 v9, s6, 5, v9
	s_waitcnt lgkmcnt(0)
	v_cmp_gt_i32_e32 vcc_lo, s0, v9
	s_and_b32 exec_lo, exec_lo, vcc_lo
	s_cbranch_execz .LBB126_21
; %bb.4:
	s_load_dwordx8 s[8:15], s[4:5], 0x18
	v_ashrrev_i32_e32 v10, 31, v9
	v_and_b32_e32 v0, 3, v0
	s_cmp_lg_u32 s1, 0
	v_lshlrev_b64 v[10:11], 2, v[9:10]
	s_waitcnt lgkmcnt(0)
	v_add_co_u32 v10, vcc_lo, s8, v10
	v_add_co_ci_u32_e64 v11, null, s9, v11, vcc_lo
	global_load_dwordx2 v[10:11], v[10:11], off
	s_waitcnt vmcnt(0)
	v_subrev_nc_u32_e32 v10, s2, v10
	v_subrev_nc_u32_e32 v30, s2, v11
	v_add_nc_u32_e32 v10, v10, v0
	v_cmp_lt_i32_e64 s0, v10, v30
	s_cbranch_scc0 .LBB126_10
; %bb.5:
	v_mov_b32_e32 v16, 0
	v_mov_b32_e32 v22, 0
	;; [unrolled: 1-line block ×12, first 2 shown]
	s_and_saveexec_b32 s1, s0
	s_cbranch_execz .LBB126_9
; %bb.6:
	v_mad_u64_u32 v[24:25], null, v10, 15, 14
	v_mov_b32_e32 v16, 0
	v_mov_b32_e32 v22, 0
	;; [unrolled: 1-line block ×14, first 2 shown]
	s_mov_b32 s3, 0
.LBB126_7:                              ; =>This Inner Loop Header: Depth=1
	v_ashrrev_i32_e32 v29, 31, v28
	v_mov_b32_e32 v92, v27
	v_lshlrev_b64 v[25:26], 2, v[28:29]
	v_add_nc_u32_e32 v28, 4, v28
	v_add_co_u32 v25, vcc_lo, s10, v25
	v_add_co_ci_u32_e64 v26, null, s11, v26, vcc_lo
	global_load_dword v11, v[25:26], off
	v_add_nc_u32_e32 v26, -14, v24
	v_mov_b32_e32 v25, v27
	v_lshlrev_b64 v[31:32], 4, v[26:27]
	v_add_nc_u32_e32 v26, -13, v24
	v_lshlrev_b64 v[33:34], 4, v[24:25]
	v_lshlrev_b64 v[35:36], 4, v[26:27]
	v_add_nc_u32_e32 v26, -12, v24
	v_add_co_u32 v31, vcc_lo, s12, v31
	v_add_co_ci_u32_e64 v32, null, s13, v32, vcc_lo
	v_lshlrev_b64 v[39:40], 4, v[26:27]
	v_add_co_u32 v37, vcc_lo, s12, v33
	v_add_co_ci_u32_e64 v38, null, s13, v34, vcc_lo
	v_add_co_u32 v41, vcc_lo, s12, v35
	v_add_co_ci_u32_e64 v42, null, s13, v36, vcc_lo
	;; [unrolled: 2-line block ×3, first 2 shown]
	s_clause 0x3
	global_load_dwordx4 v[31:34], v[31:32], off
	global_load_dwordx4 v[35:38], v[37:38], off
	;; [unrolled: 1-line block ×4, first 2 shown]
	v_add_nc_u32_e32 v26, -11, v24
	v_lshlrev_b64 v[25:26], 4, v[26:27]
	s_waitcnt vmcnt(4)
	v_subrev_nc_u32_e32 v11, s2, v11
	v_lshl_add_u32 v91, v11, 2, v11
	v_lshlrev_b64 v[47:48], 4, v[91:92]
	v_add_co_u32 v47, vcc_lo, s14, v47
	v_add_co_ci_u32_e64 v48, null, s15, v48, vcc_lo
	v_add_co_u32 v25, vcc_lo, s12, v25
	v_add_co_ci_u32_e64 v26, null, s13, v26, vcc_lo
	global_load_dwordx4 v[47:50], v[47:48], off
	global_load_dwordx4 v[51:54], v[25:26], off
	v_add_nc_u32_e32 v26, 1, v91
	v_lshlrev_b64 v[55:56], 4, v[26:27]
	v_add_nc_u32_e32 v26, -10, v24
	v_lshlrev_b64 v[59:60], 4, v[26:27]
	v_add_nc_u32_e32 v26, -9, v24
	v_add_co_u32 v55, vcc_lo, s14, v55
	v_add_co_ci_u32_e64 v56, null, s15, v56, vcc_lo
	v_lshlrev_b64 v[61:62], 4, v[26:27]
	v_add_co_u32 v59, vcc_lo, s12, v59
	v_add_co_ci_u32_e64 v60, null, s13, v60, vcc_lo
	global_load_dwordx4 v[55:58], v[55:56], off
	v_add_co_u32 v63, vcc_lo, s12, v61
	v_add_co_ci_u32_e64 v64, null, s13, v62, vcc_lo
	s_clause 0x1
	global_load_dwordx4 v[59:62], v[59:60], off
	global_load_dwordx4 v[63:66], v[63:64], off
	v_add_nc_u32_e32 v26, -8, v24
	v_lshlrev_b64 v[67:68], 4, v[26:27]
	v_add_nc_u32_e32 v26, 2, v91
	v_lshlrev_b64 v[71:72], 4, v[26:27]
	v_add_nc_u32_e32 v26, -7, v24
	v_add_co_u32 v67, vcc_lo, s12, v67
	v_add_co_ci_u32_e64 v68, null, s13, v68, vcc_lo
	v_lshlrev_b64 v[73:74], 4, v[26:27]
	v_add_nc_u32_e32 v26, -6, v24
	v_add_co_u32 v71, vcc_lo, s14, v71
	v_add_co_ci_u32_e64 v72, null, s15, v72, vcc_lo
	;; [unrolled: 4-line block ×3, first 2 shown]
	v_lshlrev_b64 v[79:80], 4, v[26:27]
	v_add_co_u32 v81, vcc_lo, s12, v75
	v_add_co_ci_u32_e64 v82, null, s13, v76, vcc_lo
	global_load_dwordx4 v[67:70], v[67:68], off
	v_add_co_u32 v85, vcc_lo, s12, v79
	global_load_dwordx4 v[71:74], v[71:72], off
	global_load_dwordx4 v[75:78], v[77:78], off
	v_add_co_ci_u32_e64 v86, null, s13, v80, vcc_lo
	global_load_dwordx4 v[79:82], v[81:82], off
	v_add_nc_u32_e32 v26, 3, v91
	v_lshlrev_b64 v[83:84], 4, v[26:27]
	v_add_nc_u32_e32 v26, -4, v24
	v_lshlrev_b64 v[87:88], 4, v[26:27]
	v_add_nc_u32_e32 v26, -3, v24
	v_add_co_u32 v89, vcc_lo, s14, v83
	v_add_co_ci_u32_e64 v90, null, s15, v84, vcc_lo
	v_lshlrev_b64 v[92:93], 4, v[26:27]
	v_add_nc_u32_e32 v26, -2, v24
	v_add_co_u32 v94, vcc_lo, s12, v87
	v_add_co_ci_u32_e64 v95, null, s13, v88, vcc_lo
	v_lshlrev_b64 v[96:97], 4, v[26:27]
	v_add_co_u32 v98, vcc_lo, s12, v92
	v_add_co_ci_u32_e64 v99, null, s13, v93, vcc_lo
	global_load_dwordx4 v[83:86], v[85:86], off
	v_add_co_u32 v102, vcc_lo, s12, v96
	v_add_co_ci_u32_e64 v103, null, s13, v97, vcc_lo
	global_load_dwordx4 v[87:90], v[89:90], off
	v_add_nc_u32_e32 v26, 4, v91
	global_load_dwordx4 v[91:94], v[94:95], off
	v_lshlrev_b64 v[100:101], 4, v[26:27]
	v_add_nc_u32_e32 v26, -1, v24
	v_add_nc_u32_e32 v24, 60, v24
	v_lshlrev_b64 v[25:26], 4, v[26:27]
	s_waitcnt vmcnt(11)
	v_fma_f64 v[22:23], v[31:32], v[47:48], v[22:23]
	v_fma_f64 v[16:17], v[33:34], v[47:48], v[16:17]
	;; [unrolled: 1-line block ×6, first 2 shown]
	v_fma_f64 v[22:23], -v[33:34], v[49:50], v[22:23]
	v_fma_f64 v[16:17], v[31:32], v[49:50], v[16:17]
	s_clause 0x1
	global_load_dwordx4 v[31:34], v[102:103], off
	global_load_dwordx4 v[95:98], v[98:99], off
	v_add_co_u32 v99, vcc_lo, s14, v100
	v_add_co_ci_u32_e64 v100, null, s15, v101, vcc_lo
	v_add_co_u32 v25, vcc_lo, s12, v25
	v_add_co_ci_u32_e64 v26, null, s13, v26, vcc_lo
	v_fma_f64 v[18:19], -v[41:42], v[49:50], v[18:19]
	v_fma_f64 v[20:21], v[39:40], v[49:50], v[20:21]
	global_load_dwordx4 v[39:42], v[99:100], off
	global_load_dwordx4 v[99:102], v[25:26], off
	v_fma_f64 v[11:12], -v[45:46], v[49:50], v[11:12]
	v_fma_f64 v[13:14], v[43:44], v[49:50], v[13:14]
	v_cmp_ge_i32_e32 vcc_lo, v28, v30
	s_or_b32 s3, vcc_lo, s3
	s_waitcnt vmcnt(13)
	v_fma_f64 v[22:23], v[51:52], v[55:56], v[22:23]
	v_fma_f64 v[15:16], v[53:54], v[55:56], v[16:17]
	s_waitcnt vmcnt(12)
	v_fma_f64 v[17:18], v[59:60], v[55:56], v[18:19]
	v_fma_f64 v[19:20], v[61:62], v[55:56], v[20:21]
	;; [unrolled: 3-line block ×3, first 2 shown]
	v_fma_f64 v[21:22], -v[53:54], v[57:58], v[22:23]
	v_fma_f64 v[15:16], v[51:52], v[57:58], v[15:16]
	v_fma_f64 v[17:18], -v[61:62], v[57:58], v[17:18]
	v_fma_f64 v[19:20], v[59:60], v[57:58], v[19:20]
	;; [unrolled: 2-line block ×3, first 2 shown]
	s_waitcnt vmcnt(9)
	v_fma_f64 v[21:22], v[67:68], v[71:72], v[21:22]
	v_fma_f64 v[15:16], v[69:70], v[71:72], v[15:16]
	s_waitcnt vmcnt(8)
	v_fma_f64 v[17:18], v[75:76], v[71:72], v[17:18]
	v_fma_f64 v[19:20], v[77:78], v[71:72], v[19:20]
	;; [unrolled: 3-line block ×3, first 2 shown]
	v_fma_f64 v[21:22], -v[69:70], v[73:74], v[21:22]
	v_fma_f64 v[15:16], v[67:68], v[73:74], v[15:16]
	v_fma_f64 v[17:18], -v[77:78], v[73:74], v[17:18]
	v_fma_f64 v[19:20], v[75:76], v[73:74], v[19:20]
	;; [unrolled: 2-line block ×3, first 2 shown]
	s_waitcnt vmcnt(5)
	v_fma_f64 v[21:22], v[83:84], v[87:88], v[21:22]
	v_fma_f64 v[15:16], v[85:86], v[87:88], v[15:16]
	s_waitcnt vmcnt(4)
	v_fma_f64 v[17:18], v[91:92], v[87:88], v[17:18]
	v_fma_f64 v[19:20], v[93:94], v[87:88], v[19:20]
	v_fma_f64 v[21:22], -v[85:86], v[89:90], v[21:22]
	v_fma_f64 v[15:16], v[83:84], v[89:90], v[15:16]
	v_fma_f64 v[17:18], -v[93:94], v[89:90], v[17:18]
	v_fma_f64 v[19:20], v[91:92], v[89:90], v[19:20]
	s_waitcnt vmcnt(2)
	v_fma_f64 v[11:12], v[95:96], v[87:88], v[11:12]
	v_fma_f64 v[13:14], v[97:98], v[87:88], v[13:14]
	s_waitcnt vmcnt(1)
	v_fma_f64 v[21:22], v[31:32], v[39:40], v[21:22]
	;; [unrolled: 3-line block ×3, first 2 shown]
	v_fma_f64 v[43:44], v[101:102], v[39:40], v[19:20]
	v_fma_f64 v[11:12], -v[97:98], v[89:90], v[11:12]
	v_fma_f64 v[13:14], v[95:96], v[89:90], v[13:14]
	v_fma_f64 v[22:23], -v[33:34], v[41:42], v[21:22]
	;; [unrolled: 2-line block ×3, first 2 shown]
	v_fma_f64 v[20:21], v[99:100], v[41:42], v[43:44]
	v_fma_f64 v[11:12], v[35:36], v[39:40], v[11:12]
	;; [unrolled: 1-line block ×3, first 2 shown]
	v_fma_f64 v[12:13], -v[37:38], v[41:42], v[11:12]
	v_fma_f64 v[14:15], v[35:36], v[41:42], v[39:40]
	s_andn2_b32 exec_lo, exec_lo, s3
	s_cbranch_execnz .LBB126_7
; %bb.8:
	s_or_b32 exec_lo, exec_lo, s3
.LBB126_9:
	s_or_b32 exec_lo, exec_lo, s1
	s_cbranch_execz .LBB126_11
	s_branch .LBB126_16
.LBB126_10:
                                        ; implicit-def: $vgpr16_vgpr17
                                        ; implicit-def: $vgpr22_vgpr23
                                        ; implicit-def: $vgpr12_vgpr13
                                        ; implicit-def: $vgpr14_vgpr15
                                        ; implicit-def: $vgpr18_vgpr19
                                        ; implicit-def: $vgpr20_vgpr21
.LBB126_11:
	v_mov_b32_e32 v16, 0
	v_mov_b32_e32 v22, 0
	;; [unrolled: 1-line block ×12, first 2 shown]
	s_and_saveexec_b32 s1, s0
	s_cbranch_execz .LBB126_15
; %bb.12:
	v_mad_u64_u32 v[24:25], null, v10, 15, 14
	v_mov_b32_e32 v16, 0
	v_mov_b32_e32 v22, 0
	;; [unrolled: 1-line block ×13, first 2 shown]
	s_mov_b32 s0, 0
.LBB126_13:                             ; =>This Inner Loop Header: Depth=1
	v_ashrrev_i32_e32 v11, 31, v10
	v_add_nc_u32_e32 v26, -14, v24
	v_add_nc_u32_e32 v28, -9, v24
	v_mov_b32_e32 v29, v27
	v_add_nc_u32_e32 v31, -4, v24
	v_lshlrev_b64 v[35:36], 2, v[10:11]
	v_mov_b32_e32 v32, v27
	v_lshlrev_b64 v[33:34], 4, v[26:27]
	v_mov_b32_e32 v25, v27
	v_lshlrev_b64 v[28:29], 4, v[28:29]
	v_add_nc_u32_e32 v26, -13, v24
	v_add_co_u32 v35, vcc_lo, s10, v35
	v_add_co_ci_u32_e64 v36, null, s11, v36, vcc_lo
	v_lshlrev_b64 v[31:32], 4, v[31:32]
	v_lshlrev_b64 v[37:38], 4, v[24:25]
	v_add_co_u32 v33, vcc_lo, s12, v33
	global_load_dword v11, v[35:36], off
	v_lshlrev_b64 v[25:26], 4, v[26:27]
	v_add_co_ci_u32_e64 v34, null, s13, v34, vcc_lo
	v_add_co_u32 v28, vcc_lo, s12, v28
	v_add_co_ci_u32_e64 v29, null, s13, v29, vcc_lo
	v_add_co_u32 v39, vcc_lo, s12, v31
	;; [unrolled: 2-line block ×3, first 2 shown]
	v_mov_b32_e32 v80, v27
	v_add_co_ci_u32_e64 v82, null, s13, v38, vcc_lo
	v_add_co_u32 v25, vcc_lo, s12, v25
	v_add_co_ci_u32_e64 v26, null, s13, v26, vcc_lo
	s_clause 0x3
	global_load_dwordx4 v[31:34], v[33:34], off
	global_load_dwordx4 v[35:38], v[28:29], off
	;; [unrolled: 1-line block ×4, first 2 shown]
	v_add_nc_u32_e32 v10, 4, v10
	s_waitcnt vmcnt(4)
	v_subrev_nc_u32_e32 v11, s2, v11
	v_lshl_add_u32 v79, v11, 2, v11
	v_lshlrev_b64 v[28:29], 4, v[79:80]
	v_add_nc_u32_e32 v26, 1, v79
	v_lshlrev_b64 v[51:52], 4, v[26:27]
	v_add_co_u32 v28, vcc_lo, s14, v28
	v_add_co_ci_u32_e64 v29, null, s15, v29, vcc_lo
	v_add_nc_u32_e32 v26, -8, v24
	global_load_dwordx4 v[47:50], v[28:29], off
	v_add_co_u32 v28, vcc_lo, s14, v51
	v_add_co_ci_u32_e64 v29, null, s15, v52, vcc_lo
	v_lshlrev_b64 v[55:56], 4, v[26:27]
	v_add_nc_u32_e32 v26, -3, v24
	global_load_dwordx4 v[51:54], v[28:29], off
	v_add_co_u32 v28, vcc_lo, s12, v55
	v_add_co_ci_u32_e64 v29, null, s13, v56, vcc_lo
	v_lshlrev_b64 v[59:60], 4, v[26:27]
	v_add_nc_u32_e32 v26, -12, v24
	global_load_dwordx4 v[55:58], v[28:29], off
	v_lshlrev_b64 v[61:62], 4, v[26:27]
	v_add_co_u32 v28, vcc_lo, s12, v59
	v_add_co_ci_u32_e64 v29, null, s13, v60, vcc_lo
	v_add_nc_u32_e32 v26, 2, v79
	v_add_co_u32 v65, vcc_lo, s12, v61
	v_add_co_ci_u32_e64 v66, null, s13, v62, vcc_lo
	global_load_dwordx4 v[59:62], v[28:29], off
	v_lshlrev_b64 v[63:64], 4, v[26:27]
	v_add_nc_u32_e32 v26, -7, v24
	v_add_co_u32 v67, vcc_lo, s14, v63
	v_add_co_ci_u32_e64 v68, null, s15, v64, vcc_lo
	global_load_dwordx4 v[63:66], v[65:66], off
	v_lshlrev_b64 v[28:29], 4, v[26:27]
	v_add_nc_u32_e32 v26, -2, v24
	global_load_dwordx4 v[67:70], v[67:68], off
	v_add_co_u32 v28, vcc_lo, s12, v28
	v_lshlrev_b64 v[75:76], 4, v[26:27]
	v_add_nc_u32_e32 v26, -11, v24
	v_add_co_ci_u32_e64 v29, null, s13, v29, vcc_lo
	v_lshlrev_b64 v[77:78], 4, v[26:27]
	global_load_dwordx4 v[71:74], v[28:29], off
	v_add_co_u32 v28, vcc_lo, s12, v75
	v_add_co_ci_u32_e64 v29, null, s13, v76, vcc_lo
	v_add_co_u32 v85, vcc_lo, s12, v77
	v_add_co_ci_u32_e64 v86, null, s13, v78, vcc_lo
	global_load_dwordx4 v[75:78], v[28:29], off
	v_add_nc_u32_e32 v26, 3, v79
	v_lshlrev_b64 v[83:84], 4, v[26:27]
	v_add_nc_u32_e32 v26, -6, v24
	s_waitcnt vmcnt(7)
	v_fma_f64 v[16:17], v[33:34], v[47:48], v[16:17]
	v_fma_f64 v[22:23], v[31:32], v[47:48], v[22:23]
	;; [unrolled: 1-line block ×7, first 2 shown]
	v_lshlrev_b64 v[16:17], 4, v[26:27]
	v_add_nc_u32_e32 v26, -1, v24
	v_fma_f64 v[28:29], -v[33:34], v[49:50], v[22:23]
	v_add_co_u32 v22, vcc_lo, s14, v83
	v_add_co_ci_u32_e64 v23, null, s15, v84, vcc_lo
	v_fma_f64 v[83:84], -v[37:38], v[49:50], v[18:19]
	v_lshlrev_b64 v[18:19], 4, v[26:27]
	v_add_nc_u32_e32 v26, -10, v24
	global_load_dwordx4 v[31:34], v[85:86], off
	v_fma_f64 v[85:86], v[35:36], v[49:50], v[20:21]
	v_add_co_u32 v20, vcc_lo, s12, v16
	v_lshlrev_b64 v[35:36], 4, v[26:27]
	v_add_nc_u32_e32 v26, 4, v79
	v_fma_f64 v[89:90], v[39:40], v[49:50], v[13:14]
	v_add_co_ci_u32_e64 v21, null, s13, v17, vcc_lo
	v_add_co_u32 v37, vcc_lo, s12, v18
	v_lshlrev_b64 v[39:40], 4, v[26:27]
	v_add_co_ci_u32_e64 v38, null, s13, v19, vcc_lo
	v_add_co_u32 v35, vcc_lo, s12, v35
	v_add_co_ci_u32_e64 v36, null, s13, v36, vcc_lo
	v_add_co_u32 v39, vcc_lo, s14, v39
	v_add_co_ci_u32_e64 v40, null, s15, v40, vcc_lo
	global_load_dwordx4 v[16:19], v[22:23], off
	v_fma_f64 v[79:80], -v[41:42], v[49:50], v[11:12]
	global_load_dwordx4 v[11:14], v[20:21], off
	s_waitcnt vmcnt(9)
	v_fma_f64 v[28:29], v[43:44], v[51:52], v[28:29]
	global_load_dwordx4 v[39:42], v[39:40], off
	global_load_dwordx4 v[20:23], v[37:38], off
	v_fma_f64 v[37:38], v[45:46], v[51:52], v[87:88]
	v_add_nc_u32_e32 v26, -5, v24
	v_add_nc_u32_e32 v24, 60, v24
	v_lshlrev_b64 v[25:26], 4, v[26:27]
	v_add_co_u32 v25, vcc_lo, s12, v25
	v_add_co_ci_u32_e64 v26, null, s13, v26, vcc_lo
	v_cmp_ge_i32_e32 vcc_lo, v10, v30
	v_fma_f64 v[28:29], -v[45:46], v[53:54], v[28:29]
	s_waitcnt vmcnt(10)
	v_fma_f64 v[45:46], v[57:58], v[51:52], v[85:86]
	s_or_b32 s0, vcc_lo, s0
	v_fma_f64 v[87:88], v[43:44], v[53:54], v[37:38]
	v_fma_f64 v[43:44], v[55:56], v[51:52], v[83:84]
	global_load_dwordx4 v[35:38], v[35:36], off
	s_waitcnt vmcnt(8)
	v_fma_f64 v[28:29], v[63:64], v[67:68], v[28:29]
	v_fma_f64 v[55:56], v[55:56], v[53:54], v[45:46]
	v_fma_f64 v[57:58], -v[57:58], v[53:54], v[43:44]
	s_clause 0x1
	global_load_dwordx4 v[43:46], v[25:26], off
	global_load_dwordx4 v[47:50], v[81:82], off
	v_fma_f64 v[25:26], v[59:60], v[51:52], v[79:80]
	v_fma_f64 v[51:52], v[61:62], v[51:52], v[89:90]
	v_fma_f64 v[28:29], -v[65:66], v[69:70], v[28:29]
	s_waitcnt vmcnt(9)
	v_fma_f64 v[55:56], v[73:74], v[67:68], v[55:56]
	v_fma_f64 v[57:58], v[71:72], v[67:68], v[57:58]
	v_fma_f64 v[25:26], -v[61:62], v[53:54], v[25:26]
	v_fma_f64 v[51:52], v[59:60], v[53:54], v[51:52]
	v_fma_f64 v[53:54], v[65:66], v[67:68], v[87:88]
	;; [unrolled: 1-line block ×3, first 2 shown]
	v_fma_f64 v[57:58], -v[73:74], v[69:70], v[57:58]
	s_waitcnt vmcnt(8)
	v_fma_f64 v[25:26], v[75:76], v[67:68], v[25:26]
	v_fma_f64 v[51:52], v[77:78], v[67:68], v[51:52]
	;; [unrolled: 1-line block ×3, first 2 shown]
	v_fma_f64 v[25:26], -v[77:78], v[69:70], v[25:26]
	v_fma_f64 v[51:52], v[75:76], v[69:70], v[51:52]
	s_waitcnt vmcnt(6)
	v_fma_f64 v[28:29], v[31:32], v[16:17], v[28:29]
	v_fma_f64 v[53:54], v[33:34], v[16:17], v[53:54]
	s_waitcnt vmcnt(5)
	v_fma_f64 v[57:58], v[11:12], v[16:17], v[57:58]
	;; [unrolled: 3-line block ×3, first 2 shown]
	v_fma_f64 v[15:16], v[22:23], v[16:17], v[51:52]
	v_fma_f64 v[28:29], -v[33:34], v[18:19], v[28:29]
	v_fma_f64 v[31:32], v[31:32], v[18:19], v[53:54]
	v_fma_f64 v[13:14], -v[13:14], v[18:19], v[57:58]
	;; [unrolled: 2-line block ×3, first 2 shown]
	v_fma_f64 v[15:16], v[20:21], v[18:19], v[15:16]
	s_waitcnt vmcnt(2)
	v_fma_f64 v[17:18], v[35:36], v[39:40], v[28:29]
	v_fma_f64 v[19:20], v[37:38], v[39:40], v[31:32]
	s_waitcnt vmcnt(1)
	v_fma_f64 v[13:14], v[43:44], v[39:40], v[13:14]
	;; [unrolled: 3-line block ×3, first 2 shown]
	v_fma_f64 v[28:29], v[49:50], v[39:40], v[15:16]
	v_fma_f64 v[22:23], -v[37:38], v[41:42], v[17:18]
	v_fma_f64 v[16:17], v[35:36], v[41:42], v[19:20]
	v_fma_f64 v[18:19], -v[45:46], v[41:42], v[13:14]
	;; [unrolled: 2-line block ×3, first 2 shown]
	v_fma_f64 v[14:15], v[47:48], v[41:42], v[28:29]
	s_andn2_b32 exec_lo, exec_lo, s0
	s_cbranch_execnz .LBB126_13
; %bb.14:
	s_or_b32 exec_lo, exec_lo, s0
.LBB126_15:
	s_or_b32 exec_lo, exec_lo, s1
.LBB126_16:
	v_mbcnt_lo_u32_b32 v36, -1, 0
	v_xor_b32_e32 v10, 2, v36
	v_cmp_gt_i32_e32 vcc_lo, 32, v10
	v_cndmask_b32_e32 v10, v36, v10, vcc_lo
	v_lshlrev_b32_e32 v26, 2, v10
	ds_bpermute_b32 v10, v26, v22
	ds_bpermute_b32 v11, v26, v23
	;; [unrolled: 1-line block ×12, first 2 shown]
	s_waitcnt lgkmcnt(10)
	v_add_f64 v[10:11], v[22:23], v[10:11]
	s_waitcnt lgkmcnt(8)
	v_add_f64 v[26:27], v[16:17], v[24:25]
	;; [unrolled: 2-line block ×3, first 2 shown]
	v_xor_b32_e32 v28, 1, v36
	s_waitcnt lgkmcnt(4)
	v_add_f64 v[18:19], v[20:21], v[30:31]
	s_waitcnt lgkmcnt(2)
	v_add_f64 v[16:17], v[12:13], v[32:33]
	;; [unrolled: 2-line block ×3, first 2 shown]
	v_cmp_gt_i32_e32 vcc_lo, 32, v28
	v_cndmask_b32_e32 v12, v36, v28, vcc_lo
	v_cmp_eq_u32_e32 vcc_lo, 3, v0
	v_lshlrev_b32_e32 v29, 2, v12
	ds_bpermute_b32 v32, v29, v10
	ds_bpermute_b32 v33, v29, v11
	;; [unrolled: 1-line block ×12, first 2 shown]
	s_and_b32 exec_lo, exec_lo, vcc_lo
	s_cbranch_execz .LBB126_21
; %bb.17:
	v_cmp_eq_f64_e32 vcc_lo, 0, v[5:6]
	v_cmp_eq_f64_e64 s0, 0, v[7:8]
	s_waitcnt lgkmcnt(10)
	v_add_f64 v[10:11], v[10:11], v[32:33]
	s_waitcnt lgkmcnt(8)
	v_add_f64 v[20:21], v[26:27], v[20:21]
	;; [unrolled: 2-line block ×6, first 2 shown]
	s_load_dwordx2 s[2:3], s[4:5], 0x48
	s_and_b32 s0, vcc_lo, s0
	s_and_saveexec_b32 s1, s0
	s_xor_b32 s0, exec_lo, s1
	s_cbranch_execz .LBB126_19
; %bb.18:
	v_mul_f64 v[5:6], v[20:21], -v[3:4]
	v_mul_f64 v[7:8], v[1:2], v[20:21]
	v_mul_f64 v[20:21], v[18:19], -v[3:4]
	v_mul_f64 v[18:19], v[1:2], v[18:19]
	;; [unrolled: 2-line block ×3, first 2 shown]
	v_lshl_add_u32 v24, v9, 1, v9
	v_ashrrev_i32_e32 v25, 31, v24
	v_fma_f64 v[5:6], v[1:2], v[10:11], v[5:6]
	v_fma_f64 v[7:8], v[3:4], v[10:11], v[7:8]
	;; [unrolled: 1-line block ×6, first 2 shown]
	v_lshlrev_b64 v[13:14], 4, v[24:25]
                                        ; implicit-def: $vgpr20_vgpr21
                                        ; implicit-def: $vgpr18_vgpr19
                                        ; implicit-def: $vgpr16_vgpr17
	s_waitcnt lgkmcnt(0)
	v_add_co_u32 v13, vcc_lo, s2, v13
	v_add_co_ci_u32_e64 v14, null, s3, v14, vcc_lo
	global_store_dwordx4 v[13:14], v[5:8], off
	global_store_dwordx4 v[13:14], v[9:12], off offset:16
	global_store_dwordx4 v[13:14], v[0:3], off offset:32
                                        ; implicit-def: $vgpr9
                                        ; implicit-def: $vgpr10_vgpr11
                                        ; implicit-def: $vgpr12_vgpr13
                                        ; implicit-def: $vgpr14_vgpr15
                                        ; implicit-def: $vgpr7_vgpr8
                                        ; implicit-def: $vgpr3_vgpr4
.LBB126_19:
	s_andn2_saveexec_b32 s0, s0
	s_cbranch_execz .LBB126_21
; %bb.20:
	v_lshl_add_u32 v22, v9, 1, v9
	v_mul_f64 v[36:37], v[20:21], -v[3:4]
	v_mul_f64 v[20:21], v[1:2], v[20:21]
	v_mul_f64 v[38:39], v[18:19], -v[3:4]
	v_mul_f64 v[18:19], v[1:2], v[18:19]
	v_ashrrev_i32_e32 v23, 31, v22
	v_mul_f64 v[40:41], v[16:17], -v[3:4]
	v_mul_f64 v[16:17], v[1:2], v[16:17]
	v_lshlrev_b64 v[22:23], 4, v[22:23]
	s_waitcnt lgkmcnt(0)
	v_add_co_u32 v34, vcc_lo, s2, v22
	v_add_co_ci_u32_e64 v35, null, s3, v23, vcc_lo
	s_clause 0x2
	global_load_dwordx4 v[22:25], v[34:35], off
	global_load_dwordx4 v[26:29], v[34:35], off offset:16
	global_load_dwordx4 v[30:33], v[34:35], off offset:32
	v_fma_f64 v[36:37], v[1:2], v[10:11], v[36:37]
	v_fma_f64 v[9:10], v[3:4], v[10:11], v[20:21]
	;; [unrolled: 1-line block ×6, first 2 shown]
	s_waitcnt vmcnt(2)
	v_fma_f64 v[13:14], v[5:6], v[22:23], v[36:37]
	v_fma_f64 v[9:10], v[7:8], v[22:23], v[9:10]
	s_waitcnt vmcnt(1)
	v_fma_f64 v[15:16], v[5:6], v[26:27], v[20:21]
	v_fma_f64 v[11:12], v[7:8], v[26:27], v[11:12]
	;; [unrolled: 3-line block ×3, first 2 shown]
	v_fma_f64 v[0:1], -v[7:8], v[24:25], v[13:14]
	v_fma_f64 v[2:3], v[5:6], v[24:25], v[9:10]
	v_fma_f64 v[9:10], -v[7:8], v[28:29], v[15:16]
	v_fma_f64 v[11:12], v[5:6], v[28:29], v[11:12]
	;; [unrolled: 2-line block ×3, first 2 shown]
	global_store_dwordx4 v[34:35], v[0:3], off
	global_store_dwordx4 v[34:35], v[9:12], off offset:16
	global_store_dwordx4 v[34:35], v[13:16], off offset:32
.LBB126_21:
	s_endpgm
	.section	.rodata,"a",@progbits
	.p2align	6, 0x0
	.amdhsa_kernel _ZN9rocsparseL19gebsrmvn_3xn_kernelILj128ELj5ELj4E21rocsparse_complex_numIdEEEvi20rocsparse_direction_NS_24const_host_device_scalarIT2_EEPKiS8_PKS5_SA_S6_PS5_21rocsparse_index_base_b
		.amdhsa_group_segment_fixed_size 0
		.amdhsa_private_segment_fixed_size 0
		.amdhsa_kernarg_size 88
		.amdhsa_user_sgpr_count 6
		.amdhsa_user_sgpr_private_segment_buffer 1
		.amdhsa_user_sgpr_dispatch_ptr 0
		.amdhsa_user_sgpr_queue_ptr 0
		.amdhsa_user_sgpr_kernarg_segment_ptr 1
		.amdhsa_user_sgpr_dispatch_id 0
		.amdhsa_user_sgpr_flat_scratch_init 0
		.amdhsa_user_sgpr_private_segment_size 0
		.amdhsa_wavefront_size32 1
		.amdhsa_uses_dynamic_stack 0
		.amdhsa_system_sgpr_private_segment_wavefront_offset 0
		.amdhsa_system_sgpr_workgroup_id_x 1
		.amdhsa_system_sgpr_workgroup_id_y 0
		.amdhsa_system_sgpr_workgroup_id_z 0
		.amdhsa_system_sgpr_workgroup_info 0
		.amdhsa_system_vgpr_workitem_id 0
		.amdhsa_next_free_vgpr 104
		.amdhsa_next_free_sgpr 16
		.amdhsa_reserve_vcc 1
		.amdhsa_reserve_flat_scratch 0
		.amdhsa_float_round_mode_32 0
		.amdhsa_float_round_mode_16_64 0
		.amdhsa_float_denorm_mode_32 3
		.amdhsa_float_denorm_mode_16_64 3
		.amdhsa_dx10_clamp 1
		.amdhsa_ieee_mode 1
		.amdhsa_fp16_overflow 0
		.amdhsa_workgroup_processor_mode 1
		.amdhsa_memory_ordered 1
		.amdhsa_forward_progress 1
		.amdhsa_shared_vgpr_count 0
		.amdhsa_exception_fp_ieee_invalid_op 0
		.amdhsa_exception_fp_denorm_src 0
		.amdhsa_exception_fp_ieee_div_zero 0
		.amdhsa_exception_fp_ieee_overflow 0
		.amdhsa_exception_fp_ieee_underflow 0
		.amdhsa_exception_fp_ieee_inexact 0
		.amdhsa_exception_int_div_zero 0
	.end_amdhsa_kernel
	.section	.text._ZN9rocsparseL19gebsrmvn_3xn_kernelILj128ELj5ELj4E21rocsparse_complex_numIdEEEvi20rocsparse_direction_NS_24const_host_device_scalarIT2_EEPKiS8_PKS5_SA_S6_PS5_21rocsparse_index_base_b,"axG",@progbits,_ZN9rocsparseL19gebsrmvn_3xn_kernelILj128ELj5ELj4E21rocsparse_complex_numIdEEEvi20rocsparse_direction_NS_24const_host_device_scalarIT2_EEPKiS8_PKS5_SA_S6_PS5_21rocsparse_index_base_b,comdat
.Lfunc_end126:
	.size	_ZN9rocsparseL19gebsrmvn_3xn_kernelILj128ELj5ELj4E21rocsparse_complex_numIdEEEvi20rocsparse_direction_NS_24const_host_device_scalarIT2_EEPKiS8_PKS5_SA_S6_PS5_21rocsparse_index_base_b, .Lfunc_end126-_ZN9rocsparseL19gebsrmvn_3xn_kernelILj128ELj5ELj4E21rocsparse_complex_numIdEEEvi20rocsparse_direction_NS_24const_host_device_scalarIT2_EEPKiS8_PKS5_SA_S6_PS5_21rocsparse_index_base_b
                                        ; -- End function
	.set _ZN9rocsparseL19gebsrmvn_3xn_kernelILj128ELj5ELj4E21rocsparse_complex_numIdEEEvi20rocsparse_direction_NS_24const_host_device_scalarIT2_EEPKiS8_PKS5_SA_S6_PS5_21rocsparse_index_base_b.num_vgpr, 104
	.set _ZN9rocsparseL19gebsrmvn_3xn_kernelILj128ELj5ELj4E21rocsparse_complex_numIdEEEvi20rocsparse_direction_NS_24const_host_device_scalarIT2_EEPKiS8_PKS5_SA_S6_PS5_21rocsparse_index_base_b.num_agpr, 0
	.set _ZN9rocsparseL19gebsrmvn_3xn_kernelILj128ELj5ELj4E21rocsparse_complex_numIdEEEvi20rocsparse_direction_NS_24const_host_device_scalarIT2_EEPKiS8_PKS5_SA_S6_PS5_21rocsparse_index_base_b.numbered_sgpr, 16
	.set _ZN9rocsparseL19gebsrmvn_3xn_kernelILj128ELj5ELj4E21rocsparse_complex_numIdEEEvi20rocsparse_direction_NS_24const_host_device_scalarIT2_EEPKiS8_PKS5_SA_S6_PS5_21rocsparse_index_base_b.num_named_barrier, 0
	.set _ZN9rocsparseL19gebsrmvn_3xn_kernelILj128ELj5ELj4E21rocsparse_complex_numIdEEEvi20rocsparse_direction_NS_24const_host_device_scalarIT2_EEPKiS8_PKS5_SA_S6_PS5_21rocsparse_index_base_b.private_seg_size, 0
	.set _ZN9rocsparseL19gebsrmvn_3xn_kernelILj128ELj5ELj4E21rocsparse_complex_numIdEEEvi20rocsparse_direction_NS_24const_host_device_scalarIT2_EEPKiS8_PKS5_SA_S6_PS5_21rocsparse_index_base_b.uses_vcc, 1
	.set _ZN9rocsparseL19gebsrmvn_3xn_kernelILj128ELj5ELj4E21rocsparse_complex_numIdEEEvi20rocsparse_direction_NS_24const_host_device_scalarIT2_EEPKiS8_PKS5_SA_S6_PS5_21rocsparse_index_base_b.uses_flat_scratch, 0
	.set _ZN9rocsparseL19gebsrmvn_3xn_kernelILj128ELj5ELj4E21rocsparse_complex_numIdEEEvi20rocsparse_direction_NS_24const_host_device_scalarIT2_EEPKiS8_PKS5_SA_S6_PS5_21rocsparse_index_base_b.has_dyn_sized_stack, 0
	.set _ZN9rocsparseL19gebsrmvn_3xn_kernelILj128ELj5ELj4E21rocsparse_complex_numIdEEEvi20rocsparse_direction_NS_24const_host_device_scalarIT2_EEPKiS8_PKS5_SA_S6_PS5_21rocsparse_index_base_b.has_recursion, 0
	.set _ZN9rocsparseL19gebsrmvn_3xn_kernelILj128ELj5ELj4E21rocsparse_complex_numIdEEEvi20rocsparse_direction_NS_24const_host_device_scalarIT2_EEPKiS8_PKS5_SA_S6_PS5_21rocsparse_index_base_b.has_indirect_call, 0
	.section	.AMDGPU.csdata,"",@progbits
; Kernel info:
; codeLenInByte = 4124
; TotalNumSgprs: 18
; NumVgprs: 104
; ScratchSize: 0
; MemoryBound: 0
; FloatMode: 240
; IeeeMode: 1
; LDSByteSize: 0 bytes/workgroup (compile time only)
; SGPRBlocks: 0
; VGPRBlocks: 12
; NumSGPRsForWavesPerEU: 18
; NumVGPRsForWavesPerEU: 104
; Occupancy: 9
; WaveLimiterHint : 1
; COMPUTE_PGM_RSRC2:SCRATCH_EN: 0
; COMPUTE_PGM_RSRC2:USER_SGPR: 6
; COMPUTE_PGM_RSRC2:TRAP_HANDLER: 0
; COMPUTE_PGM_RSRC2:TGID_X_EN: 1
; COMPUTE_PGM_RSRC2:TGID_Y_EN: 0
; COMPUTE_PGM_RSRC2:TGID_Z_EN: 0
; COMPUTE_PGM_RSRC2:TIDIG_COMP_CNT: 0
	.section	.text._ZN9rocsparseL19gebsrmvn_3xn_kernelILj128ELj5ELj8E21rocsparse_complex_numIdEEEvi20rocsparse_direction_NS_24const_host_device_scalarIT2_EEPKiS8_PKS5_SA_S6_PS5_21rocsparse_index_base_b,"axG",@progbits,_ZN9rocsparseL19gebsrmvn_3xn_kernelILj128ELj5ELj8E21rocsparse_complex_numIdEEEvi20rocsparse_direction_NS_24const_host_device_scalarIT2_EEPKiS8_PKS5_SA_S6_PS5_21rocsparse_index_base_b,comdat
	.globl	_ZN9rocsparseL19gebsrmvn_3xn_kernelILj128ELj5ELj8E21rocsparse_complex_numIdEEEvi20rocsparse_direction_NS_24const_host_device_scalarIT2_EEPKiS8_PKS5_SA_S6_PS5_21rocsparse_index_base_b ; -- Begin function _ZN9rocsparseL19gebsrmvn_3xn_kernelILj128ELj5ELj8E21rocsparse_complex_numIdEEEvi20rocsparse_direction_NS_24const_host_device_scalarIT2_EEPKiS8_PKS5_SA_S6_PS5_21rocsparse_index_base_b
	.p2align	8
	.type	_ZN9rocsparseL19gebsrmvn_3xn_kernelILj128ELj5ELj8E21rocsparse_complex_numIdEEEvi20rocsparse_direction_NS_24const_host_device_scalarIT2_EEPKiS8_PKS5_SA_S6_PS5_21rocsparse_index_base_b,@function
_ZN9rocsparseL19gebsrmvn_3xn_kernelILj128ELj5ELj8E21rocsparse_complex_numIdEEEvi20rocsparse_direction_NS_24const_host_device_scalarIT2_EEPKiS8_PKS5_SA_S6_PS5_21rocsparse_index_base_b: ; @_ZN9rocsparseL19gebsrmvn_3xn_kernelILj128ELj5ELj8E21rocsparse_complex_numIdEEEvi20rocsparse_direction_NS_24const_host_device_scalarIT2_EEPKiS8_PKS5_SA_S6_PS5_21rocsparse_index_base_b
; %bb.0:
	s_clause 0x1
	s_load_dwordx2 s[2:3], s[4:5], 0x50
	s_load_dwordx2 s[0:1], s[4:5], 0x8
	s_add_u32 s7, s4, 8
	s_addc_u32 s10, s5, 0
	s_add_u32 s11, s4, 56
	s_addc_u32 s12, s5, 0
	s_load_dwordx2 s[8:9], s[4:5], 0x38
	s_waitcnt lgkmcnt(0)
	s_bitcmp1_b32 s3, 0
	s_cselect_b32 s0, s7, s0
	s_cselect_b32 s1, s10, s1
	v_mov_b32_e32 v1, s0
	v_mov_b32_e32 v2, s1
	s_cselect_b32 s0, s11, s8
	s_cselect_b32 s1, s12, s9
	v_mov_b32_e32 v5, s0
	v_mov_b32_e32 v6, s1
	flat_load_dwordx4 v[1:4], v[1:2]
	flat_load_dwordx4 v[5:8], v[5:6]
	s_waitcnt vmcnt(1) lgkmcnt(1)
	v_cmp_eq_f64_e32 vcc_lo, 0, v[1:2]
	v_cmp_eq_f64_e64 s0, 0, v[3:4]
	s_and_b32 s3, vcc_lo, s0
	s_mov_b32 s0, -1
	s_and_saveexec_b32 s1, s3
	s_cbranch_execz .LBB127_2
; %bb.1:
	s_waitcnt vmcnt(0) lgkmcnt(0)
	v_cmp_neq_f64_e32 vcc_lo, 1.0, v[5:6]
	v_cmp_neq_f64_e64 s0, 0, v[7:8]
	s_or_b32 s0, vcc_lo, s0
	s_orn2_b32 s0, s0, exec_lo
.LBB127_2:
	s_or_b32 exec_lo, exec_lo, s1
	s_and_saveexec_b32 s1, s0
	s_cbranch_execz .LBB127_21
; %bb.3:
	s_load_dwordx2 s[0:1], s[4:5], 0x0
	v_lshrrev_b32_e32 v9, 3, v0
	v_lshl_or_b32 v9, s6, 4, v9
	s_waitcnt lgkmcnt(0)
	v_cmp_gt_i32_e32 vcc_lo, s0, v9
	s_and_b32 exec_lo, exec_lo, vcc_lo
	s_cbranch_execz .LBB127_21
; %bb.4:
	s_load_dwordx8 s[8:15], s[4:5], 0x18
	v_ashrrev_i32_e32 v10, 31, v9
	v_and_b32_e32 v0, 7, v0
	s_cmp_lg_u32 s1, 0
	v_lshlrev_b64 v[10:11], 2, v[9:10]
	s_waitcnt lgkmcnt(0)
	v_add_co_u32 v10, vcc_lo, s8, v10
	v_add_co_ci_u32_e64 v11, null, s9, v11, vcc_lo
	global_load_dwordx2 v[10:11], v[10:11], off
	s_waitcnt vmcnt(0)
	v_subrev_nc_u32_e32 v10, s2, v10
	v_subrev_nc_u32_e32 v30, s2, v11
	v_add_nc_u32_e32 v10, v10, v0
	v_cmp_lt_i32_e64 s0, v10, v30
	s_cbranch_scc0 .LBB127_10
; %bb.5:
	v_mov_b32_e32 v16, 0
	v_mov_b32_e32 v22, 0
	;; [unrolled: 1-line block ×12, first 2 shown]
	s_and_saveexec_b32 s1, s0
	s_cbranch_execz .LBB127_9
; %bb.6:
	v_mad_u64_u32 v[24:25], null, v10, 15, 14
	v_mov_b32_e32 v16, 0
	v_mov_b32_e32 v22, 0
	;; [unrolled: 1-line block ×14, first 2 shown]
	s_mov_b32 s3, 0
.LBB127_7:                              ; =>This Inner Loop Header: Depth=1
	v_ashrrev_i32_e32 v29, 31, v28
	v_mov_b32_e32 v92, v27
	v_lshlrev_b64 v[25:26], 2, v[28:29]
	v_add_nc_u32_e32 v28, 8, v28
	v_add_co_u32 v25, vcc_lo, s10, v25
	v_add_co_ci_u32_e64 v26, null, s11, v26, vcc_lo
	global_load_dword v11, v[25:26], off
	v_add_nc_u32_e32 v26, -14, v24
	v_mov_b32_e32 v25, v27
	v_lshlrev_b64 v[31:32], 4, v[26:27]
	v_add_nc_u32_e32 v26, -13, v24
	v_lshlrev_b64 v[33:34], 4, v[24:25]
	v_lshlrev_b64 v[35:36], 4, v[26:27]
	v_add_nc_u32_e32 v26, -12, v24
	v_add_co_u32 v31, vcc_lo, s12, v31
	v_add_co_ci_u32_e64 v32, null, s13, v32, vcc_lo
	v_lshlrev_b64 v[39:40], 4, v[26:27]
	v_add_co_u32 v37, vcc_lo, s12, v33
	v_add_co_ci_u32_e64 v38, null, s13, v34, vcc_lo
	v_add_co_u32 v41, vcc_lo, s12, v35
	v_add_co_ci_u32_e64 v42, null, s13, v36, vcc_lo
	;; [unrolled: 2-line block ×3, first 2 shown]
	s_clause 0x3
	global_load_dwordx4 v[31:34], v[31:32], off
	global_load_dwordx4 v[35:38], v[37:38], off
	;; [unrolled: 1-line block ×4, first 2 shown]
	v_add_nc_u32_e32 v26, -11, v24
	v_lshlrev_b64 v[25:26], 4, v[26:27]
	s_waitcnt vmcnt(4)
	v_subrev_nc_u32_e32 v11, s2, v11
	v_lshl_add_u32 v91, v11, 2, v11
	v_lshlrev_b64 v[47:48], 4, v[91:92]
	v_add_co_u32 v47, vcc_lo, s14, v47
	v_add_co_ci_u32_e64 v48, null, s15, v48, vcc_lo
	v_add_co_u32 v25, vcc_lo, s12, v25
	v_add_co_ci_u32_e64 v26, null, s13, v26, vcc_lo
	global_load_dwordx4 v[47:50], v[47:48], off
	global_load_dwordx4 v[51:54], v[25:26], off
	v_add_nc_u32_e32 v26, 1, v91
	v_lshlrev_b64 v[55:56], 4, v[26:27]
	v_add_nc_u32_e32 v26, -10, v24
	v_lshlrev_b64 v[59:60], 4, v[26:27]
	v_add_nc_u32_e32 v26, -9, v24
	v_add_co_u32 v55, vcc_lo, s14, v55
	v_add_co_ci_u32_e64 v56, null, s15, v56, vcc_lo
	v_lshlrev_b64 v[61:62], 4, v[26:27]
	v_add_co_u32 v59, vcc_lo, s12, v59
	v_add_co_ci_u32_e64 v60, null, s13, v60, vcc_lo
	global_load_dwordx4 v[55:58], v[55:56], off
	v_add_co_u32 v63, vcc_lo, s12, v61
	v_add_co_ci_u32_e64 v64, null, s13, v62, vcc_lo
	s_clause 0x1
	global_load_dwordx4 v[59:62], v[59:60], off
	global_load_dwordx4 v[63:66], v[63:64], off
	v_add_nc_u32_e32 v26, -8, v24
	v_lshlrev_b64 v[67:68], 4, v[26:27]
	v_add_nc_u32_e32 v26, 2, v91
	v_lshlrev_b64 v[71:72], 4, v[26:27]
	v_add_nc_u32_e32 v26, -7, v24
	v_add_co_u32 v67, vcc_lo, s12, v67
	v_add_co_ci_u32_e64 v68, null, s13, v68, vcc_lo
	v_lshlrev_b64 v[73:74], 4, v[26:27]
	v_add_nc_u32_e32 v26, -6, v24
	v_add_co_u32 v71, vcc_lo, s14, v71
	v_add_co_ci_u32_e64 v72, null, s15, v72, vcc_lo
	;; [unrolled: 4-line block ×3, first 2 shown]
	v_lshlrev_b64 v[79:80], 4, v[26:27]
	v_add_co_u32 v81, vcc_lo, s12, v75
	v_add_co_ci_u32_e64 v82, null, s13, v76, vcc_lo
	global_load_dwordx4 v[67:70], v[67:68], off
	v_add_co_u32 v85, vcc_lo, s12, v79
	global_load_dwordx4 v[71:74], v[71:72], off
	global_load_dwordx4 v[75:78], v[77:78], off
	v_add_co_ci_u32_e64 v86, null, s13, v80, vcc_lo
	global_load_dwordx4 v[79:82], v[81:82], off
	v_add_nc_u32_e32 v26, 3, v91
	v_lshlrev_b64 v[83:84], 4, v[26:27]
	v_add_nc_u32_e32 v26, -4, v24
	v_lshlrev_b64 v[87:88], 4, v[26:27]
	v_add_nc_u32_e32 v26, -3, v24
	v_add_co_u32 v89, vcc_lo, s14, v83
	v_add_co_ci_u32_e64 v90, null, s15, v84, vcc_lo
	v_lshlrev_b64 v[92:93], 4, v[26:27]
	v_add_nc_u32_e32 v26, -2, v24
	v_add_co_u32 v94, vcc_lo, s12, v87
	v_add_co_ci_u32_e64 v95, null, s13, v88, vcc_lo
	v_lshlrev_b64 v[96:97], 4, v[26:27]
	v_add_co_u32 v98, vcc_lo, s12, v92
	v_add_co_ci_u32_e64 v99, null, s13, v93, vcc_lo
	global_load_dwordx4 v[83:86], v[85:86], off
	v_add_co_u32 v102, vcc_lo, s12, v96
	v_add_co_ci_u32_e64 v103, null, s13, v97, vcc_lo
	global_load_dwordx4 v[87:90], v[89:90], off
	v_add_nc_u32_e32 v26, 4, v91
	global_load_dwordx4 v[91:94], v[94:95], off
	v_lshlrev_b64 v[100:101], 4, v[26:27]
	v_add_nc_u32_e32 v26, -1, v24
	v_add_nc_u32_e32 v24, 0x78, v24
	v_lshlrev_b64 v[25:26], 4, v[26:27]
	s_waitcnt vmcnt(11)
	v_fma_f64 v[22:23], v[31:32], v[47:48], v[22:23]
	v_fma_f64 v[16:17], v[33:34], v[47:48], v[16:17]
	;; [unrolled: 1-line block ×6, first 2 shown]
	v_fma_f64 v[22:23], -v[33:34], v[49:50], v[22:23]
	v_fma_f64 v[16:17], v[31:32], v[49:50], v[16:17]
	s_clause 0x1
	global_load_dwordx4 v[31:34], v[102:103], off
	global_load_dwordx4 v[95:98], v[98:99], off
	v_add_co_u32 v99, vcc_lo, s14, v100
	v_add_co_ci_u32_e64 v100, null, s15, v101, vcc_lo
	v_add_co_u32 v25, vcc_lo, s12, v25
	v_add_co_ci_u32_e64 v26, null, s13, v26, vcc_lo
	v_fma_f64 v[18:19], -v[41:42], v[49:50], v[18:19]
	v_fma_f64 v[20:21], v[39:40], v[49:50], v[20:21]
	global_load_dwordx4 v[39:42], v[99:100], off
	global_load_dwordx4 v[99:102], v[25:26], off
	v_fma_f64 v[11:12], -v[45:46], v[49:50], v[11:12]
	v_fma_f64 v[13:14], v[43:44], v[49:50], v[13:14]
	v_cmp_ge_i32_e32 vcc_lo, v28, v30
	s_or_b32 s3, vcc_lo, s3
	s_waitcnt vmcnt(13)
	v_fma_f64 v[22:23], v[51:52], v[55:56], v[22:23]
	v_fma_f64 v[15:16], v[53:54], v[55:56], v[16:17]
	s_waitcnt vmcnt(12)
	v_fma_f64 v[17:18], v[59:60], v[55:56], v[18:19]
	v_fma_f64 v[19:20], v[61:62], v[55:56], v[20:21]
	;; [unrolled: 3-line block ×3, first 2 shown]
	v_fma_f64 v[21:22], -v[53:54], v[57:58], v[22:23]
	v_fma_f64 v[15:16], v[51:52], v[57:58], v[15:16]
	v_fma_f64 v[17:18], -v[61:62], v[57:58], v[17:18]
	v_fma_f64 v[19:20], v[59:60], v[57:58], v[19:20]
	;; [unrolled: 2-line block ×3, first 2 shown]
	s_waitcnt vmcnt(9)
	v_fma_f64 v[21:22], v[67:68], v[71:72], v[21:22]
	v_fma_f64 v[15:16], v[69:70], v[71:72], v[15:16]
	s_waitcnt vmcnt(8)
	v_fma_f64 v[17:18], v[75:76], v[71:72], v[17:18]
	v_fma_f64 v[19:20], v[77:78], v[71:72], v[19:20]
	s_waitcnt vmcnt(7)
	v_fma_f64 v[11:12], v[79:80], v[71:72], v[11:12]
	v_fma_f64 v[13:14], v[81:82], v[71:72], v[13:14]
	v_fma_f64 v[21:22], -v[69:70], v[73:74], v[21:22]
	v_fma_f64 v[15:16], v[67:68], v[73:74], v[15:16]
	v_fma_f64 v[17:18], -v[77:78], v[73:74], v[17:18]
	v_fma_f64 v[19:20], v[75:76], v[73:74], v[19:20]
	;; [unrolled: 2-line block ×3, first 2 shown]
	s_waitcnt vmcnt(5)
	v_fma_f64 v[21:22], v[83:84], v[87:88], v[21:22]
	v_fma_f64 v[15:16], v[85:86], v[87:88], v[15:16]
	s_waitcnt vmcnt(4)
	v_fma_f64 v[17:18], v[91:92], v[87:88], v[17:18]
	v_fma_f64 v[19:20], v[93:94], v[87:88], v[19:20]
	v_fma_f64 v[21:22], -v[85:86], v[89:90], v[21:22]
	v_fma_f64 v[15:16], v[83:84], v[89:90], v[15:16]
	v_fma_f64 v[17:18], -v[93:94], v[89:90], v[17:18]
	v_fma_f64 v[19:20], v[91:92], v[89:90], v[19:20]
	s_waitcnt vmcnt(2)
	v_fma_f64 v[11:12], v[95:96], v[87:88], v[11:12]
	v_fma_f64 v[13:14], v[97:98], v[87:88], v[13:14]
	s_waitcnt vmcnt(1)
	v_fma_f64 v[21:22], v[31:32], v[39:40], v[21:22]
	;; [unrolled: 3-line block ×3, first 2 shown]
	v_fma_f64 v[43:44], v[101:102], v[39:40], v[19:20]
	v_fma_f64 v[11:12], -v[97:98], v[89:90], v[11:12]
	v_fma_f64 v[13:14], v[95:96], v[89:90], v[13:14]
	v_fma_f64 v[22:23], -v[33:34], v[41:42], v[21:22]
	v_fma_f64 v[16:17], v[31:32], v[41:42], v[15:16]
	v_fma_f64 v[18:19], -v[101:102], v[41:42], v[25:26]
	v_fma_f64 v[20:21], v[99:100], v[41:42], v[43:44]
	v_fma_f64 v[11:12], v[35:36], v[39:40], v[11:12]
	;; [unrolled: 1-line block ×3, first 2 shown]
	v_fma_f64 v[12:13], -v[37:38], v[41:42], v[11:12]
	v_fma_f64 v[14:15], v[35:36], v[41:42], v[39:40]
	s_andn2_b32 exec_lo, exec_lo, s3
	s_cbranch_execnz .LBB127_7
; %bb.8:
	s_or_b32 exec_lo, exec_lo, s3
.LBB127_9:
	s_or_b32 exec_lo, exec_lo, s1
	s_cbranch_execz .LBB127_11
	s_branch .LBB127_16
.LBB127_10:
                                        ; implicit-def: $vgpr16_vgpr17
                                        ; implicit-def: $vgpr22_vgpr23
                                        ; implicit-def: $vgpr12_vgpr13
                                        ; implicit-def: $vgpr14_vgpr15
                                        ; implicit-def: $vgpr18_vgpr19
                                        ; implicit-def: $vgpr20_vgpr21
.LBB127_11:
	v_mov_b32_e32 v16, 0
	v_mov_b32_e32 v22, 0
	;; [unrolled: 1-line block ×12, first 2 shown]
	s_and_saveexec_b32 s1, s0
	s_cbranch_execz .LBB127_15
; %bb.12:
	v_mad_u64_u32 v[24:25], null, v10, 15, 14
	v_mov_b32_e32 v16, 0
	v_mov_b32_e32 v22, 0
	v_mov_b32_e32 v12, 0
	v_mov_b32_e32 v14, 0
	v_mov_b32_e32 v18, 0
	v_mov_b32_e32 v20, 0
	v_mov_b32_e32 v17, 0
	v_mov_b32_e32 v23, 0
	v_mov_b32_e32 v13, 0
	v_mov_b32_e32 v15, 0
	v_mov_b32_e32 v19, 0
	v_mov_b32_e32 v21, 0
	v_mov_b32_e32 v27, 0
	s_mov_b32 s0, 0
.LBB127_13:                             ; =>This Inner Loop Header: Depth=1
	v_ashrrev_i32_e32 v11, 31, v10
	v_add_nc_u32_e32 v26, -14, v24
	v_add_nc_u32_e32 v28, -9, v24
	v_mov_b32_e32 v29, v27
	v_add_nc_u32_e32 v31, -4, v24
	v_lshlrev_b64 v[35:36], 2, v[10:11]
	v_mov_b32_e32 v32, v27
	v_lshlrev_b64 v[33:34], 4, v[26:27]
	v_mov_b32_e32 v25, v27
	v_lshlrev_b64 v[28:29], 4, v[28:29]
	v_add_nc_u32_e32 v26, -13, v24
	v_add_co_u32 v35, vcc_lo, s10, v35
	v_add_co_ci_u32_e64 v36, null, s11, v36, vcc_lo
	v_lshlrev_b64 v[31:32], 4, v[31:32]
	v_lshlrev_b64 v[37:38], 4, v[24:25]
	v_add_co_u32 v33, vcc_lo, s12, v33
	global_load_dword v11, v[35:36], off
	v_lshlrev_b64 v[25:26], 4, v[26:27]
	v_add_co_ci_u32_e64 v34, null, s13, v34, vcc_lo
	v_add_co_u32 v28, vcc_lo, s12, v28
	v_add_co_ci_u32_e64 v29, null, s13, v29, vcc_lo
	v_add_co_u32 v39, vcc_lo, s12, v31
	;; [unrolled: 2-line block ×3, first 2 shown]
	v_mov_b32_e32 v80, v27
	v_add_co_ci_u32_e64 v82, null, s13, v38, vcc_lo
	v_add_co_u32 v25, vcc_lo, s12, v25
	v_add_co_ci_u32_e64 v26, null, s13, v26, vcc_lo
	s_clause 0x3
	global_load_dwordx4 v[31:34], v[33:34], off
	global_load_dwordx4 v[35:38], v[28:29], off
	;; [unrolled: 1-line block ×4, first 2 shown]
	v_add_nc_u32_e32 v10, 8, v10
	s_waitcnt vmcnt(4)
	v_subrev_nc_u32_e32 v11, s2, v11
	v_lshl_add_u32 v79, v11, 2, v11
	v_lshlrev_b64 v[28:29], 4, v[79:80]
	v_add_nc_u32_e32 v26, 1, v79
	v_lshlrev_b64 v[51:52], 4, v[26:27]
	v_add_co_u32 v28, vcc_lo, s14, v28
	v_add_co_ci_u32_e64 v29, null, s15, v29, vcc_lo
	v_add_nc_u32_e32 v26, -8, v24
	global_load_dwordx4 v[47:50], v[28:29], off
	v_add_co_u32 v28, vcc_lo, s14, v51
	v_add_co_ci_u32_e64 v29, null, s15, v52, vcc_lo
	v_lshlrev_b64 v[55:56], 4, v[26:27]
	v_add_nc_u32_e32 v26, -3, v24
	global_load_dwordx4 v[51:54], v[28:29], off
	v_add_co_u32 v28, vcc_lo, s12, v55
	v_add_co_ci_u32_e64 v29, null, s13, v56, vcc_lo
	v_lshlrev_b64 v[59:60], 4, v[26:27]
	v_add_nc_u32_e32 v26, -12, v24
	global_load_dwordx4 v[55:58], v[28:29], off
	v_lshlrev_b64 v[61:62], 4, v[26:27]
	v_add_co_u32 v28, vcc_lo, s12, v59
	v_add_co_ci_u32_e64 v29, null, s13, v60, vcc_lo
	v_add_nc_u32_e32 v26, 2, v79
	v_add_co_u32 v65, vcc_lo, s12, v61
	v_add_co_ci_u32_e64 v66, null, s13, v62, vcc_lo
	global_load_dwordx4 v[59:62], v[28:29], off
	v_lshlrev_b64 v[63:64], 4, v[26:27]
	v_add_nc_u32_e32 v26, -7, v24
	v_add_co_u32 v67, vcc_lo, s14, v63
	v_add_co_ci_u32_e64 v68, null, s15, v64, vcc_lo
	global_load_dwordx4 v[63:66], v[65:66], off
	v_lshlrev_b64 v[28:29], 4, v[26:27]
	v_add_nc_u32_e32 v26, -2, v24
	global_load_dwordx4 v[67:70], v[67:68], off
	v_add_co_u32 v28, vcc_lo, s12, v28
	v_lshlrev_b64 v[75:76], 4, v[26:27]
	v_add_nc_u32_e32 v26, -11, v24
	v_add_co_ci_u32_e64 v29, null, s13, v29, vcc_lo
	v_lshlrev_b64 v[77:78], 4, v[26:27]
	global_load_dwordx4 v[71:74], v[28:29], off
	v_add_co_u32 v28, vcc_lo, s12, v75
	v_add_co_ci_u32_e64 v29, null, s13, v76, vcc_lo
	v_add_co_u32 v85, vcc_lo, s12, v77
	v_add_co_ci_u32_e64 v86, null, s13, v78, vcc_lo
	global_load_dwordx4 v[75:78], v[28:29], off
	v_add_nc_u32_e32 v26, 3, v79
	v_lshlrev_b64 v[83:84], 4, v[26:27]
	v_add_nc_u32_e32 v26, -6, v24
	s_waitcnt vmcnt(7)
	v_fma_f64 v[16:17], v[33:34], v[47:48], v[16:17]
	v_fma_f64 v[22:23], v[31:32], v[47:48], v[22:23]
	;; [unrolled: 1-line block ×7, first 2 shown]
	v_lshlrev_b64 v[16:17], 4, v[26:27]
	v_add_nc_u32_e32 v26, -1, v24
	v_fma_f64 v[28:29], -v[33:34], v[49:50], v[22:23]
	v_add_co_u32 v22, vcc_lo, s14, v83
	v_add_co_ci_u32_e64 v23, null, s15, v84, vcc_lo
	v_fma_f64 v[83:84], -v[37:38], v[49:50], v[18:19]
	v_lshlrev_b64 v[18:19], 4, v[26:27]
	v_add_nc_u32_e32 v26, -10, v24
	global_load_dwordx4 v[31:34], v[85:86], off
	v_fma_f64 v[85:86], v[35:36], v[49:50], v[20:21]
	v_add_co_u32 v20, vcc_lo, s12, v16
	v_lshlrev_b64 v[35:36], 4, v[26:27]
	v_add_nc_u32_e32 v26, 4, v79
	v_fma_f64 v[89:90], v[39:40], v[49:50], v[13:14]
	v_add_co_ci_u32_e64 v21, null, s13, v17, vcc_lo
	v_add_co_u32 v37, vcc_lo, s12, v18
	v_lshlrev_b64 v[39:40], 4, v[26:27]
	v_add_co_ci_u32_e64 v38, null, s13, v19, vcc_lo
	v_add_co_u32 v35, vcc_lo, s12, v35
	v_add_co_ci_u32_e64 v36, null, s13, v36, vcc_lo
	v_add_co_u32 v39, vcc_lo, s14, v39
	v_add_co_ci_u32_e64 v40, null, s15, v40, vcc_lo
	global_load_dwordx4 v[16:19], v[22:23], off
	v_fma_f64 v[79:80], -v[41:42], v[49:50], v[11:12]
	global_load_dwordx4 v[11:14], v[20:21], off
	s_waitcnt vmcnt(9)
	v_fma_f64 v[28:29], v[43:44], v[51:52], v[28:29]
	global_load_dwordx4 v[39:42], v[39:40], off
	global_load_dwordx4 v[20:23], v[37:38], off
	v_fma_f64 v[37:38], v[45:46], v[51:52], v[87:88]
	v_add_nc_u32_e32 v26, -5, v24
	v_add_nc_u32_e32 v24, 0x78, v24
	v_lshlrev_b64 v[25:26], 4, v[26:27]
	v_add_co_u32 v25, vcc_lo, s12, v25
	v_add_co_ci_u32_e64 v26, null, s13, v26, vcc_lo
	v_cmp_ge_i32_e32 vcc_lo, v10, v30
	v_fma_f64 v[28:29], -v[45:46], v[53:54], v[28:29]
	s_waitcnt vmcnt(10)
	v_fma_f64 v[45:46], v[57:58], v[51:52], v[85:86]
	s_or_b32 s0, vcc_lo, s0
	v_fma_f64 v[87:88], v[43:44], v[53:54], v[37:38]
	v_fma_f64 v[43:44], v[55:56], v[51:52], v[83:84]
	global_load_dwordx4 v[35:38], v[35:36], off
	s_waitcnt vmcnt(8)
	v_fma_f64 v[28:29], v[63:64], v[67:68], v[28:29]
	v_fma_f64 v[55:56], v[55:56], v[53:54], v[45:46]
	v_fma_f64 v[57:58], -v[57:58], v[53:54], v[43:44]
	s_clause 0x1
	global_load_dwordx4 v[43:46], v[25:26], off
	global_load_dwordx4 v[47:50], v[81:82], off
	v_fma_f64 v[25:26], v[59:60], v[51:52], v[79:80]
	v_fma_f64 v[51:52], v[61:62], v[51:52], v[89:90]
	v_fma_f64 v[28:29], -v[65:66], v[69:70], v[28:29]
	s_waitcnt vmcnt(9)
	v_fma_f64 v[55:56], v[73:74], v[67:68], v[55:56]
	v_fma_f64 v[57:58], v[71:72], v[67:68], v[57:58]
	v_fma_f64 v[25:26], -v[61:62], v[53:54], v[25:26]
	v_fma_f64 v[51:52], v[59:60], v[53:54], v[51:52]
	v_fma_f64 v[53:54], v[65:66], v[67:68], v[87:88]
	;; [unrolled: 1-line block ×3, first 2 shown]
	v_fma_f64 v[57:58], -v[73:74], v[69:70], v[57:58]
	s_waitcnt vmcnt(8)
	v_fma_f64 v[25:26], v[75:76], v[67:68], v[25:26]
	v_fma_f64 v[51:52], v[77:78], v[67:68], v[51:52]
	;; [unrolled: 1-line block ×3, first 2 shown]
	v_fma_f64 v[25:26], -v[77:78], v[69:70], v[25:26]
	v_fma_f64 v[51:52], v[75:76], v[69:70], v[51:52]
	s_waitcnt vmcnt(6)
	v_fma_f64 v[28:29], v[31:32], v[16:17], v[28:29]
	v_fma_f64 v[53:54], v[33:34], v[16:17], v[53:54]
	s_waitcnt vmcnt(5)
	v_fma_f64 v[57:58], v[11:12], v[16:17], v[57:58]
	;; [unrolled: 3-line block ×3, first 2 shown]
	v_fma_f64 v[15:16], v[22:23], v[16:17], v[51:52]
	v_fma_f64 v[28:29], -v[33:34], v[18:19], v[28:29]
	v_fma_f64 v[31:32], v[31:32], v[18:19], v[53:54]
	v_fma_f64 v[13:14], -v[13:14], v[18:19], v[57:58]
	;; [unrolled: 2-line block ×3, first 2 shown]
	v_fma_f64 v[15:16], v[20:21], v[18:19], v[15:16]
	s_waitcnt vmcnt(2)
	v_fma_f64 v[17:18], v[35:36], v[39:40], v[28:29]
	v_fma_f64 v[19:20], v[37:38], v[39:40], v[31:32]
	s_waitcnt vmcnt(1)
	v_fma_f64 v[13:14], v[43:44], v[39:40], v[13:14]
	;; [unrolled: 3-line block ×3, first 2 shown]
	v_fma_f64 v[28:29], v[49:50], v[39:40], v[15:16]
	v_fma_f64 v[22:23], -v[37:38], v[41:42], v[17:18]
	v_fma_f64 v[16:17], v[35:36], v[41:42], v[19:20]
	v_fma_f64 v[18:19], -v[45:46], v[41:42], v[13:14]
	v_fma_f64 v[20:21], v[43:44], v[41:42], v[11:12]
	v_fma_f64 v[12:13], -v[49:50], v[41:42], v[25:26]
	v_fma_f64 v[14:15], v[47:48], v[41:42], v[28:29]
	s_andn2_b32 exec_lo, exec_lo, s0
	s_cbranch_execnz .LBB127_13
; %bb.14:
	s_or_b32 exec_lo, exec_lo, s0
.LBB127_15:
	s_or_b32 exec_lo, exec_lo, s1
.LBB127_16:
	v_mbcnt_lo_u32_b32 v36, -1, 0
	v_xor_b32_e32 v10, 4, v36
	v_xor_b32_e32 v34, 2, v36
	v_cmp_gt_i32_e32 vcc_lo, 32, v10
	v_cndmask_b32_e32 v10, v36, v10, vcc_lo
	v_cmp_gt_i32_e32 vcc_lo, 32, v34
	v_lshlrev_b32_e32 v33, 2, v10
	ds_bpermute_b32 v10, v33, v22
	ds_bpermute_b32 v11, v33, v23
	;; [unrolled: 1-line block ×12, first 2 shown]
	s_waitcnt lgkmcnt(10)
	v_add_f64 v[10:11], v[22:23], v[10:11]
	s_waitcnt lgkmcnt(8)
	v_add_f64 v[16:17], v[16:17], v[24:25]
	;; [unrolled: 2-line block ×5, first 2 shown]
	v_cndmask_b32_e32 v12, v36, v34, vcc_lo
	s_waitcnt lgkmcnt(0)
	v_add_f64 v[26:27], v[14:15], v[32:33]
	v_lshlrev_b32_e32 v20, 2, v12
	ds_bpermute_b32 v12, v20, v10
	ds_bpermute_b32 v13, v20, v11
	;; [unrolled: 1-line block ×12, first 2 shown]
	s_waitcnt lgkmcnt(10)
	v_add_f64 v[10:11], v[10:11], v[12:13]
	s_waitcnt lgkmcnt(8)
	v_add_f64 v[20:21], v[16:17], v[14:15]
	;; [unrolled: 2-line block ×3, first 2 shown]
	v_xor_b32_e32 v28, 1, v36
	s_waitcnt lgkmcnt(4)
	v_add_f64 v[18:19], v[22:23], v[30:31]
	s_waitcnt lgkmcnt(2)
	v_add_f64 v[14:15], v[24:25], v[32:33]
	;; [unrolled: 2-line block ×3, first 2 shown]
	v_cmp_gt_i32_e32 vcc_lo, 32, v28
	v_cndmask_b32_e32 v22, v36, v28, vcc_lo
	v_cmp_eq_u32_e32 vcc_lo, 7, v0
	v_lshlrev_b32_e32 v25, 2, v22
	ds_bpermute_b32 v32, v25, v10
	ds_bpermute_b32 v33, v25, v11
	;; [unrolled: 1-line block ×12, first 2 shown]
	s_and_b32 exec_lo, exec_lo, vcc_lo
	s_cbranch_execz .LBB127_21
; %bb.17:
	v_cmp_eq_f64_e32 vcc_lo, 0, v[5:6]
	v_cmp_eq_f64_e64 s0, 0, v[7:8]
	s_waitcnt lgkmcnt(10)
	v_add_f64 v[10:11], v[10:11], v[32:33]
	s_waitcnt lgkmcnt(8)
	v_add_f64 v[20:21], v[20:21], v[30:31]
	;; [unrolled: 2-line block ×6, first 2 shown]
	s_load_dwordx2 s[2:3], s[4:5], 0x48
	s_and_b32 s0, vcc_lo, s0
	s_and_saveexec_b32 s1, s0
	s_xor_b32 s0, exec_lo, s1
	s_cbranch_execz .LBB127_19
; %bb.18:
	v_mul_f64 v[5:6], v[20:21], -v[3:4]
	v_mul_f64 v[7:8], v[1:2], v[20:21]
	v_mul_f64 v[20:21], v[18:19], -v[3:4]
	v_mul_f64 v[18:19], v[1:2], v[18:19]
	;; [unrolled: 2-line block ×3, first 2 shown]
	v_lshl_add_u32 v24, v9, 1, v9
	v_ashrrev_i32_e32 v25, 31, v24
	v_fma_f64 v[5:6], v[1:2], v[10:11], v[5:6]
	v_fma_f64 v[7:8], v[3:4], v[10:11], v[7:8]
	v_fma_f64 v[9:10], v[1:2], v[12:13], v[20:21]
	v_fma_f64 v[11:12], v[3:4], v[12:13], v[18:19]
	v_fma_f64 v[0:1], v[1:2], v[14:15], v[22:23]
	v_fma_f64 v[2:3], v[3:4], v[14:15], v[16:17]
	v_lshlrev_b64 v[13:14], 4, v[24:25]
                                        ; implicit-def: $vgpr20_vgpr21
                                        ; implicit-def: $vgpr18_vgpr19
                                        ; implicit-def: $vgpr16_vgpr17
	s_waitcnt lgkmcnt(0)
	v_add_co_u32 v13, vcc_lo, s2, v13
	v_add_co_ci_u32_e64 v14, null, s3, v14, vcc_lo
	global_store_dwordx4 v[13:14], v[5:8], off
	global_store_dwordx4 v[13:14], v[9:12], off offset:16
	global_store_dwordx4 v[13:14], v[0:3], off offset:32
                                        ; implicit-def: $vgpr9
                                        ; implicit-def: $vgpr10_vgpr11
                                        ; implicit-def: $vgpr12_vgpr13
                                        ; implicit-def: $vgpr14_vgpr15
                                        ; implicit-def: $vgpr7_vgpr8
                                        ; implicit-def: $vgpr3_vgpr4
.LBB127_19:
	s_andn2_saveexec_b32 s0, s0
	s_cbranch_execz .LBB127_21
; %bb.20:
	v_lshl_add_u32 v22, v9, 1, v9
	v_mul_f64 v[36:37], v[20:21], -v[3:4]
	v_mul_f64 v[20:21], v[1:2], v[20:21]
	v_mul_f64 v[38:39], v[18:19], -v[3:4]
	v_mul_f64 v[18:19], v[1:2], v[18:19]
	v_ashrrev_i32_e32 v23, 31, v22
	v_mul_f64 v[40:41], v[16:17], -v[3:4]
	v_mul_f64 v[16:17], v[1:2], v[16:17]
	v_lshlrev_b64 v[22:23], 4, v[22:23]
	s_waitcnt lgkmcnt(0)
	v_add_co_u32 v34, vcc_lo, s2, v22
	v_add_co_ci_u32_e64 v35, null, s3, v23, vcc_lo
	s_clause 0x2
	global_load_dwordx4 v[22:25], v[34:35], off
	global_load_dwordx4 v[26:29], v[34:35], off offset:16
	global_load_dwordx4 v[30:33], v[34:35], off offset:32
	v_fma_f64 v[36:37], v[1:2], v[10:11], v[36:37]
	v_fma_f64 v[9:10], v[3:4], v[10:11], v[20:21]
	;; [unrolled: 1-line block ×6, first 2 shown]
	s_waitcnt vmcnt(2)
	v_fma_f64 v[13:14], v[5:6], v[22:23], v[36:37]
	v_fma_f64 v[9:10], v[7:8], v[22:23], v[9:10]
	s_waitcnt vmcnt(1)
	v_fma_f64 v[15:16], v[5:6], v[26:27], v[20:21]
	v_fma_f64 v[11:12], v[7:8], v[26:27], v[11:12]
	;; [unrolled: 3-line block ×3, first 2 shown]
	v_fma_f64 v[0:1], -v[7:8], v[24:25], v[13:14]
	v_fma_f64 v[2:3], v[5:6], v[24:25], v[9:10]
	v_fma_f64 v[9:10], -v[7:8], v[28:29], v[15:16]
	v_fma_f64 v[11:12], v[5:6], v[28:29], v[11:12]
	;; [unrolled: 2-line block ×3, first 2 shown]
	global_store_dwordx4 v[34:35], v[0:3], off
	global_store_dwordx4 v[34:35], v[9:12], off offset:16
	global_store_dwordx4 v[34:35], v[13:16], off offset:32
.LBB127_21:
	s_endpgm
	.section	.rodata,"a",@progbits
	.p2align	6, 0x0
	.amdhsa_kernel _ZN9rocsparseL19gebsrmvn_3xn_kernelILj128ELj5ELj8E21rocsparse_complex_numIdEEEvi20rocsparse_direction_NS_24const_host_device_scalarIT2_EEPKiS8_PKS5_SA_S6_PS5_21rocsparse_index_base_b
		.amdhsa_group_segment_fixed_size 0
		.amdhsa_private_segment_fixed_size 0
		.amdhsa_kernarg_size 88
		.amdhsa_user_sgpr_count 6
		.amdhsa_user_sgpr_private_segment_buffer 1
		.amdhsa_user_sgpr_dispatch_ptr 0
		.amdhsa_user_sgpr_queue_ptr 0
		.amdhsa_user_sgpr_kernarg_segment_ptr 1
		.amdhsa_user_sgpr_dispatch_id 0
		.amdhsa_user_sgpr_flat_scratch_init 0
		.amdhsa_user_sgpr_private_segment_size 0
		.amdhsa_wavefront_size32 1
		.amdhsa_uses_dynamic_stack 0
		.amdhsa_system_sgpr_private_segment_wavefront_offset 0
		.amdhsa_system_sgpr_workgroup_id_x 1
		.amdhsa_system_sgpr_workgroup_id_y 0
		.amdhsa_system_sgpr_workgroup_id_z 0
		.amdhsa_system_sgpr_workgroup_info 0
		.amdhsa_system_vgpr_workitem_id 0
		.amdhsa_next_free_vgpr 104
		.amdhsa_next_free_sgpr 16
		.amdhsa_reserve_vcc 1
		.amdhsa_reserve_flat_scratch 0
		.amdhsa_float_round_mode_32 0
		.amdhsa_float_round_mode_16_64 0
		.amdhsa_float_denorm_mode_32 3
		.amdhsa_float_denorm_mode_16_64 3
		.amdhsa_dx10_clamp 1
		.amdhsa_ieee_mode 1
		.amdhsa_fp16_overflow 0
		.amdhsa_workgroup_processor_mode 1
		.amdhsa_memory_ordered 1
		.amdhsa_forward_progress 1
		.amdhsa_shared_vgpr_count 0
		.amdhsa_exception_fp_ieee_invalid_op 0
		.amdhsa_exception_fp_denorm_src 0
		.amdhsa_exception_fp_ieee_div_zero 0
		.amdhsa_exception_fp_ieee_overflow 0
		.amdhsa_exception_fp_ieee_underflow 0
		.amdhsa_exception_fp_ieee_inexact 0
		.amdhsa_exception_int_div_zero 0
	.end_amdhsa_kernel
	.section	.text._ZN9rocsparseL19gebsrmvn_3xn_kernelILj128ELj5ELj8E21rocsparse_complex_numIdEEEvi20rocsparse_direction_NS_24const_host_device_scalarIT2_EEPKiS8_PKS5_SA_S6_PS5_21rocsparse_index_base_b,"axG",@progbits,_ZN9rocsparseL19gebsrmvn_3xn_kernelILj128ELj5ELj8E21rocsparse_complex_numIdEEEvi20rocsparse_direction_NS_24const_host_device_scalarIT2_EEPKiS8_PKS5_SA_S6_PS5_21rocsparse_index_base_b,comdat
.Lfunc_end127:
	.size	_ZN9rocsparseL19gebsrmvn_3xn_kernelILj128ELj5ELj8E21rocsparse_complex_numIdEEEvi20rocsparse_direction_NS_24const_host_device_scalarIT2_EEPKiS8_PKS5_SA_S6_PS5_21rocsparse_index_base_b, .Lfunc_end127-_ZN9rocsparseL19gebsrmvn_3xn_kernelILj128ELj5ELj8E21rocsparse_complex_numIdEEEvi20rocsparse_direction_NS_24const_host_device_scalarIT2_EEPKiS8_PKS5_SA_S6_PS5_21rocsparse_index_base_b
                                        ; -- End function
	.set _ZN9rocsparseL19gebsrmvn_3xn_kernelILj128ELj5ELj8E21rocsparse_complex_numIdEEEvi20rocsparse_direction_NS_24const_host_device_scalarIT2_EEPKiS8_PKS5_SA_S6_PS5_21rocsparse_index_base_b.num_vgpr, 104
	.set _ZN9rocsparseL19gebsrmvn_3xn_kernelILj128ELj5ELj8E21rocsparse_complex_numIdEEEvi20rocsparse_direction_NS_24const_host_device_scalarIT2_EEPKiS8_PKS5_SA_S6_PS5_21rocsparse_index_base_b.num_agpr, 0
	.set _ZN9rocsparseL19gebsrmvn_3xn_kernelILj128ELj5ELj8E21rocsparse_complex_numIdEEEvi20rocsparse_direction_NS_24const_host_device_scalarIT2_EEPKiS8_PKS5_SA_S6_PS5_21rocsparse_index_base_b.numbered_sgpr, 16
	.set _ZN9rocsparseL19gebsrmvn_3xn_kernelILj128ELj5ELj8E21rocsparse_complex_numIdEEEvi20rocsparse_direction_NS_24const_host_device_scalarIT2_EEPKiS8_PKS5_SA_S6_PS5_21rocsparse_index_base_b.num_named_barrier, 0
	.set _ZN9rocsparseL19gebsrmvn_3xn_kernelILj128ELj5ELj8E21rocsparse_complex_numIdEEEvi20rocsparse_direction_NS_24const_host_device_scalarIT2_EEPKiS8_PKS5_SA_S6_PS5_21rocsparse_index_base_b.private_seg_size, 0
	.set _ZN9rocsparseL19gebsrmvn_3xn_kernelILj128ELj5ELj8E21rocsparse_complex_numIdEEEvi20rocsparse_direction_NS_24const_host_device_scalarIT2_EEPKiS8_PKS5_SA_S6_PS5_21rocsparse_index_base_b.uses_vcc, 1
	.set _ZN9rocsparseL19gebsrmvn_3xn_kernelILj128ELj5ELj8E21rocsparse_complex_numIdEEEvi20rocsparse_direction_NS_24const_host_device_scalarIT2_EEPKiS8_PKS5_SA_S6_PS5_21rocsparse_index_base_b.uses_flat_scratch, 0
	.set _ZN9rocsparseL19gebsrmvn_3xn_kernelILj128ELj5ELj8E21rocsparse_complex_numIdEEEvi20rocsparse_direction_NS_24const_host_device_scalarIT2_EEPKiS8_PKS5_SA_S6_PS5_21rocsparse_index_base_b.has_dyn_sized_stack, 0
	.set _ZN9rocsparseL19gebsrmvn_3xn_kernelILj128ELj5ELj8E21rocsparse_complex_numIdEEEvi20rocsparse_direction_NS_24const_host_device_scalarIT2_EEPKiS8_PKS5_SA_S6_PS5_21rocsparse_index_base_b.has_recursion, 0
	.set _ZN9rocsparseL19gebsrmvn_3xn_kernelILj128ELj5ELj8E21rocsparse_complex_numIdEEEvi20rocsparse_direction_NS_24const_host_device_scalarIT2_EEPKiS8_PKS5_SA_S6_PS5_21rocsparse_index_base_b.has_indirect_call, 0
	.section	.AMDGPU.csdata,"",@progbits
; Kernel info:
; codeLenInByte = 4316
; TotalNumSgprs: 18
; NumVgprs: 104
; ScratchSize: 0
; MemoryBound: 0
; FloatMode: 240
; IeeeMode: 1
; LDSByteSize: 0 bytes/workgroup (compile time only)
; SGPRBlocks: 0
; VGPRBlocks: 12
; NumSGPRsForWavesPerEU: 18
; NumVGPRsForWavesPerEU: 104
; Occupancy: 9
; WaveLimiterHint : 1
; COMPUTE_PGM_RSRC2:SCRATCH_EN: 0
; COMPUTE_PGM_RSRC2:USER_SGPR: 6
; COMPUTE_PGM_RSRC2:TRAP_HANDLER: 0
; COMPUTE_PGM_RSRC2:TGID_X_EN: 1
; COMPUTE_PGM_RSRC2:TGID_Y_EN: 0
; COMPUTE_PGM_RSRC2:TGID_Z_EN: 0
; COMPUTE_PGM_RSRC2:TIDIG_COMP_CNT: 0
	.section	.text._ZN9rocsparseL19gebsrmvn_3xn_kernelILj128ELj5ELj16E21rocsparse_complex_numIdEEEvi20rocsparse_direction_NS_24const_host_device_scalarIT2_EEPKiS8_PKS5_SA_S6_PS5_21rocsparse_index_base_b,"axG",@progbits,_ZN9rocsparseL19gebsrmvn_3xn_kernelILj128ELj5ELj16E21rocsparse_complex_numIdEEEvi20rocsparse_direction_NS_24const_host_device_scalarIT2_EEPKiS8_PKS5_SA_S6_PS5_21rocsparse_index_base_b,comdat
	.globl	_ZN9rocsparseL19gebsrmvn_3xn_kernelILj128ELj5ELj16E21rocsparse_complex_numIdEEEvi20rocsparse_direction_NS_24const_host_device_scalarIT2_EEPKiS8_PKS5_SA_S6_PS5_21rocsparse_index_base_b ; -- Begin function _ZN9rocsparseL19gebsrmvn_3xn_kernelILj128ELj5ELj16E21rocsparse_complex_numIdEEEvi20rocsparse_direction_NS_24const_host_device_scalarIT2_EEPKiS8_PKS5_SA_S6_PS5_21rocsparse_index_base_b
	.p2align	8
	.type	_ZN9rocsparseL19gebsrmvn_3xn_kernelILj128ELj5ELj16E21rocsparse_complex_numIdEEEvi20rocsparse_direction_NS_24const_host_device_scalarIT2_EEPKiS8_PKS5_SA_S6_PS5_21rocsparse_index_base_b,@function
_ZN9rocsparseL19gebsrmvn_3xn_kernelILj128ELj5ELj16E21rocsparse_complex_numIdEEEvi20rocsparse_direction_NS_24const_host_device_scalarIT2_EEPKiS8_PKS5_SA_S6_PS5_21rocsparse_index_base_b: ; @_ZN9rocsparseL19gebsrmvn_3xn_kernelILj128ELj5ELj16E21rocsparse_complex_numIdEEEvi20rocsparse_direction_NS_24const_host_device_scalarIT2_EEPKiS8_PKS5_SA_S6_PS5_21rocsparse_index_base_b
; %bb.0:
	s_clause 0x1
	s_load_dwordx2 s[2:3], s[4:5], 0x50
	s_load_dwordx2 s[0:1], s[4:5], 0x8
	s_add_u32 s7, s4, 8
	s_addc_u32 s10, s5, 0
	s_add_u32 s11, s4, 56
	s_addc_u32 s12, s5, 0
	s_load_dwordx2 s[8:9], s[4:5], 0x38
	s_waitcnt lgkmcnt(0)
	s_bitcmp1_b32 s3, 0
	s_cselect_b32 s0, s7, s0
	s_cselect_b32 s1, s10, s1
	v_mov_b32_e32 v1, s0
	v_mov_b32_e32 v2, s1
	s_cselect_b32 s0, s11, s8
	s_cselect_b32 s1, s12, s9
	v_mov_b32_e32 v5, s0
	v_mov_b32_e32 v6, s1
	flat_load_dwordx4 v[1:4], v[1:2]
	flat_load_dwordx4 v[5:8], v[5:6]
	s_waitcnt vmcnt(1) lgkmcnt(1)
	v_cmp_eq_f64_e32 vcc_lo, 0, v[1:2]
	v_cmp_eq_f64_e64 s0, 0, v[3:4]
	s_and_b32 s3, vcc_lo, s0
	s_mov_b32 s0, -1
	s_and_saveexec_b32 s1, s3
	s_cbranch_execz .LBB128_2
; %bb.1:
	s_waitcnt vmcnt(0) lgkmcnt(0)
	v_cmp_neq_f64_e32 vcc_lo, 1.0, v[5:6]
	v_cmp_neq_f64_e64 s0, 0, v[7:8]
	s_or_b32 s0, vcc_lo, s0
	s_orn2_b32 s0, s0, exec_lo
.LBB128_2:
	s_or_b32 exec_lo, exec_lo, s1
	s_and_saveexec_b32 s1, s0
	s_cbranch_execz .LBB128_21
; %bb.3:
	s_load_dwordx2 s[0:1], s[4:5], 0x0
	v_lshrrev_b32_e32 v9, 4, v0
	v_lshl_or_b32 v9, s6, 3, v9
	s_waitcnt lgkmcnt(0)
	v_cmp_gt_i32_e32 vcc_lo, s0, v9
	s_and_b32 exec_lo, exec_lo, vcc_lo
	s_cbranch_execz .LBB128_21
; %bb.4:
	s_load_dwordx8 s[8:15], s[4:5], 0x18
	v_ashrrev_i32_e32 v10, 31, v9
	v_and_b32_e32 v0, 15, v0
	s_cmp_lg_u32 s1, 0
	v_lshlrev_b64 v[10:11], 2, v[9:10]
	s_waitcnt lgkmcnt(0)
	v_add_co_u32 v10, vcc_lo, s8, v10
	v_add_co_ci_u32_e64 v11, null, s9, v11, vcc_lo
	global_load_dwordx2 v[10:11], v[10:11], off
	s_waitcnt vmcnt(0)
	v_subrev_nc_u32_e32 v10, s2, v10
	v_subrev_nc_u32_e32 v30, s2, v11
	v_add_nc_u32_e32 v10, v10, v0
	v_cmp_lt_i32_e64 s0, v10, v30
	s_cbranch_scc0 .LBB128_10
; %bb.5:
	v_mov_b32_e32 v16, 0
	v_mov_b32_e32 v22, 0
	;; [unrolled: 1-line block ×12, first 2 shown]
	s_and_saveexec_b32 s1, s0
	s_cbranch_execz .LBB128_9
; %bb.6:
	v_mad_u64_u32 v[24:25], null, v10, 15, 14
	v_mov_b32_e32 v16, 0
	v_mov_b32_e32 v22, 0
	;; [unrolled: 1-line block ×14, first 2 shown]
	s_mov_b32 s3, 0
.LBB128_7:                              ; =>This Inner Loop Header: Depth=1
	v_ashrrev_i32_e32 v29, 31, v28
	v_mov_b32_e32 v92, v27
	v_lshlrev_b64 v[25:26], 2, v[28:29]
	v_add_nc_u32_e32 v28, 16, v28
	v_add_co_u32 v25, vcc_lo, s10, v25
	v_add_co_ci_u32_e64 v26, null, s11, v26, vcc_lo
	global_load_dword v11, v[25:26], off
	v_add_nc_u32_e32 v26, -14, v24
	v_mov_b32_e32 v25, v27
	v_lshlrev_b64 v[31:32], 4, v[26:27]
	v_add_nc_u32_e32 v26, -13, v24
	v_lshlrev_b64 v[33:34], 4, v[24:25]
	v_lshlrev_b64 v[35:36], 4, v[26:27]
	v_add_nc_u32_e32 v26, -12, v24
	v_add_co_u32 v31, vcc_lo, s12, v31
	v_add_co_ci_u32_e64 v32, null, s13, v32, vcc_lo
	v_lshlrev_b64 v[39:40], 4, v[26:27]
	v_add_co_u32 v37, vcc_lo, s12, v33
	v_add_co_ci_u32_e64 v38, null, s13, v34, vcc_lo
	v_add_co_u32 v41, vcc_lo, s12, v35
	v_add_co_ci_u32_e64 v42, null, s13, v36, vcc_lo
	;; [unrolled: 2-line block ×3, first 2 shown]
	s_clause 0x3
	global_load_dwordx4 v[31:34], v[31:32], off
	global_load_dwordx4 v[35:38], v[37:38], off
	;; [unrolled: 1-line block ×4, first 2 shown]
	v_add_nc_u32_e32 v26, -11, v24
	v_lshlrev_b64 v[25:26], 4, v[26:27]
	s_waitcnt vmcnt(4)
	v_subrev_nc_u32_e32 v11, s2, v11
	v_lshl_add_u32 v91, v11, 2, v11
	v_lshlrev_b64 v[47:48], 4, v[91:92]
	v_add_co_u32 v47, vcc_lo, s14, v47
	v_add_co_ci_u32_e64 v48, null, s15, v48, vcc_lo
	v_add_co_u32 v25, vcc_lo, s12, v25
	v_add_co_ci_u32_e64 v26, null, s13, v26, vcc_lo
	global_load_dwordx4 v[47:50], v[47:48], off
	global_load_dwordx4 v[51:54], v[25:26], off
	v_add_nc_u32_e32 v26, 1, v91
	v_lshlrev_b64 v[55:56], 4, v[26:27]
	v_add_nc_u32_e32 v26, -10, v24
	v_lshlrev_b64 v[59:60], 4, v[26:27]
	v_add_nc_u32_e32 v26, -9, v24
	v_add_co_u32 v55, vcc_lo, s14, v55
	v_add_co_ci_u32_e64 v56, null, s15, v56, vcc_lo
	v_lshlrev_b64 v[61:62], 4, v[26:27]
	v_add_co_u32 v59, vcc_lo, s12, v59
	v_add_co_ci_u32_e64 v60, null, s13, v60, vcc_lo
	global_load_dwordx4 v[55:58], v[55:56], off
	v_add_co_u32 v63, vcc_lo, s12, v61
	v_add_co_ci_u32_e64 v64, null, s13, v62, vcc_lo
	s_clause 0x1
	global_load_dwordx4 v[59:62], v[59:60], off
	global_load_dwordx4 v[63:66], v[63:64], off
	v_add_nc_u32_e32 v26, -8, v24
	v_lshlrev_b64 v[67:68], 4, v[26:27]
	v_add_nc_u32_e32 v26, 2, v91
	v_lshlrev_b64 v[71:72], 4, v[26:27]
	v_add_nc_u32_e32 v26, -7, v24
	v_add_co_u32 v67, vcc_lo, s12, v67
	v_add_co_ci_u32_e64 v68, null, s13, v68, vcc_lo
	v_lshlrev_b64 v[73:74], 4, v[26:27]
	v_add_nc_u32_e32 v26, -6, v24
	v_add_co_u32 v71, vcc_lo, s14, v71
	v_add_co_ci_u32_e64 v72, null, s15, v72, vcc_lo
	;; [unrolled: 4-line block ×3, first 2 shown]
	v_lshlrev_b64 v[79:80], 4, v[26:27]
	v_add_co_u32 v81, vcc_lo, s12, v75
	v_add_co_ci_u32_e64 v82, null, s13, v76, vcc_lo
	global_load_dwordx4 v[67:70], v[67:68], off
	v_add_co_u32 v85, vcc_lo, s12, v79
	global_load_dwordx4 v[71:74], v[71:72], off
	global_load_dwordx4 v[75:78], v[77:78], off
	v_add_co_ci_u32_e64 v86, null, s13, v80, vcc_lo
	global_load_dwordx4 v[79:82], v[81:82], off
	v_add_nc_u32_e32 v26, 3, v91
	v_lshlrev_b64 v[83:84], 4, v[26:27]
	v_add_nc_u32_e32 v26, -4, v24
	v_lshlrev_b64 v[87:88], 4, v[26:27]
	v_add_nc_u32_e32 v26, -3, v24
	v_add_co_u32 v89, vcc_lo, s14, v83
	v_add_co_ci_u32_e64 v90, null, s15, v84, vcc_lo
	v_lshlrev_b64 v[92:93], 4, v[26:27]
	v_add_nc_u32_e32 v26, -2, v24
	v_add_co_u32 v94, vcc_lo, s12, v87
	v_add_co_ci_u32_e64 v95, null, s13, v88, vcc_lo
	v_lshlrev_b64 v[96:97], 4, v[26:27]
	v_add_co_u32 v98, vcc_lo, s12, v92
	v_add_co_ci_u32_e64 v99, null, s13, v93, vcc_lo
	global_load_dwordx4 v[83:86], v[85:86], off
	v_add_co_u32 v102, vcc_lo, s12, v96
	v_add_co_ci_u32_e64 v103, null, s13, v97, vcc_lo
	global_load_dwordx4 v[87:90], v[89:90], off
	v_add_nc_u32_e32 v26, 4, v91
	global_load_dwordx4 v[91:94], v[94:95], off
	v_lshlrev_b64 v[100:101], 4, v[26:27]
	v_add_nc_u32_e32 v26, -1, v24
	v_add_nc_u32_e32 v24, 0xf0, v24
	v_lshlrev_b64 v[25:26], 4, v[26:27]
	s_waitcnt vmcnt(11)
	v_fma_f64 v[22:23], v[31:32], v[47:48], v[22:23]
	v_fma_f64 v[16:17], v[33:34], v[47:48], v[16:17]
	;; [unrolled: 1-line block ×6, first 2 shown]
	v_fma_f64 v[22:23], -v[33:34], v[49:50], v[22:23]
	v_fma_f64 v[16:17], v[31:32], v[49:50], v[16:17]
	s_clause 0x1
	global_load_dwordx4 v[31:34], v[102:103], off
	global_load_dwordx4 v[95:98], v[98:99], off
	v_add_co_u32 v99, vcc_lo, s14, v100
	v_add_co_ci_u32_e64 v100, null, s15, v101, vcc_lo
	v_add_co_u32 v25, vcc_lo, s12, v25
	v_add_co_ci_u32_e64 v26, null, s13, v26, vcc_lo
	v_fma_f64 v[18:19], -v[41:42], v[49:50], v[18:19]
	v_fma_f64 v[20:21], v[39:40], v[49:50], v[20:21]
	global_load_dwordx4 v[39:42], v[99:100], off
	global_load_dwordx4 v[99:102], v[25:26], off
	v_fma_f64 v[11:12], -v[45:46], v[49:50], v[11:12]
	v_fma_f64 v[13:14], v[43:44], v[49:50], v[13:14]
	v_cmp_ge_i32_e32 vcc_lo, v28, v30
	s_or_b32 s3, vcc_lo, s3
	s_waitcnt vmcnt(13)
	v_fma_f64 v[22:23], v[51:52], v[55:56], v[22:23]
	v_fma_f64 v[15:16], v[53:54], v[55:56], v[16:17]
	s_waitcnt vmcnt(12)
	v_fma_f64 v[17:18], v[59:60], v[55:56], v[18:19]
	v_fma_f64 v[19:20], v[61:62], v[55:56], v[20:21]
	;; [unrolled: 3-line block ×3, first 2 shown]
	v_fma_f64 v[21:22], -v[53:54], v[57:58], v[22:23]
	v_fma_f64 v[15:16], v[51:52], v[57:58], v[15:16]
	v_fma_f64 v[17:18], -v[61:62], v[57:58], v[17:18]
	v_fma_f64 v[19:20], v[59:60], v[57:58], v[19:20]
	;; [unrolled: 2-line block ×3, first 2 shown]
	s_waitcnt vmcnt(9)
	v_fma_f64 v[21:22], v[67:68], v[71:72], v[21:22]
	v_fma_f64 v[15:16], v[69:70], v[71:72], v[15:16]
	s_waitcnt vmcnt(8)
	v_fma_f64 v[17:18], v[75:76], v[71:72], v[17:18]
	v_fma_f64 v[19:20], v[77:78], v[71:72], v[19:20]
	;; [unrolled: 3-line block ×3, first 2 shown]
	v_fma_f64 v[21:22], -v[69:70], v[73:74], v[21:22]
	v_fma_f64 v[15:16], v[67:68], v[73:74], v[15:16]
	v_fma_f64 v[17:18], -v[77:78], v[73:74], v[17:18]
	v_fma_f64 v[19:20], v[75:76], v[73:74], v[19:20]
	;; [unrolled: 2-line block ×3, first 2 shown]
	s_waitcnt vmcnt(5)
	v_fma_f64 v[21:22], v[83:84], v[87:88], v[21:22]
	v_fma_f64 v[15:16], v[85:86], v[87:88], v[15:16]
	s_waitcnt vmcnt(4)
	v_fma_f64 v[17:18], v[91:92], v[87:88], v[17:18]
	v_fma_f64 v[19:20], v[93:94], v[87:88], v[19:20]
	v_fma_f64 v[21:22], -v[85:86], v[89:90], v[21:22]
	v_fma_f64 v[15:16], v[83:84], v[89:90], v[15:16]
	v_fma_f64 v[17:18], -v[93:94], v[89:90], v[17:18]
	v_fma_f64 v[19:20], v[91:92], v[89:90], v[19:20]
	s_waitcnt vmcnt(2)
	v_fma_f64 v[11:12], v[95:96], v[87:88], v[11:12]
	v_fma_f64 v[13:14], v[97:98], v[87:88], v[13:14]
	s_waitcnt vmcnt(1)
	v_fma_f64 v[21:22], v[31:32], v[39:40], v[21:22]
	;; [unrolled: 3-line block ×3, first 2 shown]
	v_fma_f64 v[43:44], v[101:102], v[39:40], v[19:20]
	v_fma_f64 v[11:12], -v[97:98], v[89:90], v[11:12]
	v_fma_f64 v[13:14], v[95:96], v[89:90], v[13:14]
	v_fma_f64 v[22:23], -v[33:34], v[41:42], v[21:22]
	;; [unrolled: 2-line block ×3, first 2 shown]
	v_fma_f64 v[20:21], v[99:100], v[41:42], v[43:44]
	v_fma_f64 v[11:12], v[35:36], v[39:40], v[11:12]
	;; [unrolled: 1-line block ×3, first 2 shown]
	v_fma_f64 v[12:13], -v[37:38], v[41:42], v[11:12]
	v_fma_f64 v[14:15], v[35:36], v[41:42], v[39:40]
	s_andn2_b32 exec_lo, exec_lo, s3
	s_cbranch_execnz .LBB128_7
; %bb.8:
	s_or_b32 exec_lo, exec_lo, s3
.LBB128_9:
	s_or_b32 exec_lo, exec_lo, s1
	s_cbranch_execz .LBB128_11
	s_branch .LBB128_16
.LBB128_10:
                                        ; implicit-def: $vgpr16_vgpr17
                                        ; implicit-def: $vgpr22_vgpr23
                                        ; implicit-def: $vgpr12_vgpr13
                                        ; implicit-def: $vgpr14_vgpr15
                                        ; implicit-def: $vgpr18_vgpr19
                                        ; implicit-def: $vgpr20_vgpr21
.LBB128_11:
	v_mov_b32_e32 v16, 0
	v_mov_b32_e32 v22, 0
	;; [unrolled: 1-line block ×12, first 2 shown]
	s_and_saveexec_b32 s1, s0
	s_cbranch_execz .LBB128_15
; %bb.12:
	v_mad_u64_u32 v[24:25], null, v10, 15, 14
	v_mov_b32_e32 v16, 0
	v_mov_b32_e32 v22, 0
	;; [unrolled: 1-line block ×13, first 2 shown]
	s_mov_b32 s0, 0
.LBB128_13:                             ; =>This Inner Loop Header: Depth=1
	v_ashrrev_i32_e32 v11, 31, v10
	v_add_nc_u32_e32 v26, -14, v24
	v_add_nc_u32_e32 v28, -9, v24
	v_mov_b32_e32 v29, v27
	v_add_nc_u32_e32 v31, -4, v24
	v_lshlrev_b64 v[35:36], 2, v[10:11]
	v_mov_b32_e32 v32, v27
	v_lshlrev_b64 v[33:34], 4, v[26:27]
	v_mov_b32_e32 v25, v27
	v_lshlrev_b64 v[28:29], 4, v[28:29]
	v_add_nc_u32_e32 v26, -13, v24
	v_add_co_u32 v35, vcc_lo, s10, v35
	v_add_co_ci_u32_e64 v36, null, s11, v36, vcc_lo
	v_lshlrev_b64 v[31:32], 4, v[31:32]
	v_lshlrev_b64 v[37:38], 4, v[24:25]
	v_add_co_u32 v33, vcc_lo, s12, v33
	global_load_dword v11, v[35:36], off
	v_lshlrev_b64 v[25:26], 4, v[26:27]
	v_add_co_ci_u32_e64 v34, null, s13, v34, vcc_lo
	v_add_co_u32 v28, vcc_lo, s12, v28
	v_add_co_ci_u32_e64 v29, null, s13, v29, vcc_lo
	v_add_co_u32 v39, vcc_lo, s12, v31
	v_add_co_ci_u32_e64 v40, null, s13, v32, vcc_lo
	v_add_co_u32 v81, vcc_lo, s12, v37
	v_mov_b32_e32 v80, v27
	v_add_co_ci_u32_e64 v82, null, s13, v38, vcc_lo
	v_add_co_u32 v25, vcc_lo, s12, v25
	v_add_co_ci_u32_e64 v26, null, s13, v26, vcc_lo
	s_clause 0x3
	global_load_dwordx4 v[31:34], v[33:34], off
	global_load_dwordx4 v[35:38], v[28:29], off
	;; [unrolled: 1-line block ×4, first 2 shown]
	v_add_nc_u32_e32 v10, 16, v10
	s_waitcnt vmcnt(4)
	v_subrev_nc_u32_e32 v11, s2, v11
	v_lshl_add_u32 v79, v11, 2, v11
	v_lshlrev_b64 v[28:29], 4, v[79:80]
	v_add_nc_u32_e32 v26, 1, v79
	v_lshlrev_b64 v[51:52], 4, v[26:27]
	v_add_co_u32 v28, vcc_lo, s14, v28
	v_add_co_ci_u32_e64 v29, null, s15, v29, vcc_lo
	v_add_nc_u32_e32 v26, -8, v24
	global_load_dwordx4 v[47:50], v[28:29], off
	v_add_co_u32 v28, vcc_lo, s14, v51
	v_add_co_ci_u32_e64 v29, null, s15, v52, vcc_lo
	v_lshlrev_b64 v[55:56], 4, v[26:27]
	v_add_nc_u32_e32 v26, -3, v24
	global_load_dwordx4 v[51:54], v[28:29], off
	v_add_co_u32 v28, vcc_lo, s12, v55
	v_add_co_ci_u32_e64 v29, null, s13, v56, vcc_lo
	v_lshlrev_b64 v[59:60], 4, v[26:27]
	v_add_nc_u32_e32 v26, -12, v24
	global_load_dwordx4 v[55:58], v[28:29], off
	v_lshlrev_b64 v[61:62], 4, v[26:27]
	v_add_co_u32 v28, vcc_lo, s12, v59
	v_add_co_ci_u32_e64 v29, null, s13, v60, vcc_lo
	v_add_nc_u32_e32 v26, 2, v79
	v_add_co_u32 v65, vcc_lo, s12, v61
	v_add_co_ci_u32_e64 v66, null, s13, v62, vcc_lo
	global_load_dwordx4 v[59:62], v[28:29], off
	v_lshlrev_b64 v[63:64], 4, v[26:27]
	v_add_nc_u32_e32 v26, -7, v24
	v_add_co_u32 v67, vcc_lo, s14, v63
	v_add_co_ci_u32_e64 v68, null, s15, v64, vcc_lo
	global_load_dwordx4 v[63:66], v[65:66], off
	v_lshlrev_b64 v[28:29], 4, v[26:27]
	v_add_nc_u32_e32 v26, -2, v24
	global_load_dwordx4 v[67:70], v[67:68], off
	v_add_co_u32 v28, vcc_lo, s12, v28
	v_lshlrev_b64 v[75:76], 4, v[26:27]
	v_add_nc_u32_e32 v26, -11, v24
	v_add_co_ci_u32_e64 v29, null, s13, v29, vcc_lo
	v_lshlrev_b64 v[77:78], 4, v[26:27]
	global_load_dwordx4 v[71:74], v[28:29], off
	v_add_co_u32 v28, vcc_lo, s12, v75
	v_add_co_ci_u32_e64 v29, null, s13, v76, vcc_lo
	v_add_co_u32 v85, vcc_lo, s12, v77
	v_add_co_ci_u32_e64 v86, null, s13, v78, vcc_lo
	global_load_dwordx4 v[75:78], v[28:29], off
	v_add_nc_u32_e32 v26, 3, v79
	v_lshlrev_b64 v[83:84], 4, v[26:27]
	v_add_nc_u32_e32 v26, -6, v24
	s_waitcnt vmcnt(7)
	v_fma_f64 v[16:17], v[33:34], v[47:48], v[16:17]
	v_fma_f64 v[22:23], v[31:32], v[47:48], v[22:23]
	;; [unrolled: 1-line block ×7, first 2 shown]
	v_lshlrev_b64 v[16:17], 4, v[26:27]
	v_add_nc_u32_e32 v26, -1, v24
	v_fma_f64 v[28:29], -v[33:34], v[49:50], v[22:23]
	v_add_co_u32 v22, vcc_lo, s14, v83
	v_add_co_ci_u32_e64 v23, null, s15, v84, vcc_lo
	v_fma_f64 v[83:84], -v[37:38], v[49:50], v[18:19]
	v_lshlrev_b64 v[18:19], 4, v[26:27]
	v_add_nc_u32_e32 v26, -10, v24
	global_load_dwordx4 v[31:34], v[85:86], off
	v_fma_f64 v[85:86], v[35:36], v[49:50], v[20:21]
	v_add_co_u32 v20, vcc_lo, s12, v16
	v_lshlrev_b64 v[35:36], 4, v[26:27]
	v_add_nc_u32_e32 v26, 4, v79
	v_fma_f64 v[89:90], v[39:40], v[49:50], v[13:14]
	v_add_co_ci_u32_e64 v21, null, s13, v17, vcc_lo
	v_add_co_u32 v37, vcc_lo, s12, v18
	v_lshlrev_b64 v[39:40], 4, v[26:27]
	v_add_co_ci_u32_e64 v38, null, s13, v19, vcc_lo
	v_add_co_u32 v35, vcc_lo, s12, v35
	v_add_co_ci_u32_e64 v36, null, s13, v36, vcc_lo
	v_add_co_u32 v39, vcc_lo, s14, v39
	v_add_co_ci_u32_e64 v40, null, s15, v40, vcc_lo
	global_load_dwordx4 v[16:19], v[22:23], off
	v_fma_f64 v[79:80], -v[41:42], v[49:50], v[11:12]
	global_load_dwordx4 v[11:14], v[20:21], off
	s_waitcnt vmcnt(9)
	v_fma_f64 v[28:29], v[43:44], v[51:52], v[28:29]
	global_load_dwordx4 v[39:42], v[39:40], off
	global_load_dwordx4 v[20:23], v[37:38], off
	v_fma_f64 v[37:38], v[45:46], v[51:52], v[87:88]
	v_add_nc_u32_e32 v26, -5, v24
	v_add_nc_u32_e32 v24, 0xf0, v24
	v_lshlrev_b64 v[25:26], 4, v[26:27]
	v_add_co_u32 v25, vcc_lo, s12, v25
	v_add_co_ci_u32_e64 v26, null, s13, v26, vcc_lo
	v_cmp_ge_i32_e32 vcc_lo, v10, v30
	v_fma_f64 v[28:29], -v[45:46], v[53:54], v[28:29]
	s_waitcnt vmcnt(10)
	v_fma_f64 v[45:46], v[57:58], v[51:52], v[85:86]
	s_or_b32 s0, vcc_lo, s0
	v_fma_f64 v[87:88], v[43:44], v[53:54], v[37:38]
	v_fma_f64 v[43:44], v[55:56], v[51:52], v[83:84]
	global_load_dwordx4 v[35:38], v[35:36], off
	s_waitcnt vmcnt(8)
	v_fma_f64 v[28:29], v[63:64], v[67:68], v[28:29]
	v_fma_f64 v[55:56], v[55:56], v[53:54], v[45:46]
	v_fma_f64 v[57:58], -v[57:58], v[53:54], v[43:44]
	s_clause 0x1
	global_load_dwordx4 v[43:46], v[25:26], off
	global_load_dwordx4 v[47:50], v[81:82], off
	v_fma_f64 v[25:26], v[59:60], v[51:52], v[79:80]
	v_fma_f64 v[51:52], v[61:62], v[51:52], v[89:90]
	v_fma_f64 v[28:29], -v[65:66], v[69:70], v[28:29]
	s_waitcnt vmcnt(9)
	v_fma_f64 v[55:56], v[73:74], v[67:68], v[55:56]
	v_fma_f64 v[57:58], v[71:72], v[67:68], v[57:58]
	v_fma_f64 v[25:26], -v[61:62], v[53:54], v[25:26]
	v_fma_f64 v[51:52], v[59:60], v[53:54], v[51:52]
	v_fma_f64 v[53:54], v[65:66], v[67:68], v[87:88]
	;; [unrolled: 1-line block ×3, first 2 shown]
	v_fma_f64 v[57:58], -v[73:74], v[69:70], v[57:58]
	s_waitcnt vmcnt(8)
	v_fma_f64 v[25:26], v[75:76], v[67:68], v[25:26]
	v_fma_f64 v[51:52], v[77:78], v[67:68], v[51:52]
	;; [unrolled: 1-line block ×3, first 2 shown]
	v_fma_f64 v[25:26], -v[77:78], v[69:70], v[25:26]
	v_fma_f64 v[51:52], v[75:76], v[69:70], v[51:52]
	s_waitcnt vmcnt(6)
	v_fma_f64 v[28:29], v[31:32], v[16:17], v[28:29]
	v_fma_f64 v[53:54], v[33:34], v[16:17], v[53:54]
	s_waitcnt vmcnt(5)
	v_fma_f64 v[57:58], v[11:12], v[16:17], v[57:58]
	;; [unrolled: 3-line block ×3, first 2 shown]
	v_fma_f64 v[15:16], v[22:23], v[16:17], v[51:52]
	v_fma_f64 v[28:29], -v[33:34], v[18:19], v[28:29]
	v_fma_f64 v[31:32], v[31:32], v[18:19], v[53:54]
	v_fma_f64 v[13:14], -v[13:14], v[18:19], v[57:58]
	;; [unrolled: 2-line block ×3, first 2 shown]
	v_fma_f64 v[15:16], v[20:21], v[18:19], v[15:16]
	s_waitcnt vmcnt(2)
	v_fma_f64 v[17:18], v[35:36], v[39:40], v[28:29]
	v_fma_f64 v[19:20], v[37:38], v[39:40], v[31:32]
	s_waitcnt vmcnt(1)
	v_fma_f64 v[13:14], v[43:44], v[39:40], v[13:14]
	;; [unrolled: 3-line block ×3, first 2 shown]
	v_fma_f64 v[28:29], v[49:50], v[39:40], v[15:16]
	v_fma_f64 v[22:23], -v[37:38], v[41:42], v[17:18]
	v_fma_f64 v[16:17], v[35:36], v[41:42], v[19:20]
	v_fma_f64 v[18:19], -v[45:46], v[41:42], v[13:14]
	;; [unrolled: 2-line block ×3, first 2 shown]
	v_fma_f64 v[14:15], v[47:48], v[41:42], v[28:29]
	s_andn2_b32 exec_lo, exec_lo, s0
	s_cbranch_execnz .LBB128_13
; %bb.14:
	s_or_b32 exec_lo, exec_lo, s0
.LBB128_15:
	s_or_b32 exec_lo, exec_lo, s1
.LBB128_16:
	v_mbcnt_lo_u32_b32 v36, -1, 0
	v_xor_b32_e32 v10, 8, v36
	v_xor_b32_e32 v34, 2, v36
	v_cmp_gt_i32_e32 vcc_lo, 32, v10
	v_cndmask_b32_e32 v10, v36, v10, vcc_lo
	v_lshlrev_b32_e32 v33, 2, v10
	ds_bpermute_b32 v10, v33, v22
	ds_bpermute_b32 v11, v33, v23
	ds_bpermute_b32 v24, v33, v16
	ds_bpermute_b32 v25, v33, v17
	ds_bpermute_b32 v26, v33, v18
	ds_bpermute_b32 v27, v33, v19
	ds_bpermute_b32 v28, v33, v20
	ds_bpermute_b32 v29, v33, v21
	ds_bpermute_b32 v30, v33, v12
	ds_bpermute_b32 v31, v33, v13
	ds_bpermute_b32 v32, v33, v14
	ds_bpermute_b32 v33, v33, v15
	s_waitcnt lgkmcnt(10)
	v_add_f64 v[10:11], v[22:23], v[10:11]
	v_xor_b32_e32 v22, 4, v36
	s_waitcnt lgkmcnt(8)
	v_add_f64 v[16:17], v[16:17], v[24:25]
	s_waitcnt lgkmcnt(6)
	v_add_f64 v[18:19], v[18:19], v[26:27]
	;; [unrolled: 2-line block ×3, first 2 shown]
	v_cmp_gt_i32_e32 vcc_lo, 32, v22
	s_waitcnt lgkmcnt(2)
	v_add_f64 v[12:13], v[12:13], v[30:31]
	s_waitcnt lgkmcnt(0)
	v_add_f64 v[14:15], v[14:15], v[32:33]
	v_cndmask_b32_e32 v22, v36, v22, vcc_lo
	v_cmp_gt_i32_e32 vcc_lo, 32, v34
	v_lshlrev_b32_e32 v33, 2, v22
	ds_bpermute_b32 v22, v33, v10
	ds_bpermute_b32 v23, v33, v11
	;; [unrolled: 1-line block ×12, first 2 shown]
	s_waitcnt lgkmcnt(10)
	v_add_f64 v[10:11], v[10:11], v[22:23]
	s_waitcnt lgkmcnt(8)
	v_add_f64 v[16:17], v[16:17], v[24:25]
	;; [unrolled: 2-line block ×5, first 2 shown]
	v_cndmask_b32_e32 v12, v36, v34, vcc_lo
	s_waitcnt lgkmcnt(0)
	v_add_f64 v[26:27], v[14:15], v[32:33]
	v_lshlrev_b32_e32 v20, 2, v12
	ds_bpermute_b32 v12, v20, v10
	ds_bpermute_b32 v13, v20, v11
	;; [unrolled: 1-line block ×12, first 2 shown]
	s_waitcnt lgkmcnt(10)
	v_add_f64 v[10:11], v[10:11], v[12:13]
	s_waitcnt lgkmcnt(8)
	v_add_f64 v[20:21], v[16:17], v[14:15]
	;; [unrolled: 2-line block ×3, first 2 shown]
	v_xor_b32_e32 v28, 1, v36
	s_waitcnt lgkmcnt(4)
	v_add_f64 v[18:19], v[22:23], v[30:31]
	s_waitcnt lgkmcnt(2)
	v_add_f64 v[14:15], v[24:25], v[32:33]
	s_waitcnt lgkmcnt(0)
	v_add_f64 v[16:17], v[26:27], v[34:35]
	v_cmp_gt_i32_e32 vcc_lo, 32, v28
	v_cndmask_b32_e32 v22, v36, v28, vcc_lo
	v_cmp_eq_u32_e32 vcc_lo, 15, v0
	v_lshlrev_b32_e32 v25, 2, v22
	ds_bpermute_b32 v32, v25, v10
	ds_bpermute_b32 v33, v25, v11
	;; [unrolled: 1-line block ×12, first 2 shown]
	s_and_b32 exec_lo, exec_lo, vcc_lo
	s_cbranch_execz .LBB128_21
; %bb.17:
	v_cmp_eq_f64_e32 vcc_lo, 0, v[5:6]
	v_cmp_eq_f64_e64 s0, 0, v[7:8]
	s_waitcnt lgkmcnt(10)
	v_add_f64 v[10:11], v[10:11], v[32:33]
	s_waitcnt lgkmcnt(8)
	v_add_f64 v[20:21], v[20:21], v[30:31]
	;; [unrolled: 2-line block ×6, first 2 shown]
	s_load_dwordx2 s[2:3], s[4:5], 0x48
	s_and_b32 s0, vcc_lo, s0
	s_and_saveexec_b32 s1, s0
	s_xor_b32 s0, exec_lo, s1
	s_cbranch_execz .LBB128_19
; %bb.18:
	v_mul_f64 v[5:6], v[20:21], -v[3:4]
	v_mul_f64 v[7:8], v[1:2], v[20:21]
	v_mul_f64 v[20:21], v[18:19], -v[3:4]
	v_mul_f64 v[18:19], v[1:2], v[18:19]
	;; [unrolled: 2-line block ×3, first 2 shown]
	v_lshl_add_u32 v24, v9, 1, v9
	v_ashrrev_i32_e32 v25, 31, v24
	v_fma_f64 v[5:6], v[1:2], v[10:11], v[5:6]
	v_fma_f64 v[7:8], v[3:4], v[10:11], v[7:8]
	;; [unrolled: 1-line block ×6, first 2 shown]
	v_lshlrev_b64 v[13:14], 4, v[24:25]
                                        ; implicit-def: $vgpr20_vgpr21
                                        ; implicit-def: $vgpr18_vgpr19
                                        ; implicit-def: $vgpr16_vgpr17
	s_waitcnt lgkmcnt(0)
	v_add_co_u32 v13, vcc_lo, s2, v13
	v_add_co_ci_u32_e64 v14, null, s3, v14, vcc_lo
	global_store_dwordx4 v[13:14], v[5:8], off
	global_store_dwordx4 v[13:14], v[9:12], off offset:16
	global_store_dwordx4 v[13:14], v[0:3], off offset:32
                                        ; implicit-def: $vgpr9
                                        ; implicit-def: $vgpr10_vgpr11
                                        ; implicit-def: $vgpr12_vgpr13
                                        ; implicit-def: $vgpr14_vgpr15
                                        ; implicit-def: $vgpr7_vgpr8
                                        ; implicit-def: $vgpr3_vgpr4
.LBB128_19:
	s_andn2_saveexec_b32 s0, s0
	s_cbranch_execz .LBB128_21
; %bb.20:
	v_lshl_add_u32 v22, v9, 1, v9
	v_mul_f64 v[36:37], v[20:21], -v[3:4]
	v_mul_f64 v[20:21], v[1:2], v[20:21]
	v_mul_f64 v[38:39], v[18:19], -v[3:4]
	v_mul_f64 v[18:19], v[1:2], v[18:19]
	v_ashrrev_i32_e32 v23, 31, v22
	v_mul_f64 v[40:41], v[16:17], -v[3:4]
	v_mul_f64 v[16:17], v[1:2], v[16:17]
	v_lshlrev_b64 v[22:23], 4, v[22:23]
	s_waitcnt lgkmcnt(0)
	v_add_co_u32 v34, vcc_lo, s2, v22
	v_add_co_ci_u32_e64 v35, null, s3, v23, vcc_lo
	s_clause 0x2
	global_load_dwordx4 v[22:25], v[34:35], off
	global_load_dwordx4 v[26:29], v[34:35], off offset:16
	global_load_dwordx4 v[30:33], v[34:35], off offset:32
	v_fma_f64 v[36:37], v[1:2], v[10:11], v[36:37]
	v_fma_f64 v[9:10], v[3:4], v[10:11], v[20:21]
	;; [unrolled: 1-line block ×6, first 2 shown]
	s_waitcnt vmcnt(2)
	v_fma_f64 v[13:14], v[5:6], v[22:23], v[36:37]
	v_fma_f64 v[9:10], v[7:8], v[22:23], v[9:10]
	s_waitcnt vmcnt(1)
	v_fma_f64 v[15:16], v[5:6], v[26:27], v[20:21]
	v_fma_f64 v[11:12], v[7:8], v[26:27], v[11:12]
	;; [unrolled: 3-line block ×3, first 2 shown]
	v_fma_f64 v[0:1], -v[7:8], v[24:25], v[13:14]
	v_fma_f64 v[2:3], v[5:6], v[24:25], v[9:10]
	v_fma_f64 v[9:10], -v[7:8], v[28:29], v[15:16]
	v_fma_f64 v[11:12], v[5:6], v[28:29], v[11:12]
	;; [unrolled: 2-line block ×3, first 2 shown]
	global_store_dwordx4 v[34:35], v[0:3], off
	global_store_dwordx4 v[34:35], v[9:12], off offset:16
	global_store_dwordx4 v[34:35], v[13:16], off offset:32
.LBB128_21:
	s_endpgm
	.section	.rodata,"a",@progbits
	.p2align	6, 0x0
	.amdhsa_kernel _ZN9rocsparseL19gebsrmvn_3xn_kernelILj128ELj5ELj16E21rocsparse_complex_numIdEEEvi20rocsparse_direction_NS_24const_host_device_scalarIT2_EEPKiS8_PKS5_SA_S6_PS5_21rocsparse_index_base_b
		.amdhsa_group_segment_fixed_size 0
		.amdhsa_private_segment_fixed_size 0
		.amdhsa_kernarg_size 88
		.amdhsa_user_sgpr_count 6
		.amdhsa_user_sgpr_private_segment_buffer 1
		.amdhsa_user_sgpr_dispatch_ptr 0
		.amdhsa_user_sgpr_queue_ptr 0
		.amdhsa_user_sgpr_kernarg_segment_ptr 1
		.amdhsa_user_sgpr_dispatch_id 0
		.amdhsa_user_sgpr_flat_scratch_init 0
		.amdhsa_user_sgpr_private_segment_size 0
		.amdhsa_wavefront_size32 1
		.amdhsa_uses_dynamic_stack 0
		.amdhsa_system_sgpr_private_segment_wavefront_offset 0
		.amdhsa_system_sgpr_workgroup_id_x 1
		.amdhsa_system_sgpr_workgroup_id_y 0
		.amdhsa_system_sgpr_workgroup_id_z 0
		.amdhsa_system_sgpr_workgroup_info 0
		.amdhsa_system_vgpr_workitem_id 0
		.amdhsa_next_free_vgpr 104
		.amdhsa_next_free_sgpr 16
		.amdhsa_reserve_vcc 1
		.amdhsa_reserve_flat_scratch 0
		.amdhsa_float_round_mode_32 0
		.amdhsa_float_round_mode_16_64 0
		.amdhsa_float_denorm_mode_32 3
		.amdhsa_float_denorm_mode_16_64 3
		.amdhsa_dx10_clamp 1
		.amdhsa_ieee_mode 1
		.amdhsa_fp16_overflow 0
		.amdhsa_workgroup_processor_mode 1
		.amdhsa_memory_ordered 1
		.amdhsa_forward_progress 1
		.amdhsa_shared_vgpr_count 0
		.amdhsa_exception_fp_ieee_invalid_op 0
		.amdhsa_exception_fp_denorm_src 0
		.amdhsa_exception_fp_ieee_div_zero 0
		.amdhsa_exception_fp_ieee_overflow 0
		.amdhsa_exception_fp_ieee_underflow 0
		.amdhsa_exception_fp_ieee_inexact 0
		.amdhsa_exception_int_div_zero 0
	.end_amdhsa_kernel
	.section	.text._ZN9rocsparseL19gebsrmvn_3xn_kernelILj128ELj5ELj16E21rocsparse_complex_numIdEEEvi20rocsparse_direction_NS_24const_host_device_scalarIT2_EEPKiS8_PKS5_SA_S6_PS5_21rocsparse_index_base_b,"axG",@progbits,_ZN9rocsparseL19gebsrmvn_3xn_kernelILj128ELj5ELj16E21rocsparse_complex_numIdEEEvi20rocsparse_direction_NS_24const_host_device_scalarIT2_EEPKiS8_PKS5_SA_S6_PS5_21rocsparse_index_base_b,comdat
.Lfunc_end128:
	.size	_ZN9rocsparseL19gebsrmvn_3xn_kernelILj128ELj5ELj16E21rocsparse_complex_numIdEEEvi20rocsparse_direction_NS_24const_host_device_scalarIT2_EEPKiS8_PKS5_SA_S6_PS5_21rocsparse_index_base_b, .Lfunc_end128-_ZN9rocsparseL19gebsrmvn_3xn_kernelILj128ELj5ELj16E21rocsparse_complex_numIdEEEvi20rocsparse_direction_NS_24const_host_device_scalarIT2_EEPKiS8_PKS5_SA_S6_PS5_21rocsparse_index_base_b
                                        ; -- End function
	.set _ZN9rocsparseL19gebsrmvn_3xn_kernelILj128ELj5ELj16E21rocsparse_complex_numIdEEEvi20rocsparse_direction_NS_24const_host_device_scalarIT2_EEPKiS8_PKS5_SA_S6_PS5_21rocsparse_index_base_b.num_vgpr, 104
	.set _ZN9rocsparseL19gebsrmvn_3xn_kernelILj128ELj5ELj16E21rocsparse_complex_numIdEEEvi20rocsparse_direction_NS_24const_host_device_scalarIT2_EEPKiS8_PKS5_SA_S6_PS5_21rocsparse_index_base_b.num_agpr, 0
	.set _ZN9rocsparseL19gebsrmvn_3xn_kernelILj128ELj5ELj16E21rocsparse_complex_numIdEEEvi20rocsparse_direction_NS_24const_host_device_scalarIT2_EEPKiS8_PKS5_SA_S6_PS5_21rocsparse_index_base_b.numbered_sgpr, 16
	.set _ZN9rocsparseL19gebsrmvn_3xn_kernelILj128ELj5ELj16E21rocsparse_complex_numIdEEEvi20rocsparse_direction_NS_24const_host_device_scalarIT2_EEPKiS8_PKS5_SA_S6_PS5_21rocsparse_index_base_b.num_named_barrier, 0
	.set _ZN9rocsparseL19gebsrmvn_3xn_kernelILj128ELj5ELj16E21rocsparse_complex_numIdEEEvi20rocsparse_direction_NS_24const_host_device_scalarIT2_EEPKiS8_PKS5_SA_S6_PS5_21rocsparse_index_base_b.private_seg_size, 0
	.set _ZN9rocsparseL19gebsrmvn_3xn_kernelILj128ELj5ELj16E21rocsparse_complex_numIdEEEvi20rocsparse_direction_NS_24const_host_device_scalarIT2_EEPKiS8_PKS5_SA_S6_PS5_21rocsparse_index_base_b.uses_vcc, 1
	.set _ZN9rocsparseL19gebsrmvn_3xn_kernelILj128ELj5ELj16E21rocsparse_complex_numIdEEEvi20rocsparse_direction_NS_24const_host_device_scalarIT2_EEPKiS8_PKS5_SA_S6_PS5_21rocsparse_index_base_b.uses_flat_scratch, 0
	.set _ZN9rocsparseL19gebsrmvn_3xn_kernelILj128ELj5ELj16E21rocsparse_complex_numIdEEEvi20rocsparse_direction_NS_24const_host_device_scalarIT2_EEPKiS8_PKS5_SA_S6_PS5_21rocsparse_index_base_b.has_dyn_sized_stack, 0
	.set _ZN9rocsparseL19gebsrmvn_3xn_kernelILj128ELj5ELj16E21rocsparse_complex_numIdEEEvi20rocsparse_direction_NS_24const_host_device_scalarIT2_EEPKiS8_PKS5_SA_S6_PS5_21rocsparse_index_base_b.has_recursion, 0
	.set _ZN9rocsparseL19gebsrmvn_3xn_kernelILj128ELj5ELj16E21rocsparse_complex_numIdEEEvi20rocsparse_direction_NS_24const_host_device_scalarIT2_EEPKiS8_PKS5_SA_S6_PS5_21rocsparse_index_base_b.has_indirect_call, 0
	.section	.AMDGPU.csdata,"",@progbits
; Kernel info:
; codeLenInByte = 4500
; TotalNumSgprs: 18
; NumVgprs: 104
; ScratchSize: 0
; MemoryBound: 0
; FloatMode: 240
; IeeeMode: 1
; LDSByteSize: 0 bytes/workgroup (compile time only)
; SGPRBlocks: 0
; VGPRBlocks: 12
; NumSGPRsForWavesPerEU: 18
; NumVGPRsForWavesPerEU: 104
; Occupancy: 9
; WaveLimiterHint : 1
; COMPUTE_PGM_RSRC2:SCRATCH_EN: 0
; COMPUTE_PGM_RSRC2:USER_SGPR: 6
; COMPUTE_PGM_RSRC2:TRAP_HANDLER: 0
; COMPUTE_PGM_RSRC2:TGID_X_EN: 1
; COMPUTE_PGM_RSRC2:TGID_Y_EN: 0
; COMPUTE_PGM_RSRC2:TGID_Z_EN: 0
; COMPUTE_PGM_RSRC2:TIDIG_COMP_CNT: 0
	.section	.text._ZN9rocsparseL19gebsrmvn_3xn_kernelILj128ELj5ELj32E21rocsparse_complex_numIdEEEvi20rocsparse_direction_NS_24const_host_device_scalarIT2_EEPKiS8_PKS5_SA_S6_PS5_21rocsparse_index_base_b,"axG",@progbits,_ZN9rocsparseL19gebsrmvn_3xn_kernelILj128ELj5ELj32E21rocsparse_complex_numIdEEEvi20rocsparse_direction_NS_24const_host_device_scalarIT2_EEPKiS8_PKS5_SA_S6_PS5_21rocsparse_index_base_b,comdat
	.globl	_ZN9rocsparseL19gebsrmvn_3xn_kernelILj128ELj5ELj32E21rocsparse_complex_numIdEEEvi20rocsparse_direction_NS_24const_host_device_scalarIT2_EEPKiS8_PKS5_SA_S6_PS5_21rocsparse_index_base_b ; -- Begin function _ZN9rocsparseL19gebsrmvn_3xn_kernelILj128ELj5ELj32E21rocsparse_complex_numIdEEEvi20rocsparse_direction_NS_24const_host_device_scalarIT2_EEPKiS8_PKS5_SA_S6_PS5_21rocsparse_index_base_b
	.p2align	8
	.type	_ZN9rocsparseL19gebsrmvn_3xn_kernelILj128ELj5ELj32E21rocsparse_complex_numIdEEEvi20rocsparse_direction_NS_24const_host_device_scalarIT2_EEPKiS8_PKS5_SA_S6_PS5_21rocsparse_index_base_b,@function
_ZN9rocsparseL19gebsrmvn_3xn_kernelILj128ELj5ELj32E21rocsparse_complex_numIdEEEvi20rocsparse_direction_NS_24const_host_device_scalarIT2_EEPKiS8_PKS5_SA_S6_PS5_21rocsparse_index_base_b: ; @_ZN9rocsparseL19gebsrmvn_3xn_kernelILj128ELj5ELj32E21rocsparse_complex_numIdEEEvi20rocsparse_direction_NS_24const_host_device_scalarIT2_EEPKiS8_PKS5_SA_S6_PS5_21rocsparse_index_base_b
; %bb.0:
	s_clause 0x1
	s_load_dwordx2 s[2:3], s[4:5], 0x50
	s_load_dwordx2 s[0:1], s[4:5], 0x8
	s_add_u32 s7, s4, 8
	s_addc_u32 s10, s5, 0
	s_add_u32 s11, s4, 56
	s_addc_u32 s12, s5, 0
	s_load_dwordx2 s[8:9], s[4:5], 0x38
	s_waitcnt lgkmcnt(0)
	s_bitcmp1_b32 s3, 0
	s_cselect_b32 s0, s7, s0
	s_cselect_b32 s1, s10, s1
	v_mov_b32_e32 v1, s0
	v_mov_b32_e32 v2, s1
	s_cselect_b32 s0, s11, s8
	s_cselect_b32 s1, s12, s9
	v_mov_b32_e32 v5, s0
	v_mov_b32_e32 v6, s1
	flat_load_dwordx4 v[1:4], v[1:2]
	flat_load_dwordx4 v[5:8], v[5:6]
	s_waitcnt vmcnt(1) lgkmcnt(1)
	v_cmp_eq_f64_e32 vcc_lo, 0, v[1:2]
	v_cmp_eq_f64_e64 s0, 0, v[3:4]
	s_and_b32 s3, vcc_lo, s0
	s_mov_b32 s0, -1
	s_and_saveexec_b32 s1, s3
	s_cbranch_execz .LBB129_2
; %bb.1:
	s_waitcnt vmcnt(0) lgkmcnt(0)
	v_cmp_neq_f64_e32 vcc_lo, 1.0, v[5:6]
	v_cmp_neq_f64_e64 s0, 0, v[7:8]
	s_or_b32 s0, vcc_lo, s0
	s_orn2_b32 s0, s0, exec_lo
.LBB129_2:
	s_or_b32 exec_lo, exec_lo, s1
	s_and_saveexec_b32 s1, s0
	s_cbranch_execz .LBB129_21
; %bb.3:
	s_load_dwordx2 s[0:1], s[4:5], 0x0
	v_lshrrev_b32_e32 v9, 5, v0
	v_lshl_or_b32 v9, s6, 2, v9
	s_waitcnt lgkmcnt(0)
	v_cmp_gt_i32_e32 vcc_lo, s0, v9
	s_and_b32 exec_lo, exec_lo, vcc_lo
	s_cbranch_execz .LBB129_21
; %bb.4:
	s_load_dwordx8 s[8:15], s[4:5], 0x18
	v_ashrrev_i32_e32 v10, 31, v9
	v_and_b32_e32 v0, 31, v0
	s_cmp_lg_u32 s1, 0
	v_lshlrev_b64 v[10:11], 2, v[9:10]
	s_waitcnt lgkmcnt(0)
	v_add_co_u32 v10, vcc_lo, s8, v10
	v_add_co_ci_u32_e64 v11, null, s9, v11, vcc_lo
	global_load_dwordx2 v[10:11], v[10:11], off
	s_waitcnt vmcnt(0)
	v_subrev_nc_u32_e32 v10, s2, v10
	v_subrev_nc_u32_e32 v30, s2, v11
	v_add_nc_u32_e32 v10, v10, v0
	v_cmp_lt_i32_e64 s0, v10, v30
	s_cbranch_scc0 .LBB129_10
; %bb.5:
	v_mov_b32_e32 v16, 0
	v_mov_b32_e32 v22, 0
	v_mov_b32_e32 v12, 0
	v_mov_b32_e32 v14, 0
	v_mov_b32_e32 v18, 0
	v_mov_b32_e32 v20, 0
	v_mov_b32_e32 v17, 0
	v_mov_b32_e32 v23, 0
	v_mov_b32_e32 v13, 0
	v_mov_b32_e32 v15, 0
	v_mov_b32_e32 v19, 0
	v_mov_b32_e32 v21, 0
	s_and_saveexec_b32 s1, s0
	s_cbranch_execz .LBB129_9
; %bb.6:
	v_mad_u64_u32 v[24:25], null, v10, 15, 14
	v_mov_b32_e32 v16, 0
	v_mov_b32_e32 v22, 0
	;; [unrolled: 1-line block ×14, first 2 shown]
	s_mov_b32 s3, 0
.LBB129_7:                              ; =>This Inner Loop Header: Depth=1
	v_ashrrev_i32_e32 v29, 31, v28
	v_mov_b32_e32 v92, v27
	v_lshlrev_b64 v[25:26], 2, v[28:29]
	v_add_nc_u32_e32 v28, 32, v28
	v_add_co_u32 v25, vcc_lo, s10, v25
	v_add_co_ci_u32_e64 v26, null, s11, v26, vcc_lo
	global_load_dword v11, v[25:26], off
	v_add_nc_u32_e32 v26, -14, v24
	v_mov_b32_e32 v25, v27
	v_lshlrev_b64 v[31:32], 4, v[26:27]
	v_add_nc_u32_e32 v26, -13, v24
	v_lshlrev_b64 v[33:34], 4, v[24:25]
	v_lshlrev_b64 v[35:36], 4, v[26:27]
	v_add_nc_u32_e32 v26, -12, v24
	v_add_co_u32 v31, vcc_lo, s12, v31
	v_add_co_ci_u32_e64 v32, null, s13, v32, vcc_lo
	v_lshlrev_b64 v[39:40], 4, v[26:27]
	v_add_co_u32 v37, vcc_lo, s12, v33
	v_add_co_ci_u32_e64 v38, null, s13, v34, vcc_lo
	v_add_co_u32 v41, vcc_lo, s12, v35
	v_add_co_ci_u32_e64 v42, null, s13, v36, vcc_lo
	;; [unrolled: 2-line block ×3, first 2 shown]
	s_clause 0x3
	global_load_dwordx4 v[31:34], v[31:32], off
	global_load_dwordx4 v[35:38], v[37:38], off
	;; [unrolled: 1-line block ×4, first 2 shown]
	v_add_nc_u32_e32 v26, -11, v24
	v_lshlrev_b64 v[25:26], 4, v[26:27]
	s_waitcnt vmcnt(4)
	v_subrev_nc_u32_e32 v11, s2, v11
	v_lshl_add_u32 v91, v11, 2, v11
	v_lshlrev_b64 v[47:48], 4, v[91:92]
	v_add_co_u32 v47, vcc_lo, s14, v47
	v_add_co_ci_u32_e64 v48, null, s15, v48, vcc_lo
	v_add_co_u32 v25, vcc_lo, s12, v25
	v_add_co_ci_u32_e64 v26, null, s13, v26, vcc_lo
	global_load_dwordx4 v[47:50], v[47:48], off
	global_load_dwordx4 v[51:54], v[25:26], off
	v_add_nc_u32_e32 v26, 1, v91
	v_lshlrev_b64 v[55:56], 4, v[26:27]
	v_add_nc_u32_e32 v26, -10, v24
	v_lshlrev_b64 v[59:60], 4, v[26:27]
	v_add_nc_u32_e32 v26, -9, v24
	v_add_co_u32 v55, vcc_lo, s14, v55
	v_add_co_ci_u32_e64 v56, null, s15, v56, vcc_lo
	v_lshlrev_b64 v[61:62], 4, v[26:27]
	v_add_co_u32 v59, vcc_lo, s12, v59
	v_add_co_ci_u32_e64 v60, null, s13, v60, vcc_lo
	global_load_dwordx4 v[55:58], v[55:56], off
	v_add_co_u32 v63, vcc_lo, s12, v61
	v_add_co_ci_u32_e64 v64, null, s13, v62, vcc_lo
	s_clause 0x1
	global_load_dwordx4 v[59:62], v[59:60], off
	global_load_dwordx4 v[63:66], v[63:64], off
	v_add_nc_u32_e32 v26, -8, v24
	v_lshlrev_b64 v[67:68], 4, v[26:27]
	v_add_nc_u32_e32 v26, 2, v91
	v_lshlrev_b64 v[71:72], 4, v[26:27]
	v_add_nc_u32_e32 v26, -7, v24
	v_add_co_u32 v67, vcc_lo, s12, v67
	v_add_co_ci_u32_e64 v68, null, s13, v68, vcc_lo
	v_lshlrev_b64 v[73:74], 4, v[26:27]
	v_add_nc_u32_e32 v26, -6, v24
	v_add_co_u32 v71, vcc_lo, s14, v71
	v_add_co_ci_u32_e64 v72, null, s15, v72, vcc_lo
	v_lshlrev_b64 v[75:76], 4, v[26:27]
	v_add_nc_u32_e32 v26, -5, v24
	v_add_co_u32 v77, vcc_lo, s12, v73
	v_add_co_ci_u32_e64 v78, null, s13, v74, vcc_lo
	v_lshlrev_b64 v[79:80], 4, v[26:27]
	v_add_co_u32 v81, vcc_lo, s12, v75
	v_add_co_ci_u32_e64 v82, null, s13, v76, vcc_lo
	global_load_dwordx4 v[67:70], v[67:68], off
	v_add_co_u32 v85, vcc_lo, s12, v79
	global_load_dwordx4 v[71:74], v[71:72], off
	global_load_dwordx4 v[75:78], v[77:78], off
	v_add_co_ci_u32_e64 v86, null, s13, v80, vcc_lo
	global_load_dwordx4 v[79:82], v[81:82], off
	v_add_nc_u32_e32 v26, 3, v91
	v_lshlrev_b64 v[83:84], 4, v[26:27]
	v_add_nc_u32_e32 v26, -4, v24
	v_lshlrev_b64 v[87:88], 4, v[26:27]
	v_add_nc_u32_e32 v26, -3, v24
	v_add_co_u32 v89, vcc_lo, s14, v83
	v_add_co_ci_u32_e64 v90, null, s15, v84, vcc_lo
	v_lshlrev_b64 v[92:93], 4, v[26:27]
	v_add_nc_u32_e32 v26, -2, v24
	v_add_co_u32 v94, vcc_lo, s12, v87
	v_add_co_ci_u32_e64 v95, null, s13, v88, vcc_lo
	v_lshlrev_b64 v[96:97], 4, v[26:27]
	v_add_co_u32 v98, vcc_lo, s12, v92
	v_add_co_ci_u32_e64 v99, null, s13, v93, vcc_lo
	global_load_dwordx4 v[83:86], v[85:86], off
	v_add_co_u32 v102, vcc_lo, s12, v96
	v_add_co_ci_u32_e64 v103, null, s13, v97, vcc_lo
	global_load_dwordx4 v[87:90], v[89:90], off
	v_add_nc_u32_e32 v26, 4, v91
	global_load_dwordx4 v[91:94], v[94:95], off
	v_lshlrev_b64 v[100:101], 4, v[26:27]
	v_add_nc_u32_e32 v26, -1, v24
	v_add_nc_u32_e32 v24, 0x1e0, v24
	v_lshlrev_b64 v[25:26], 4, v[26:27]
	s_waitcnt vmcnt(11)
	v_fma_f64 v[22:23], v[31:32], v[47:48], v[22:23]
	v_fma_f64 v[16:17], v[33:34], v[47:48], v[16:17]
	;; [unrolled: 1-line block ×6, first 2 shown]
	v_fma_f64 v[22:23], -v[33:34], v[49:50], v[22:23]
	v_fma_f64 v[16:17], v[31:32], v[49:50], v[16:17]
	s_clause 0x1
	global_load_dwordx4 v[31:34], v[102:103], off
	global_load_dwordx4 v[95:98], v[98:99], off
	v_add_co_u32 v99, vcc_lo, s14, v100
	v_add_co_ci_u32_e64 v100, null, s15, v101, vcc_lo
	v_add_co_u32 v25, vcc_lo, s12, v25
	v_add_co_ci_u32_e64 v26, null, s13, v26, vcc_lo
	v_fma_f64 v[18:19], -v[41:42], v[49:50], v[18:19]
	v_fma_f64 v[20:21], v[39:40], v[49:50], v[20:21]
	global_load_dwordx4 v[39:42], v[99:100], off
	global_load_dwordx4 v[99:102], v[25:26], off
	v_fma_f64 v[11:12], -v[45:46], v[49:50], v[11:12]
	v_fma_f64 v[13:14], v[43:44], v[49:50], v[13:14]
	v_cmp_ge_i32_e32 vcc_lo, v28, v30
	s_or_b32 s3, vcc_lo, s3
	s_waitcnt vmcnt(13)
	v_fma_f64 v[22:23], v[51:52], v[55:56], v[22:23]
	v_fma_f64 v[15:16], v[53:54], v[55:56], v[16:17]
	s_waitcnt vmcnt(12)
	v_fma_f64 v[17:18], v[59:60], v[55:56], v[18:19]
	v_fma_f64 v[19:20], v[61:62], v[55:56], v[20:21]
	;; [unrolled: 3-line block ×3, first 2 shown]
	v_fma_f64 v[21:22], -v[53:54], v[57:58], v[22:23]
	v_fma_f64 v[15:16], v[51:52], v[57:58], v[15:16]
	v_fma_f64 v[17:18], -v[61:62], v[57:58], v[17:18]
	v_fma_f64 v[19:20], v[59:60], v[57:58], v[19:20]
	;; [unrolled: 2-line block ×3, first 2 shown]
	s_waitcnt vmcnt(9)
	v_fma_f64 v[21:22], v[67:68], v[71:72], v[21:22]
	v_fma_f64 v[15:16], v[69:70], v[71:72], v[15:16]
	s_waitcnt vmcnt(8)
	v_fma_f64 v[17:18], v[75:76], v[71:72], v[17:18]
	v_fma_f64 v[19:20], v[77:78], v[71:72], v[19:20]
	s_waitcnt vmcnt(7)
	v_fma_f64 v[11:12], v[79:80], v[71:72], v[11:12]
	v_fma_f64 v[13:14], v[81:82], v[71:72], v[13:14]
	v_fma_f64 v[21:22], -v[69:70], v[73:74], v[21:22]
	v_fma_f64 v[15:16], v[67:68], v[73:74], v[15:16]
	v_fma_f64 v[17:18], -v[77:78], v[73:74], v[17:18]
	v_fma_f64 v[19:20], v[75:76], v[73:74], v[19:20]
	;; [unrolled: 2-line block ×3, first 2 shown]
	s_waitcnt vmcnt(5)
	v_fma_f64 v[21:22], v[83:84], v[87:88], v[21:22]
	v_fma_f64 v[15:16], v[85:86], v[87:88], v[15:16]
	s_waitcnt vmcnt(4)
	v_fma_f64 v[17:18], v[91:92], v[87:88], v[17:18]
	v_fma_f64 v[19:20], v[93:94], v[87:88], v[19:20]
	v_fma_f64 v[21:22], -v[85:86], v[89:90], v[21:22]
	v_fma_f64 v[15:16], v[83:84], v[89:90], v[15:16]
	v_fma_f64 v[17:18], -v[93:94], v[89:90], v[17:18]
	v_fma_f64 v[19:20], v[91:92], v[89:90], v[19:20]
	s_waitcnt vmcnt(2)
	v_fma_f64 v[11:12], v[95:96], v[87:88], v[11:12]
	v_fma_f64 v[13:14], v[97:98], v[87:88], v[13:14]
	s_waitcnt vmcnt(1)
	v_fma_f64 v[21:22], v[31:32], v[39:40], v[21:22]
	;; [unrolled: 3-line block ×3, first 2 shown]
	v_fma_f64 v[43:44], v[101:102], v[39:40], v[19:20]
	v_fma_f64 v[11:12], -v[97:98], v[89:90], v[11:12]
	v_fma_f64 v[13:14], v[95:96], v[89:90], v[13:14]
	v_fma_f64 v[22:23], -v[33:34], v[41:42], v[21:22]
	;; [unrolled: 2-line block ×3, first 2 shown]
	v_fma_f64 v[20:21], v[99:100], v[41:42], v[43:44]
	v_fma_f64 v[11:12], v[35:36], v[39:40], v[11:12]
	;; [unrolled: 1-line block ×3, first 2 shown]
	v_fma_f64 v[12:13], -v[37:38], v[41:42], v[11:12]
	v_fma_f64 v[14:15], v[35:36], v[41:42], v[39:40]
	s_andn2_b32 exec_lo, exec_lo, s3
	s_cbranch_execnz .LBB129_7
; %bb.8:
	s_or_b32 exec_lo, exec_lo, s3
.LBB129_9:
	s_or_b32 exec_lo, exec_lo, s1
	s_cbranch_execz .LBB129_11
	s_branch .LBB129_16
.LBB129_10:
                                        ; implicit-def: $vgpr16_vgpr17
                                        ; implicit-def: $vgpr22_vgpr23
                                        ; implicit-def: $vgpr12_vgpr13
                                        ; implicit-def: $vgpr14_vgpr15
                                        ; implicit-def: $vgpr18_vgpr19
                                        ; implicit-def: $vgpr20_vgpr21
.LBB129_11:
	v_mov_b32_e32 v16, 0
	v_mov_b32_e32 v22, 0
	v_mov_b32_e32 v12, 0
	v_mov_b32_e32 v14, 0
	v_mov_b32_e32 v18, 0
	v_mov_b32_e32 v20, 0
	v_mov_b32_e32 v17, 0
	v_mov_b32_e32 v23, 0
	v_mov_b32_e32 v13, 0
	v_mov_b32_e32 v15, 0
	v_mov_b32_e32 v19, 0
	v_mov_b32_e32 v21, 0
	s_and_saveexec_b32 s1, s0
	s_cbranch_execz .LBB129_15
; %bb.12:
	v_mad_u64_u32 v[24:25], null, v10, 15, 14
	v_mov_b32_e32 v16, 0
	v_mov_b32_e32 v22, 0
	;; [unrolled: 1-line block ×13, first 2 shown]
	s_mov_b32 s0, 0
.LBB129_13:                             ; =>This Inner Loop Header: Depth=1
	v_ashrrev_i32_e32 v11, 31, v10
	v_add_nc_u32_e32 v26, -14, v24
	v_add_nc_u32_e32 v28, -9, v24
	v_mov_b32_e32 v29, v27
	v_add_nc_u32_e32 v31, -4, v24
	v_lshlrev_b64 v[35:36], 2, v[10:11]
	v_mov_b32_e32 v32, v27
	v_lshlrev_b64 v[33:34], 4, v[26:27]
	v_mov_b32_e32 v25, v27
	v_lshlrev_b64 v[28:29], 4, v[28:29]
	v_add_nc_u32_e32 v26, -13, v24
	v_add_co_u32 v35, vcc_lo, s10, v35
	v_add_co_ci_u32_e64 v36, null, s11, v36, vcc_lo
	v_lshlrev_b64 v[31:32], 4, v[31:32]
	v_lshlrev_b64 v[37:38], 4, v[24:25]
	v_add_co_u32 v33, vcc_lo, s12, v33
	global_load_dword v11, v[35:36], off
	v_lshlrev_b64 v[25:26], 4, v[26:27]
	v_add_co_ci_u32_e64 v34, null, s13, v34, vcc_lo
	v_add_co_u32 v28, vcc_lo, s12, v28
	v_add_co_ci_u32_e64 v29, null, s13, v29, vcc_lo
	v_add_co_u32 v39, vcc_lo, s12, v31
	;; [unrolled: 2-line block ×3, first 2 shown]
	v_mov_b32_e32 v80, v27
	v_add_co_ci_u32_e64 v82, null, s13, v38, vcc_lo
	v_add_co_u32 v25, vcc_lo, s12, v25
	v_add_co_ci_u32_e64 v26, null, s13, v26, vcc_lo
	s_clause 0x3
	global_load_dwordx4 v[31:34], v[33:34], off
	global_load_dwordx4 v[35:38], v[28:29], off
	;; [unrolled: 1-line block ×4, first 2 shown]
	v_add_nc_u32_e32 v10, 32, v10
	s_waitcnt vmcnt(4)
	v_subrev_nc_u32_e32 v11, s2, v11
	v_lshl_add_u32 v79, v11, 2, v11
	v_lshlrev_b64 v[28:29], 4, v[79:80]
	v_add_nc_u32_e32 v26, 1, v79
	v_lshlrev_b64 v[51:52], 4, v[26:27]
	v_add_co_u32 v28, vcc_lo, s14, v28
	v_add_co_ci_u32_e64 v29, null, s15, v29, vcc_lo
	v_add_nc_u32_e32 v26, -8, v24
	global_load_dwordx4 v[47:50], v[28:29], off
	v_add_co_u32 v28, vcc_lo, s14, v51
	v_add_co_ci_u32_e64 v29, null, s15, v52, vcc_lo
	v_lshlrev_b64 v[55:56], 4, v[26:27]
	v_add_nc_u32_e32 v26, -3, v24
	global_load_dwordx4 v[51:54], v[28:29], off
	v_add_co_u32 v28, vcc_lo, s12, v55
	v_add_co_ci_u32_e64 v29, null, s13, v56, vcc_lo
	v_lshlrev_b64 v[59:60], 4, v[26:27]
	v_add_nc_u32_e32 v26, -12, v24
	global_load_dwordx4 v[55:58], v[28:29], off
	v_lshlrev_b64 v[61:62], 4, v[26:27]
	v_add_co_u32 v28, vcc_lo, s12, v59
	v_add_co_ci_u32_e64 v29, null, s13, v60, vcc_lo
	v_add_nc_u32_e32 v26, 2, v79
	v_add_co_u32 v65, vcc_lo, s12, v61
	v_add_co_ci_u32_e64 v66, null, s13, v62, vcc_lo
	global_load_dwordx4 v[59:62], v[28:29], off
	v_lshlrev_b64 v[63:64], 4, v[26:27]
	v_add_nc_u32_e32 v26, -7, v24
	v_add_co_u32 v67, vcc_lo, s14, v63
	v_add_co_ci_u32_e64 v68, null, s15, v64, vcc_lo
	global_load_dwordx4 v[63:66], v[65:66], off
	v_lshlrev_b64 v[28:29], 4, v[26:27]
	v_add_nc_u32_e32 v26, -2, v24
	global_load_dwordx4 v[67:70], v[67:68], off
	v_add_co_u32 v28, vcc_lo, s12, v28
	v_lshlrev_b64 v[75:76], 4, v[26:27]
	v_add_nc_u32_e32 v26, -11, v24
	v_add_co_ci_u32_e64 v29, null, s13, v29, vcc_lo
	v_lshlrev_b64 v[77:78], 4, v[26:27]
	global_load_dwordx4 v[71:74], v[28:29], off
	v_add_co_u32 v28, vcc_lo, s12, v75
	v_add_co_ci_u32_e64 v29, null, s13, v76, vcc_lo
	v_add_co_u32 v85, vcc_lo, s12, v77
	v_add_co_ci_u32_e64 v86, null, s13, v78, vcc_lo
	global_load_dwordx4 v[75:78], v[28:29], off
	v_add_nc_u32_e32 v26, 3, v79
	v_lshlrev_b64 v[83:84], 4, v[26:27]
	v_add_nc_u32_e32 v26, -6, v24
	s_waitcnt vmcnt(7)
	v_fma_f64 v[16:17], v[33:34], v[47:48], v[16:17]
	v_fma_f64 v[22:23], v[31:32], v[47:48], v[22:23]
	;; [unrolled: 1-line block ×7, first 2 shown]
	v_lshlrev_b64 v[16:17], 4, v[26:27]
	v_add_nc_u32_e32 v26, -1, v24
	v_fma_f64 v[28:29], -v[33:34], v[49:50], v[22:23]
	v_add_co_u32 v22, vcc_lo, s14, v83
	v_add_co_ci_u32_e64 v23, null, s15, v84, vcc_lo
	v_fma_f64 v[83:84], -v[37:38], v[49:50], v[18:19]
	v_lshlrev_b64 v[18:19], 4, v[26:27]
	v_add_nc_u32_e32 v26, -10, v24
	global_load_dwordx4 v[31:34], v[85:86], off
	v_fma_f64 v[85:86], v[35:36], v[49:50], v[20:21]
	v_add_co_u32 v20, vcc_lo, s12, v16
	v_lshlrev_b64 v[35:36], 4, v[26:27]
	v_add_nc_u32_e32 v26, 4, v79
	v_fma_f64 v[89:90], v[39:40], v[49:50], v[13:14]
	v_add_co_ci_u32_e64 v21, null, s13, v17, vcc_lo
	v_add_co_u32 v37, vcc_lo, s12, v18
	v_lshlrev_b64 v[39:40], 4, v[26:27]
	v_add_co_ci_u32_e64 v38, null, s13, v19, vcc_lo
	v_add_co_u32 v35, vcc_lo, s12, v35
	v_add_co_ci_u32_e64 v36, null, s13, v36, vcc_lo
	v_add_co_u32 v39, vcc_lo, s14, v39
	v_add_co_ci_u32_e64 v40, null, s15, v40, vcc_lo
	global_load_dwordx4 v[16:19], v[22:23], off
	v_fma_f64 v[79:80], -v[41:42], v[49:50], v[11:12]
	global_load_dwordx4 v[11:14], v[20:21], off
	s_waitcnt vmcnt(9)
	v_fma_f64 v[28:29], v[43:44], v[51:52], v[28:29]
	global_load_dwordx4 v[39:42], v[39:40], off
	global_load_dwordx4 v[20:23], v[37:38], off
	v_fma_f64 v[37:38], v[45:46], v[51:52], v[87:88]
	v_add_nc_u32_e32 v26, -5, v24
	v_add_nc_u32_e32 v24, 0x1e0, v24
	v_lshlrev_b64 v[25:26], 4, v[26:27]
	v_add_co_u32 v25, vcc_lo, s12, v25
	v_add_co_ci_u32_e64 v26, null, s13, v26, vcc_lo
	v_cmp_ge_i32_e32 vcc_lo, v10, v30
	v_fma_f64 v[28:29], -v[45:46], v[53:54], v[28:29]
	s_waitcnt vmcnt(10)
	v_fma_f64 v[45:46], v[57:58], v[51:52], v[85:86]
	s_or_b32 s0, vcc_lo, s0
	v_fma_f64 v[87:88], v[43:44], v[53:54], v[37:38]
	v_fma_f64 v[43:44], v[55:56], v[51:52], v[83:84]
	global_load_dwordx4 v[35:38], v[35:36], off
	s_waitcnt vmcnt(8)
	v_fma_f64 v[28:29], v[63:64], v[67:68], v[28:29]
	v_fma_f64 v[55:56], v[55:56], v[53:54], v[45:46]
	v_fma_f64 v[57:58], -v[57:58], v[53:54], v[43:44]
	s_clause 0x1
	global_load_dwordx4 v[43:46], v[25:26], off
	global_load_dwordx4 v[47:50], v[81:82], off
	v_fma_f64 v[25:26], v[59:60], v[51:52], v[79:80]
	v_fma_f64 v[51:52], v[61:62], v[51:52], v[89:90]
	v_fma_f64 v[28:29], -v[65:66], v[69:70], v[28:29]
	s_waitcnt vmcnt(9)
	v_fma_f64 v[55:56], v[73:74], v[67:68], v[55:56]
	v_fma_f64 v[57:58], v[71:72], v[67:68], v[57:58]
	v_fma_f64 v[25:26], -v[61:62], v[53:54], v[25:26]
	v_fma_f64 v[51:52], v[59:60], v[53:54], v[51:52]
	v_fma_f64 v[53:54], v[65:66], v[67:68], v[87:88]
	;; [unrolled: 1-line block ×3, first 2 shown]
	v_fma_f64 v[57:58], -v[73:74], v[69:70], v[57:58]
	s_waitcnt vmcnt(8)
	v_fma_f64 v[25:26], v[75:76], v[67:68], v[25:26]
	v_fma_f64 v[51:52], v[77:78], v[67:68], v[51:52]
	;; [unrolled: 1-line block ×3, first 2 shown]
	v_fma_f64 v[25:26], -v[77:78], v[69:70], v[25:26]
	v_fma_f64 v[51:52], v[75:76], v[69:70], v[51:52]
	s_waitcnt vmcnt(6)
	v_fma_f64 v[28:29], v[31:32], v[16:17], v[28:29]
	v_fma_f64 v[53:54], v[33:34], v[16:17], v[53:54]
	s_waitcnt vmcnt(5)
	v_fma_f64 v[57:58], v[11:12], v[16:17], v[57:58]
	;; [unrolled: 3-line block ×3, first 2 shown]
	v_fma_f64 v[15:16], v[22:23], v[16:17], v[51:52]
	v_fma_f64 v[28:29], -v[33:34], v[18:19], v[28:29]
	v_fma_f64 v[31:32], v[31:32], v[18:19], v[53:54]
	v_fma_f64 v[13:14], -v[13:14], v[18:19], v[57:58]
	;; [unrolled: 2-line block ×3, first 2 shown]
	v_fma_f64 v[15:16], v[20:21], v[18:19], v[15:16]
	s_waitcnt vmcnt(2)
	v_fma_f64 v[17:18], v[35:36], v[39:40], v[28:29]
	v_fma_f64 v[19:20], v[37:38], v[39:40], v[31:32]
	s_waitcnt vmcnt(1)
	v_fma_f64 v[13:14], v[43:44], v[39:40], v[13:14]
	;; [unrolled: 3-line block ×3, first 2 shown]
	v_fma_f64 v[28:29], v[49:50], v[39:40], v[15:16]
	v_fma_f64 v[22:23], -v[37:38], v[41:42], v[17:18]
	v_fma_f64 v[16:17], v[35:36], v[41:42], v[19:20]
	v_fma_f64 v[18:19], -v[45:46], v[41:42], v[13:14]
	;; [unrolled: 2-line block ×3, first 2 shown]
	v_fma_f64 v[14:15], v[47:48], v[41:42], v[28:29]
	s_andn2_b32 exec_lo, exec_lo, s0
	s_cbranch_execnz .LBB129_13
; %bb.14:
	s_or_b32 exec_lo, exec_lo, s0
.LBB129_15:
	s_or_b32 exec_lo, exec_lo, s1
.LBB129_16:
	v_mbcnt_lo_u32_b32 v36, -1, 0
	v_xor_b32_e32 v10, 16, v36
	v_xor_b32_e32 v34, 2, v36
	v_cmp_gt_i32_e32 vcc_lo, 32, v10
	v_cndmask_b32_e32 v10, v36, v10, vcc_lo
	v_lshlrev_b32_e32 v33, 2, v10
	ds_bpermute_b32 v10, v33, v22
	ds_bpermute_b32 v11, v33, v23
	;; [unrolled: 1-line block ×12, first 2 shown]
	s_waitcnt lgkmcnt(10)
	v_add_f64 v[10:11], v[22:23], v[10:11]
	v_xor_b32_e32 v22, 8, v36
	s_waitcnt lgkmcnt(8)
	v_add_f64 v[16:17], v[16:17], v[24:25]
	s_waitcnt lgkmcnt(6)
	v_add_f64 v[18:19], v[18:19], v[26:27]
	;; [unrolled: 2-line block ×3, first 2 shown]
	v_cmp_gt_i32_e32 vcc_lo, 32, v22
	s_waitcnt lgkmcnt(2)
	v_add_f64 v[12:13], v[12:13], v[30:31]
	s_waitcnt lgkmcnt(0)
	v_add_f64 v[14:15], v[14:15], v[32:33]
	v_cndmask_b32_e32 v22, v36, v22, vcc_lo
	v_lshlrev_b32_e32 v33, 2, v22
	ds_bpermute_b32 v22, v33, v10
	ds_bpermute_b32 v23, v33, v11
	;; [unrolled: 1-line block ×12, first 2 shown]
	s_waitcnt lgkmcnt(10)
	v_add_f64 v[10:11], v[10:11], v[22:23]
	v_xor_b32_e32 v22, 4, v36
	s_waitcnt lgkmcnt(8)
	v_add_f64 v[16:17], v[16:17], v[24:25]
	s_waitcnt lgkmcnt(6)
	v_add_f64 v[18:19], v[18:19], v[26:27]
	;; [unrolled: 2-line block ×3, first 2 shown]
	v_cmp_gt_i32_e32 vcc_lo, 32, v22
	s_waitcnt lgkmcnt(2)
	v_add_f64 v[12:13], v[12:13], v[30:31]
	s_waitcnt lgkmcnt(0)
	v_add_f64 v[14:15], v[14:15], v[32:33]
	v_cndmask_b32_e32 v22, v36, v22, vcc_lo
	v_cmp_gt_i32_e32 vcc_lo, 32, v34
	v_lshlrev_b32_e32 v33, 2, v22
	ds_bpermute_b32 v22, v33, v10
	ds_bpermute_b32 v23, v33, v11
	;; [unrolled: 1-line block ×12, first 2 shown]
	s_waitcnt lgkmcnt(10)
	v_add_f64 v[10:11], v[10:11], v[22:23]
	s_waitcnt lgkmcnt(8)
	v_add_f64 v[16:17], v[16:17], v[24:25]
	;; [unrolled: 2-line block ×5, first 2 shown]
	v_cndmask_b32_e32 v12, v36, v34, vcc_lo
	s_waitcnt lgkmcnt(0)
	v_add_f64 v[26:27], v[14:15], v[32:33]
	v_lshlrev_b32_e32 v20, 2, v12
	ds_bpermute_b32 v12, v20, v10
	ds_bpermute_b32 v13, v20, v11
	ds_bpermute_b32 v14, v20, v16
	ds_bpermute_b32 v15, v20, v17
	ds_bpermute_b32 v28, v20, v18
	ds_bpermute_b32 v29, v20, v19
	ds_bpermute_b32 v30, v20, v22
	ds_bpermute_b32 v31, v20, v23
	ds_bpermute_b32 v32, v20, v24
	ds_bpermute_b32 v33, v20, v25
	ds_bpermute_b32 v34, v20, v26
	ds_bpermute_b32 v35, v20, v27
	s_waitcnt lgkmcnt(10)
	v_add_f64 v[10:11], v[10:11], v[12:13]
	s_waitcnt lgkmcnt(8)
	v_add_f64 v[20:21], v[16:17], v[14:15]
	;; [unrolled: 2-line block ×3, first 2 shown]
	v_xor_b32_e32 v28, 1, v36
	s_waitcnt lgkmcnt(4)
	v_add_f64 v[18:19], v[22:23], v[30:31]
	s_waitcnt lgkmcnt(2)
	v_add_f64 v[14:15], v[24:25], v[32:33]
	;; [unrolled: 2-line block ×3, first 2 shown]
	v_cmp_gt_i32_e32 vcc_lo, 32, v28
	v_cndmask_b32_e32 v22, v36, v28, vcc_lo
	v_cmp_eq_u32_e32 vcc_lo, 31, v0
	v_lshlrev_b32_e32 v25, 2, v22
	ds_bpermute_b32 v32, v25, v10
	ds_bpermute_b32 v33, v25, v11
	;; [unrolled: 1-line block ×12, first 2 shown]
	s_and_b32 exec_lo, exec_lo, vcc_lo
	s_cbranch_execz .LBB129_21
; %bb.17:
	v_cmp_eq_f64_e32 vcc_lo, 0, v[5:6]
	v_cmp_eq_f64_e64 s0, 0, v[7:8]
	s_waitcnt lgkmcnt(10)
	v_add_f64 v[10:11], v[10:11], v[32:33]
	s_waitcnt lgkmcnt(8)
	v_add_f64 v[20:21], v[20:21], v[30:31]
	;; [unrolled: 2-line block ×6, first 2 shown]
	s_load_dwordx2 s[2:3], s[4:5], 0x48
	s_and_b32 s0, vcc_lo, s0
	s_and_saveexec_b32 s1, s0
	s_xor_b32 s0, exec_lo, s1
	s_cbranch_execz .LBB129_19
; %bb.18:
	v_mul_f64 v[5:6], v[20:21], -v[3:4]
	v_mul_f64 v[7:8], v[1:2], v[20:21]
	v_mul_f64 v[20:21], v[18:19], -v[3:4]
	v_mul_f64 v[18:19], v[1:2], v[18:19]
	;; [unrolled: 2-line block ×3, first 2 shown]
	v_lshl_add_u32 v24, v9, 1, v9
	v_ashrrev_i32_e32 v25, 31, v24
	v_fma_f64 v[5:6], v[1:2], v[10:11], v[5:6]
	v_fma_f64 v[7:8], v[3:4], v[10:11], v[7:8]
	;; [unrolled: 1-line block ×6, first 2 shown]
	v_lshlrev_b64 v[13:14], 4, v[24:25]
                                        ; implicit-def: $vgpr20_vgpr21
                                        ; implicit-def: $vgpr18_vgpr19
                                        ; implicit-def: $vgpr16_vgpr17
	s_waitcnt lgkmcnt(0)
	v_add_co_u32 v13, vcc_lo, s2, v13
	v_add_co_ci_u32_e64 v14, null, s3, v14, vcc_lo
	global_store_dwordx4 v[13:14], v[5:8], off
	global_store_dwordx4 v[13:14], v[9:12], off offset:16
	global_store_dwordx4 v[13:14], v[0:3], off offset:32
                                        ; implicit-def: $vgpr9
                                        ; implicit-def: $vgpr10_vgpr11
                                        ; implicit-def: $vgpr12_vgpr13
                                        ; implicit-def: $vgpr14_vgpr15
                                        ; implicit-def: $vgpr7_vgpr8
                                        ; implicit-def: $vgpr3_vgpr4
.LBB129_19:
	s_andn2_saveexec_b32 s0, s0
	s_cbranch_execz .LBB129_21
; %bb.20:
	v_lshl_add_u32 v22, v9, 1, v9
	v_mul_f64 v[36:37], v[20:21], -v[3:4]
	v_mul_f64 v[20:21], v[1:2], v[20:21]
	v_mul_f64 v[38:39], v[18:19], -v[3:4]
	v_mul_f64 v[18:19], v[1:2], v[18:19]
	v_ashrrev_i32_e32 v23, 31, v22
	v_mul_f64 v[40:41], v[16:17], -v[3:4]
	v_mul_f64 v[16:17], v[1:2], v[16:17]
	v_lshlrev_b64 v[22:23], 4, v[22:23]
	s_waitcnt lgkmcnt(0)
	v_add_co_u32 v34, vcc_lo, s2, v22
	v_add_co_ci_u32_e64 v35, null, s3, v23, vcc_lo
	s_clause 0x2
	global_load_dwordx4 v[22:25], v[34:35], off
	global_load_dwordx4 v[26:29], v[34:35], off offset:16
	global_load_dwordx4 v[30:33], v[34:35], off offset:32
	v_fma_f64 v[36:37], v[1:2], v[10:11], v[36:37]
	v_fma_f64 v[9:10], v[3:4], v[10:11], v[20:21]
	;; [unrolled: 1-line block ×6, first 2 shown]
	s_waitcnt vmcnt(2)
	v_fma_f64 v[13:14], v[5:6], v[22:23], v[36:37]
	v_fma_f64 v[9:10], v[7:8], v[22:23], v[9:10]
	s_waitcnt vmcnt(1)
	v_fma_f64 v[15:16], v[5:6], v[26:27], v[20:21]
	v_fma_f64 v[11:12], v[7:8], v[26:27], v[11:12]
	;; [unrolled: 3-line block ×3, first 2 shown]
	v_fma_f64 v[0:1], -v[7:8], v[24:25], v[13:14]
	v_fma_f64 v[2:3], v[5:6], v[24:25], v[9:10]
	v_fma_f64 v[9:10], -v[7:8], v[28:29], v[15:16]
	v_fma_f64 v[11:12], v[5:6], v[28:29], v[11:12]
	;; [unrolled: 2-line block ×3, first 2 shown]
	global_store_dwordx4 v[34:35], v[0:3], off
	global_store_dwordx4 v[34:35], v[9:12], off offset:16
	global_store_dwordx4 v[34:35], v[13:16], off offset:32
.LBB129_21:
	s_endpgm
	.section	.rodata,"a",@progbits
	.p2align	6, 0x0
	.amdhsa_kernel _ZN9rocsparseL19gebsrmvn_3xn_kernelILj128ELj5ELj32E21rocsparse_complex_numIdEEEvi20rocsparse_direction_NS_24const_host_device_scalarIT2_EEPKiS8_PKS5_SA_S6_PS5_21rocsparse_index_base_b
		.amdhsa_group_segment_fixed_size 0
		.amdhsa_private_segment_fixed_size 0
		.amdhsa_kernarg_size 88
		.amdhsa_user_sgpr_count 6
		.amdhsa_user_sgpr_private_segment_buffer 1
		.amdhsa_user_sgpr_dispatch_ptr 0
		.amdhsa_user_sgpr_queue_ptr 0
		.amdhsa_user_sgpr_kernarg_segment_ptr 1
		.amdhsa_user_sgpr_dispatch_id 0
		.amdhsa_user_sgpr_flat_scratch_init 0
		.amdhsa_user_sgpr_private_segment_size 0
		.amdhsa_wavefront_size32 1
		.amdhsa_uses_dynamic_stack 0
		.amdhsa_system_sgpr_private_segment_wavefront_offset 0
		.amdhsa_system_sgpr_workgroup_id_x 1
		.amdhsa_system_sgpr_workgroup_id_y 0
		.amdhsa_system_sgpr_workgroup_id_z 0
		.amdhsa_system_sgpr_workgroup_info 0
		.amdhsa_system_vgpr_workitem_id 0
		.amdhsa_next_free_vgpr 104
		.amdhsa_next_free_sgpr 16
		.amdhsa_reserve_vcc 1
		.amdhsa_reserve_flat_scratch 0
		.amdhsa_float_round_mode_32 0
		.amdhsa_float_round_mode_16_64 0
		.amdhsa_float_denorm_mode_32 3
		.amdhsa_float_denorm_mode_16_64 3
		.amdhsa_dx10_clamp 1
		.amdhsa_ieee_mode 1
		.amdhsa_fp16_overflow 0
		.amdhsa_workgroup_processor_mode 1
		.amdhsa_memory_ordered 1
		.amdhsa_forward_progress 1
		.amdhsa_shared_vgpr_count 0
		.amdhsa_exception_fp_ieee_invalid_op 0
		.amdhsa_exception_fp_denorm_src 0
		.amdhsa_exception_fp_ieee_div_zero 0
		.amdhsa_exception_fp_ieee_overflow 0
		.amdhsa_exception_fp_ieee_underflow 0
		.amdhsa_exception_fp_ieee_inexact 0
		.amdhsa_exception_int_div_zero 0
	.end_amdhsa_kernel
	.section	.text._ZN9rocsparseL19gebsrmvn_3xn_kernelILj128ELj5ELj32E21rocsparse_complex_numIdEEEvi20rocsparse_direction_NS_24const_host_device_scalarIT2_EEPKiS8_PKS5_SA_S6_PS5_21rocsparse_index_base_b,"axG",@progbits,_ZN9rocsparseL19gebsrmvn_3xn_kernelILj128ELj5ELj32E21rocsparse_complex_numIdEEEvi20rocsparse_direction_NS_24const_host_device_scalarIT2_EEPKiS8_PKS5_SA_S6_PS5_21rocsparse_index_base_b,comdat
.Lfunc_end129:
	.size	_ZN9rocsparseL19gebsrmvn_3xn_kernelILj128ELj5ELj32E21rocsparse_complex_numIdEEEvi20rocsparse_direction_NS_24const_host_device_scalarIT2_EEPKiS8_PKS5_SA_S6_PS5_21rocsparse_index_base_b, .Lfunc_end129-_ZN9rocsparseL19gebsrmvn_3xn_kernelILj128ELj5ELj32E21rocsparse_complex_numIdEEEvi20rocsparse_direction_NS_24const_host_device_scalarIT2_EEPKiS8_PKS5_SA_S6_PS5_21rocsparse_index_base_b
                                        ; -- End function
	.set _ZN9rocsparseL19gebsrmvn_3xn_kernelILj128ELj5ELj32E21rocsparse_complex_numIdEEEvi20rocsparse_direction_NS_24const_host_device_scalarIT2_EEPKiS8_PKS5_SA_S6_PS5_21rocsparse_index_base_b.num_vgpr, 104
	.set _ZN9rocsparseL19gebsrmvn_3xn_kernelILj128ELj5ELj32E21rocsparse_complex_numIdEEEvi20rocsparse_direction_NS_24const_host_device_scalarIT2_EEPKiS8_PKS5_SA_S6_PS5_21rocsparse_index_base_b.num_agpr, 0
	.set _ZN9rocsparseL19gebsrmvn_3xn_kernelILj128ELj5ELj32E21rocsparse_complex_numIdEEEvi20rocsparse_direction_NS_24const_host_device_scalarIT2_EEPKiS8_PKS5_SA_S6_PS5_21rocsparse_index_base_b.numbered_sgpr, 16
	.set _ZN9rocsparseL19gebsrmvn_3xn_kernelILj128ELj5ELj32E21rocsparse_complex_numIdEEEvi20rocsparse_direction_NS_24const_host_device_scalarIT2_EEPKiS8_PKS5_SA_S6_PS5_21rocsparse_index_base_b.num_named_barrier, 0
	.set _ZN9rocsparseL19gebsrmvn_3xn_kernelILj128ELj5ELj32E21rocsparse_complex_numIdEEEvi20rocsparse_direction_NS_24const_host_device_scalarIT2_EEPKiS8_PKS5_SA_S6_PS5_21rocsparse_index_base_b.private_seg_size, 0
	.set _ZN9rocsparseL19gebsrmvn_3xn_kernelILj128ELj5ELj32E21rocsparse_complex_numIdEEEvi20rocsparse_direction_NS_24const_host_device_scalarIT2_EEPKiS8_PKS5_SA_S6_PS5_21rocsparse_index_base_b.uses_vcc, 1
	.set _ZN9rocsparseL19gebsrmvn_3xn_kernelILj128ELj5ELj32E21rocsparse_complex_numIdEEEvi20rocsparse_direction_NS_24const_host_device_scalarIT2_EEPKiS8_PKS5_SA_S6_PS5_21rocsparse_index_base_b.uses_flat_scratch, 0
	.set _ZN9rocsparseL19gebsrmvn_3xn_kernelILj128ELj5ELj32E21rocsparse_complex_numIdEEEvi20rocsparse_direction_NS_24const_host_device_scalarIT2_EEPKiS8_PKS5_SA_S6_PS5_21rocsparse_index_base_b.has_dyn_sized_stack, 0
	.set _ZN9rocsparseL19gebsrmvn_3xn_kernelILj128ELj5ELj32E21rocsparse_complex_numIdEEEvi20rocsparse_direction_NS_24const_host_device_scalarIT2_EEPKiS8_PKS5_SA_S6_PS5_21rocsparse_index_base_b.has_recursion, 0
	.set _ZN9rocsparseL19gebsrmvn_3xn_kernelILj128ELj5ELj32E21rocsparse_complex_numIdEEEvi20rocsparse_direction_NS_24const_host_device_scalarIT2_EEPKiS8_PKS5_SA_S6_PS5_21rocsparse_index_base_b.has_indirect_call, 0
	.section	.AMDGPU.csdata,"",@progbits
; Kernel info:
; codeLenInByte = 4684
; TotalNumSgprs: 18
; NumVgprs: 104
; ScratchSize: 0
; MemoryBound: 0
; FloatMode: 240
; IeeeMode: 1
; LDSByteSize: 0 bytes/workgroup (compile time only)
; SGPRBlocks: 0
; VGPRBlocks: 12
; NumSGPRsForWavesPerEU: 18
; NumVGPRsForWavesPerEU: 104
; Occupancy: 9
; WaveLimiterHint : 1
; COMPUTE_PGM_RSRC2:SCRATCH_EN: 0
; COMPUTE_PGM_RSRC2:USER_SGPR: 6
; COMPUTE_PGM_RSRC2:TRAP_HANDLER: 0
; COMPUTE_PGM_RSRC2:TGID_X_EN: 1
; COMPUTE_PGM_RSRC2:TGID_Y_EN: 0
; COMPUTE_PGM_RSRC2:TGID_Z_EN: 0
; COMPUTE_PGM_RSRC2:TIDIG_COMP_CNT: 0
	.section	.text._ZN9rocsparseL19gebsrmvn_3xn_kernelILj128ELj5ELj64E21rocsparse_complex_numIdEEEvi20rocsparse_direction_NS_24const_host_device_scalarIT2_EEPKiS8_PKS5_SA_S6_PS5_21rocsparse_index_base_b,"axG",@progbits,_ZN9rocsparseL19gebsrmvn_3xn_kernelILj128ELj5ELj64E21rocsparse_complex_numIdEEEvi20rocsparse_direction_NS_24const_host_device_scalarIT2_EEPKiS8_PKS5_SA_S6_PS5_21rocsparse_index_base_b,comdat
	.globl	_ZN9rocsparseL19gebsrmvn_3xn_kernelILj128ELj5ELj64E21rocsparse_complex_numIdEEEvi20rocsparse_direction_NS_24const_host_device_scalarIT2_EEPKiS8_PKS5_SA_S6_PS5_21rocsparse_index_base_b ; -- Begin function _ZN9rocsparseL19gebsrmvn_3xn_kernelILj128ELj5ELj64E21rocsparse_complex_numIdEEEvi20rocsparse_direction_NS_24const_host_device_scalarIT2_EEPKiS8_PKS5_SA_S6_PS5_21rocsparse_index_base_b
	.p2align	8
	.type	_ZN9rocsparseL19gebsrmvn_3xn_kernelILj128ELj5ELj64E21rocsparse_complex_numIdEEEvi20rocsparse_direction_NS_24const_host_device_scalarIT2_EEPKiS8_PKS5_SA_S6_PS5_21rocsparse_index_base_b,@function
_ZN9rocsparseL19gebsrmvn_3xn_kernelILj128ELj5ELj64E21rocsparse_complex_numIdEEEvi20rocsparse_direction_NS_24const_host_device_scalarIT2_EEPKiS8_PKS5_SA_S6_PS5_21rocsparse_index_base_b: ; @_ZN9rocsparseL19gebsrmvn_3xn_kernelILj128ELj5ELj64E21rocsparse_complex_numIdEEEvi20rocsparse_direction_NS_24const_host_device_scalarIT2_EEPKiS8_PKS5_SA_S6_PS5_21rocsparse_index_base_b
; %bb.0:
	s_clause 0x1
	s_load_dwordx2 s[2:3], s[4:5], 0x50
	s_load_dwordx2 s[0:1], s[4:5], 0x8
	s_add_u32 s7, s4, 8
	s_addc_u32 s10, s5, 0
	s_add_u32 s11, s4, 56
	s_addc_u32 s12, s5, 0
	s_load_dwordx2 s[8:9], s[4:5], 0x38
	s_waitcnt lgkmcnt(0)
	s_bitcmp1_b32 s3, 0
	s_cselect_b32 s0, s7, s0
	s_cselect_b32 s1, s10, s1
	v_mov_b32_e32 v1, s0
	v_mov_b32_e32 v2, s1
	s_cselect_b32 s0, s11, s8
	s_cselect_b32 s1, s12, s9
	v_mov_b32_e32 v5, s0
	v_mov_b32_e32 v6, s1
	flat_load_dwordx4 v[1:4], v[1:2]
	flat_load_dwordx4 v[5:8], v[5:6]
	s_waitcnt vmcnt(1) lgkmcnt(1)
	v_cmp_eq_f64_e32 vcc_lo, 0, v[1:2]
	v_cmp_eq_f64_e64 s0, 0, v[3:4]
	s_and_b32 s3, vcc_lo, s0
	s_mov_b32 s0, -1
	s_and_saveexec_b32 s1, s3
	s_cbranch_execz .LBB130_2
; %bb.1:
	s_waitcnt vmcnt(0) lgkmcnt(0)
	v_cmp_neq_f64_e32 vcc_lo, 1.0, v[5:6]
	v_cmp_neq_f64_e64 s0, 0, v[7:8]
	s_or_b32 s0, vcc_lo, s0
	s_orn2_b32 s0, s0, exec_lo
.LBB130_2:
	s_or_b32 exec_lo, exec_lo, s1
	s_and_saveexec_b32 s1, s0
	s_cbranch_execz .LBB130_21
; %bb.3:
	s_load_dwordx2 s[0:1], s[4:5], 0x0
	v_lshrrev_b32_e32 v9, 6, v0
	v_lshl_or_b32 v9, s6, 1, v9
	s_waitcnt lgkmcnt(0)
	v_cmp_gt_i32_e32 vcc_lo, s0, v9
	s_and_b32 exec_lo, exec_lo, vcc_lo
	s_cbranch_execz .LBB130_21
; %bb.4:
	s_load_dwordx8 s[8:15], s[4:5], 0x18
	v_ashrrev_i32_e32 v10, 31, v9
	v_and_b32_e32 v0, 63, v0
	s_cmp_lg_u32 s1, 0
	v_lshlrev_b64 v[10:11], 2, v[9:10]
	s_waitcnt lgkmcnt(0)
	v_add_co_u32 v10, vcc_lo, s8, v10
	v_add_co_ci_u32_e64 v11, null, s9, v11, vcc_lo
	global_load_dwordx2 v[10:11], v[10:11], off
	s_waitcnt vmcnt(0)
	v_subrev_nc_u32_e32 v10, s2, v10
	v_subrev_nc_u32_e32 v30, s2, v11
	v_add_nc_u32_e32 v14, v10, v0
	v_cmp_lt_i32_e64 s0, v14, v30
	s_cbranch_scc0 .LBB130_10
; %bb.5:
	v_mov_b32_e32 v16, 0
	v_mov_b32_e32 v22, 0
	;; [unrolled: 1-line block ×12, first 2 shown]
	s_and_saveexec_b32 s1, s0
	s_cbranch_execz .LBB130_9
; %bb.6:
	v_mad_u64_u32 v[24:25], null, v14, 15, 14
	v_mov_b32_e32 v16, 0
	v_mov_b32_e32 v22, 0
	;; [unrolled: 1-line block ×14, first 2 shown]
	s_mov_b32 s3, 0
.LBB130_7:                              ; =>This Inner Loop Header: Depth=1
	v_ashrrev_i32_e32 v29, 31, v28
	v_mov_b32_e32 v92, v27
	v_lshlrev_b64 v[25:26], 2, v[28:29]
	v_add_nc_u32_e32 v28, 64, v28
	v_add_co_u32 v25, vcc_lo, s10, v25
	v_add_co_ci_u32_e64 v26, null, s11, v26, vcc_lo
	global_load_dword v15, v[25:26], off
	v_add_nc_u32_e32 v26, -14, v24
	v_mov_b32_e32 v25, v27
	v_lshlrev_b64 v[31:32], 4, v[26:27]
	v_add_nc_u32_e32 v26, -13, v24
	v_lshlrev_b64 v[33:34], 4, v[24:25]
	v_lshlrev_b64 v[35:36], 4, v[26:27]
	v_add_nc_u32_e32 v26, -12, v24
	v_add_co_u32 v31, vcc_lo, s12, v31
	v_add_co_ci_u32_e64 v32, null, s13, v32, vcc_lo
	v_lshlrev_b64 v[39:40], 4, v[26:27]
	v_add_co_u32 v37, vcc_lo, s12, v33
	v_add_co_ci_u32_e64 v38, null, s13, v34, vcc_lo
	v_add_co_u32 v41, vcc_lo, s12, v35
	v_add_co_ci_u32_e64 v42, null, s13, v36, vcc_lo
	;; [unrolled: 2-line block ×3, first 2 shown]
	s_clause 0x3
	global_load_dwordx4 v[31:34], v[31:32], off
	global_load_dwordx4 v[35:38], v[37:38], off
	;; [unrolled: 1-line block ×4, first 2 shown]
	v_add_nc_u32_e32 v26, -11, v24
	v_lshlrev_b64 v[25:26], 4, v[26:27]
	s_waitcnt vmcnt(4)
	v_subrev_nc_u32_e32 v15, s2, v15
	v_lshl_add_u32 v91, v15, 2, v15
	v_lshlrev_b64 v[47:48], 4, v[91:92]
	v_add_co_u32 v47, vcc_lo, s14, v47
	v_add_co_ci_u32_e64 v48, null, s15, v48, vcc_lo
	v_add_co_u32 v25, vcc_lo, s12, v25
	v_add_co_ci_u32_e64 v26, null, s13, v26, vcc_lo
	global_load_dwordx4 v[47:50], v[47:48], off
	global_load_dwordx4 v[51:54], v[25:26], off
	v_add_nc_u32_e32 v26, 1, v91
	v_lshlrev_b64 v[55:56], 4, v[26:27]
	v_add_nc_u32_e32 v26, -10, v24
	v_lshlrev_b64 v[59:60], 4, v[26:27]
	v_add_nc_u32_e32 v26, -9, v24
	v_add_co_u32 v55, vcc_lo, s14, v55
	v_add_co_ci_u32_e64 v56, null, s15, v56, vcc_lo
	v_lshlrev_b64 v[61:62], 4, v[26:27]
	v_add_co_u32 v59, vcc_lo, s12, v59
	v_add_co_ci_u32_e64 v60, null, s13, v60, vcc_lo
	global_load_dwordx4 v[55:58], v[55:56], off
	v_add_co_u32 v63, vcc_lo, s12, v61
	v_add_co_ci_u32_e64 v64, null, s13, v62, vcc_lo
	s_clause 0x1
	global_load_dwordx4 v[59:62], v[59:60], off
	global_load_dwordx4 v[63:66], v[63:64], off
	v_add_nc_u32_e32 v26, -8, v24
	v_lshlrev_b64 v[67:68], 4, v[26:27]
	v_add_nc_u32_e32 v26, 2, v91
	v_lshlrev_b64 v[71:72], 4, v[26:27]
	v_add_nc_u32_e32 v26, -7, v24
	v_add_co_u32 v67, vcc_lo, s12, v67
	v_add_co_ci_u32_e64 v68, null, s13, v68, vcc_lo
	v_lshlrev_b64 v[73:74], 4, v[26:27]
	v_add_nc_u32_e32 v26, -6, v24
	v_add_co_u32 v71, vcc_lo, s14, v71
	v_add_co_ci_u32_e64 v72, null, s15, v72, vcc_lo
	;; [unrolled: 4-line block ×3, first 2 shown]
	v_lshlrev_b64 v[79:80], 4, v[26:27]
	v_add_co_u32 v81, vcc_lo, s12, v75
	v_add_co_ci_u32_e64 v82, null, s13, v76, vcc_lo
	global_load_dwordx4 v[67:70], v[67:68], off
	v_add_co_u32 v85, vcc_lo, s12, v79
	global_load_dwordx4 v[71:74], v[71:72], off
	global_load_dwordx4 v[75:78], v[77:78], off
	v_add_co_ci_u32_e64 v86, null, s13, v80, vcc_lo
	global_load_dwordx4 v[79:82], v[81:82], off
	v_add_nc_u32_e32 v26, 3, v91
	v_lshlrev_b64 v[83:84], 4, v[26:27]
	v_add_nc_u32_e32 v26, -4, v24
	v_lshlrev_b64 v[87:88], 4, v[26:27]
	v_add_nc_u32_e32 v26, -3, v24
	v_add_co_u32 v89, vcc_lo, s14, v83
	v_add_co_ci_u32_e64 v90, null, s15, v84, vcc_lo
	v_lshlrev_b64 v[92:93], 4, v[26:27]
	v_add_nc_u32_e32 v26, -2, v24
	v_add_co_u32 v94, vcc_lo, s12, v87
	v_add_co_ci_u32_e64 v95, null, s13, v88, vcc_lo
	v_lshlrev_b64 v[96:97], 4, v[26:27]
	v_add_co_u32 v98, vcc_lo, s12, v92
	v_add_co_ci_u32_e64 v99, null, s13, v93, vcc_lo
	global_load_dwordx4 v[83:86], v[85:86], off
	v_add_co_u32 v102, vcc_lo, s12, v96
	v_add_co_ci_u32_e64 v103, null, s13, v97, vcc_lo
	global_load_dwordx4 v[87:90], v[89:90], off
	v_add_nc_u32_e32 v26, 4, v91
	global_load_dwordx4 v[91:94], v[94:95], off
	v_lshlrev_b64 v[100:101], 4, v[26:27]
	v_add_nc_u32_e32 v26, -1, v24
	v_add_nc_u32_e32 v24, 0x3c0, v24
	v_lshlrev_b64 v[25:26], 4, v[26:27]
	s_waitcnt vmcnt(11)
	v_fma_f64 v[22:23], v[31:32], v[47:48], v[22:23]
	v_fma_f64 v[15:16], v[33:34], v[47:48], v[16:17]
	;; [unrolled: 1-line block ×6, first 2 shown]
	v_fma_f64 v[22:23], -v[33:34], v[49:50], v[22:23]
	v_fma_f64 v[15:16], v[31:32], v[49:50], v[15:16]
	s_clause 0x1
	global_load_dwordx4 v[31:34], v[102:103], off
	global_load_dwordx4 v[95:98], v[98:99], off
	v_add_co_u32 v99, vcc_lo, s14, v100
	v_add_co_ci_u32_e64 v100, null, s15, v101, vcc_lo
	v_add_co_u32 v25, vcc_lo, s12, v25
	v_add_co_ci_u32_e64 v26, null, s13, v26, vcc_lo
	v_fma_f64 v[17:18], -v[41:42], v[49:50], v[17:18]
	v_fma_f64 v[19:20], v[39:40], v[49:50], v[19:20]
	global_load_dwordx4 v[39:42], v[99:100], off
	global_load_dwordx4 v[99:102], v[25:26], off
	v_fma_f64 v[10:11], -v[45:46], v[49:50], v[10:11]
	v_fma_f64 v[12:13], v[43:44], v[49:50], v[12:13]
	v_cmp_ge_i32_e32 vcc_lo, v28, v30
	s_or_b32 s3, vcc_lo, s3
	s_waitcnt vmcnt(13)
	v_fma_f64 v[21:22], v[51:52], v[55:56], v[22:23]
	v_fma_f64 v[15:16], v[53:54], v[55:56], v[15:16]
	s_waitcnt vmcnt(12)
	v_fma_f64 v[17:18], v[59:60], v[55:56], v[17:18]
	v_fma_f64 v[19:20], v[61:62], v[55:56], v[19:20]
	;; [unrolled: 3-line block ×3, first 2 shown]
	v_fma_f64 v[21:22], -v[53:54], v[57:58], v[21:22]
	v_fma_f64 v[15:16], v[51:52], v[57:58], v[15:16]
	v_fma_f64 v[17:18], -v[61:62], v[57:58], v[17:18]
	v_fma_f64 v[19:20], v[59:60], v[57:58], v[19:20]
	;; [unrolled: 2-line block ×3, first 2 shown]
	s_waitcnt vmcnt(9)
	v_fma_f64 v[21:22], v[67:68], v[71:72], v[21:22]
	v_fma_f64 v[15:16], v[69:70], v[71:72], v[15:16]
	s_waitcnt vmcnt(8)
	v_fma_f64 v[17:18], v[75:76], v[71:72], v[17:18]
	v_fma_f64 v[19:20], v[77:78], v[71:72], v[19:20]
	;; [unrolled: 3-line block ×3, first 2 shown]
	v_fma_f64 v[21:22], -v[69:70], v[73:74], v[21:22]
	v_fma_f64 v[15:16], v[67:68], v[73:74], v[15:16]
	v_fma_f64 v[17:18], -v[77:78], v[73:74], v[17:18]
	v_fma_f64 v[19:20], v[75:76], v[73:74], v[19:20]
	;; [unrolled: 2-line block ×3, first 2 shown]
	s_waitcnt vmcnt(5)
	v_fma_f64 v[21:22], v[83:84], v[87:88], v[21:22]
	v_fma_f64 v[15:16], v[85:86], v[87:88], v[15:16]
	s_waitcnt vmcnt(4)
	v_fma_f64 v[17:18], v[91:92], v[87:88], v[17:18]
	v_fma_f64 v[19:20], v[93:94], v[87:88], v[19:20]
	v_fma_f64 v[21:22], -v[85:86], v[89:90], v[21:22]
	v_fma_f64 v[15:16], v[83:84], v[89:90], v[15:16]
	v_fma_f64 v[17:18], -v[93:94], v[89:90], v[17:18]
	v_fma_f64 v[19:20], v[91:92], v[89:90], v[19:20]
	s_waitcnt vmcnt(2)
	v_fma_f64 v[10:11], v[95:96], v[87:88], v[10:11]
	v_fma_f64 v[12:13], v[97:98], v[87:88], v[12:13]
	s_waitcnt vmcnt(1)
	v_fma_f64 v[21:22], v[31:32], v[39:40], v[21:22]
	;; [unrolled: 3-line block ×3, first 2 shown]
	v_fma_f64 v[43:44], v[101:102], v[39:40], v[19:20]
	v_fma_f64 v[10:11], -v[97:98], v[89:90], v[10:11]
	v_fma_f64 v[12:13], v[95:96], v[89:90], v[12:13]
	v_fma_f64 v[22:23], -v[33:34], v[41:42], v[21:22]
	;; [unrolled: 2-line block ×3, first 2 shown]
	v_fma_f64 v[20:21], v[99:100], v[41:42], v[43:44]
	v_fma_f64 v[10:11], v[35:36], v[39:40], v[10:11]
	;; [unrolled: 1-line block ×3, first 2 shown]
	v_fma_f64 v[10:11], -v[37:38], v[41:42], v[10:11]
	v_fma_f64 v[12:13], v[35:36], v[41:42], v[12:13]
	s_andn2_b32 exec_lo, exec_lo, s3
	s_cbranch_execnz .LBB130_7
; %bb.8:
	s_or_b32 exec_lo, exec_lo, s3
.LBB130_9:
	s_or_b32 exec_lo, exec_lo, s1
	s_cbranch_execz .LBB130_11
	s_branch .LBB130_16
.LBB130_10:
                                        ; implicit-def: $vgpr16_vgpr17
                                        ; implicit-def: $vgpr22_vgpr23
                                        ; implicit-def: $vgpr10_vgpr11
                                        ; implicit-def: $vgpr12_vgpr13
                                        ; implicit-def: $vgpr18_vgpr19
                                        ; implicit-def: $vgpr20_vgpr21
.LBB130_11:
	v_mov_b32_e32 v16, 0
	v_mov_b32_e32 v22, 0
	;; [unrolled: 1-line block ×12, first 2 shown]
	s_and_saveexec_b32 s1, s0
	s_cbranch_execz .LBB130_15
; %bb.12:
	v_mad_u64_u32 v[24:25], null, v14, 15, 14
	v_mov_b32_e32 v16, 0
	v_mov_b32_e32 v22, 0
	;; [unrolled: 1-line block ×13, first 2 shown]
	s_mov_b32 s0, 0
.LBB130_13:                             ; =>This Inner Loop Header: Depth=1
	v_ashrrev_i32_e32 v15, 31, v14
	v_add_nc_u32_e32 v26, -14, v24
	v_add_nc_u32_e32 v28, -9, v24
	v_mov_b32_e32 v29, v27
	v_add_nc_u32_e32 v31, -4, v24
	v_lshlrev_b64 v[35:36], 2, v[14:15]
	v_mov_b32_e32 v32, v27
	v_lshlrev_b64 v[33:34], 4, v[26:27]
	v_mov_b32_e32 v25, v27
	v_lshlrev_b64 v[28:29], 4, v[28:29]
	v_add_nc_u32_e32 v26, -13, v24
	v_add_co_u32 v35, vcc_lo, s10, v35
	v_add_co_ci_u32_e64 v36, null, s11, v36, vcc_lo
	v_lshlrev_b64 v[31:32], 4, v[31:32]
	v_lshlrev_b64 v[37:38], 4, v[24:25]
	v_add_co_u32 v33, vcc_lo, s12, v33
	global_load_dword v15, v[35:36], off
	v_lshlrev_b64 v[25:26], 4, v[26:27]
	v_add_co_ci_u32_e64 v34, null, s13, v34, vcc_lo
	v_add_co_u32 v28, vcc_lo, s12, v28
	v_add_co_ci_u32_e64 v29, null, s13, v29, vcc_lo
	v_add_co_u32 v39, vcc_lo, s12, v31
	;; [unrolled: 2-line block ×3, first 2 shown]
	v_mov_b32_e32 v80, v27
	v_add_co_ci_u32_e64 v82, null, s13, v38, vcc_lo
	v_add_co_u32 v25, vcc_lo, s12, v25
	v_add_co_ci_u32_e64 v26, null, s13, v26, vcc_lo
	s_clause 0x3
	global_load_dwordx4 v[31:34], v[33:34], off
	global_load_dwordx4 v[35:38], v[28:29], off
	;; [unrolled: 1-line block ×4, first 2 shown]
	v_add_nc_u32_e32 v14, 64, v14
	s_waitcnt vmcnt(4)
	v_subrev_nc_u32_e32 v15, s2, v15
	v_lshl_add_u32 v79, v15, 2, v15
	v_lshlrev_b64 v[28:29], 4, v[79:80]
	v_add_nc_u32_e32 v26, 1, v79
	v_lshlrev_b64 v[51:52], 4, v[26:27]
	v_add_co_u32 v28, vcc_lo, s14, v28
	v_add_co_ci_u32_e64 v29, null, s15, v29, vcc_lo
	v_add_nc_u32_e32 v26, -8, v24
	global_load_dwordx4 v[47:50], v[28:29], off
	v_add_co_u32 v28, vcc_lo, s14, v51
	v_add_co_ci_u32_e64 v29, null, s15, v52, vcc_lo
	v_lshlrev_b64 v[55:56], 4, v[26:27]
	v_add_nc_u32_e32 v26, -3, v24
	global_load_dwordx4 v[51:54], v[28:29], off
	v_add_co_u32 v28, vcc_lo, s12, v55
	v_add_co_ci_u32_e64 v29, null, s13, v56, vcc_lo
	v_lshlrev_b64 v[59:60], 4, v[26:27]
	v_add_nc_u32_e32 v26, -12, v24
	global_load_dwordx4 v[55:58], v[28:29], off
	v_lshlrev_b64 v[61:62], 4, v[26:27]
	v_add_co_u32 v28, vcc_lo, s12, v59
	v_add_co_ci_u32_e64 v29, null, s13, v60, vcc_lo
	v_add_nc_u32_e32 v26, 2, v79
	v_add_co_u32 v65, vcc_lo, s12, v61
	v_add_co_ci_u32_e64 v66, null, s13, v62, vcc_lo
	global_load_dwordx4 v[59:62], v[28:29], off
	v_lshlrev_b64 v[63:64], 4, v[26:27]
	v_add_nc_u32_e32 v26, -7, v24
	v_add_co_u32 v67, vcc_lo, s14, v63
	v_add_co_ci_u32_e64 v68, null, s15, v64, vcc_lo
	global_load_dwordx4 v[63:66], v[65:66], off
	v_lshlrev_b64 v[28:29], 4, v[26:27]
	v_add_nc_u32_e32 v26, -2, v24
	global_load_dwordx4 v[67:70], v[67:68], off
	v_add_co_u32 v28, vcc_lo, s12, v28
	v_lshlrev_b64 v[75:76], 4, v[26:27]
	v_add_nc_u32_e32 v26, -11, v24
	v_add_co_ci_u32_e64 v29, null, s13, v29, vcc_lo
	v_lshlrev_b64 v[77:78], 4, v[26:27]
	global_load_dwordx4 v[71:74], v[28:29], off
	v_add_co_u32 v28, vcc_lo, s12, v75
	v_add_co_ci_u32_e64 v29, null, s13, v76, vcc_lo
	v_add_co_u32 v85, vcc_lo, s12, v77
	v_add_co_ci_u32_e64 v86, null, s13, v78, vcc_lo
	global_load_dwordx4 v[75:78], v[28:29], off
	v_add_nc_u32_e32 v26, 3, v79
	v_lshlrev_b64 v[83:84], 4, v[26:27]
	v_add_nc_u32_e32 v26, -6, v24
	s_waitcnt vmcnt(7)
	v_fma_f64 v[15:16], v[33:34], v[47:48], v[16:17]
	v_fma_f64 v[22:23], v[31:32], v[47:48], v[22:23]
	;; [unrolled: 1-line block ×7, first 2 shown]
	v_lshlrev_b64 v[15:16], 4, v[26:27]
	v_add_nc_u32_e32 v26, -1, v24
	v_fma_f64 v[28:29], -v[33:34], v[49:50], v[22:23]
	v_add_co_u32 v22, vcc_lo, s14, v83
	v_add_co_ci_u32_e64 v23, null, s15, v84, vcc_lo
	v_fma_f64 v[83:84], -v[37:38], v[49:50], v[17:18]
	v_lshlrev_b64 v[17:18], 4, v[26:27]
	v_add_nc_u32_e32 v26, -10, v24
	global_load_dwordx4 v[31:34], v[85:86], off
	v_fma_f64 v[85:86], v[35:36], v[49:50], v[19:20]
	v_add_co_u32 v19, vcc_lo, s12, v15
	v_lshlrev_b64 v[35:36], 4, v[26:27]
	v_add_nc_u32_e32 v26, 4, v79
	v_fma_f64 v[89:90], v[39:40], v[49:50], v[12:13]
	v_add_co_ci_u32_e64 v20, null, s13, v16, vcc_lo
	v_add_co_u32 v37, vcc_lo, s12, v17
	v_lshlrev_b64 v[39:40], 4, v[26:27]
	v_add_co_ci_u32_e64 v38, null, s13, v18, vcc_lo
	v_add_co_u32 v35, vcc_lo, s12, v35
	v_add_co_ci_u32_e64 v36, null, s13, v36, vcc_lo
	v_add_co_u32 v39, vcc_lo, s14, v39
	v_add_co_ci_u32_e64 v40, null, s15, v40, vcc_lo
	global_load_dwordx4 v[15:18], v[22:23], off
	v_fma_f64 v[79:80], -v[41:42], v[49:50], v[10:11]
	global_load_dwordx4 v[10:13], v[19:20], off
	s_waitcnt vmcnt(9)
	v_fma_f64 v[28:29], v[43:44], v[51:52], v[28:29]
	global_load_dwordx4 v[39:42], v[39:40], off
	global_load_dwordx4 v[19:22], v[37:38], off
	v_fma_f64 v[37:38], v[45:46], v[51:52], v[87:88]
	v_add_nc_u32_e32 v26, -5, v24
	v_add_nc_u32_e32 v24, 0x3c0, v24
	v_lshlrev_b64 v[25:26], 4, v[26:27]
	v_add_co_u32 v25, vcc_lo, s12, v25
	v_add_co_ci_u32_e64 v26, null, s13, v26, vcc_lo
	v_cmp_ge_i32_e32 vcc_lo, v14, v30
	v_fma_f64 v[28:29], -v[45:46], v[53:54], v[28:29]
	s_waitcnt vmcnt(10)
	v_fma_f64 v[45:46], v[57:58], v[51:52], v[85:86]
	s_or_b32 s0, vcc_lo, s0
	v_fma_f64 v[87:88], v[43:44], v[53:54], v[37:38]
	v_fma_f64 v[43:44], v[55:56], v[51:52], v[83:84]
	global_load_dwordx4 v[35:38], v[35:36], off
	s_waitcnt vmcnt(8)
	v_fma_f64 v[28:29], v[63:64], v[67:68], v[28:29]
	v_fma_f64 v[55:56], v[55:56], v[53:54], v[45:46]
	v_fma_f64 v[57:58], -v[57:58], v[53:54], v[43:44]
	s_clause 0x1
	global_load_dwordx4 v[43:46], v[25:26], off
	global_load_dwordx4 v[47:50], v[81:82], off
	v_fma_f64 v[25:26], v[59:60], v[51:52], v[79:80]
	v_fma_f64 v[51:52], v[61:62], v[51:52], v[89:90]
	v_fma_f64 v[28:29], -v[65:66], v[69:70], v[28:29]
	s_waitcnt vmcnt(9)
	v_fma_f64 v[55:56], v[73:74], v[67:68], v[55:56]
	v_fma_f64 v[57:58], v[71:72], v[67:68], v[57:58]
	v_fma_f64 v[25:26], -v[61:62], v[53:54], v[25:26]
	v_fma_f64 v[51:52], v[59:60], v[53:54], v[51:52]
	v_fma_f64 v[53:54], v[65:66], v[67:68], v[87:88]
	;; [unrolled: 1-line block ×3, first 2 shown]
	v_fma_f64 v[57:58], -v[73:74], v[69:70], v[57:58]
	s_waitcnt vmcnt(8)
	v_fma_f64 v[25:26], v[75:76], v[67:68], v[25:26]
	v_fma_f64 v[51:52], v[77:78], v[67:68], v[51:52]
	;; [unrolled: 1-line block ×3, first 2 shown]
	v_fma_f64 v[25:26], -v[77:78], v[69:70], v[25:26]
	v_fma_f64 v[51:52], v[75:76], v[69:70], v[51:52]
	s_waitcnt vmcnt(6)
	v_fma_f64 v[28:29], v[31:32], v[15:16], v[28:29]
	v_fma_f64 v[53:54], v[33:34], v[15:16], v[53:54]
	s_waitcnt vmcnt(5)
	v_fma_f64 v[57:58], v[10:11], v[15:16], v[57:58]
	;; [unrolled: 3-line block ×3, first 2 shown]
	v_fma_f64 v[15:16], v[21:22], v[15:16], v[51:52]
	v_fma_f64 v[28:29], -v[33:34], v[17:18], v[28:29]
	v_fma_f64 v[31:32], v[31:32], v[17:18], v[53:54]
	v_fma_f64 v[12:13], -v[12:13], v[17:18], v[57:58]
	;; [unrolled: 2-line block ×3, first 2 shown]
	v_fma_f64 v[15:16], v[19:20], v[17:18], v[15:16]
	s_waitcnt vmcnt(2)
	v_fma_f64 v[17:18], v[35:36], v[39:40], v[28:29]
	v_fma_f64 v[19:20], v[37:38], v[39:40], v[31:32]
	s_waitcnt vmcnt(1)
	v_fma_f64 v[12:13], v[43:44], v[39:40], v[12:13]
	;; [unrolled: 3-line block ×3, first 2 shown]
	v_fma_f64 v[28:29], v[49:50], v[39:40], v[15:16]
	v_fma_f64 v[22:23], -v[37:38], v[41:42], v[17:18]
	v_fma_f64 v[16:17], v[35:36], v[41:42], v[19:20]
	v_fma_f64 v[18:19], -v[45:46], v[41:42], v[12:13]
	;; [unrolled: 2-line block ×3, first 2 shown]
	v_fma_f64 v[12:13], v[47:48], v[41:42], v[28:29]
	s_andn2_b32 exec_lo, exec_lo, s0
	s_cbranch_execnz .LBB130_13
; %bb.14:
	s_or_b32 exec_lo, exec_lo, s0
.LBB130_15:
	s_or_b32 exec_lo, exec_lo, s1
.LBB130_16:
	v_mbcnt_lo_u32_b32 v36, -1, 0
	v_or_b32_e32 v14, 32, v36
	v_xor_b32_e32 v34, 2, v36
	v_cmp_gt_i32_e32 vcc_lo, 32, v14
	v_cndmask_b32_e32 v14, v36, v14, vcc_lo
	v_lshlrev_b32_e32 v33, 2, v14
	ds_bpermute_b32 v14, v33, v22
	ds_bpermute_b32 v15, v33, v23
	ds_bpermute_b32 v24, v33, v16
	ds_bpermute_b32 v25, v33, v17
	ds_bpermute_b32 v26, v33, v18
	ds_bpermute_b32 v27, v33, v19
	ds_bpermute_b32 v28, v33, v20
	ds_bpermute_b32 v29, v33, v21
	ds_bpermute_b32 v30, v33, v10
	ds_bpermute_b32 v31, v33, v11
	ds_bpermute_b32 v32, v33, v12
	ds_bpermute_b32 v33, v33, v13
	s_waitcnt lgkmcnt(10)
	v_add_f64 v[14:15], v[22:23], v[14:15]
	v_xor_b32_e32 v22, 16, v36
	s_waitcnt lgkmcnt(8)
	v_add_f64 v[16:17], v[16:17], v[24:25]
	s_waitcnt lgkmcnt(6)
	v_add_f64 v[18:19], v[18:19], v[26:27]
	s_waitcnt lgkmcnt(4)
	v_add_f64 v[20:21], v[20:21], v[28:29]
	v_cmp_gt_i32_e32 vcc_lo, 32, v22
	s_waitcnt lgkmcnt(2)
	v_add_f64 v[10:11], v[10:11], v[30:31]
	s_waitcnt lgkmcnt(0)
	v_add_f64 v[12:13], v[12:13], v[32:33]
	v_cndmask_b32_e32 v22, v36, v22, vcc_lo
	v_lshlrev_b32_e32 v33, 2, v22
	ds_bpermute_b32 v22, v33, v14
	ds_bpermute_b32 v23, v33, v15
	ds_bpermute_b32 v24, v33, v16
	ds_bpermute_b32 v25, v33, v17
	ds_bpermute_b32 v26, v33, v18
	ds_bpermute_b32 v27, v33, v19
	ds_bpermute_b32 v28, v33, v20
	ds_bpermute_b32 v29, v33, v21
	ds_bpermute_b32 v30, v33, v10
	ds_bpermute_b32 v31, v33, v11
	ds_bpermute_b32 v32, v33, v12
	ds_bpermute_b32 v33, v33, v13
	s_waitcnt lgkmcnt(10)
	v_add_f64 v[14:15], v[14:15], v[22:23]
	v_xor_b32_e32 v22, 8, v36
	s_waitcnt lgkmcnt(8)
	v_add_f64 v[16:17], v[16:17], v[24:25]
	s_waitcnt lgkmcnt(6)
	v_add_f64 v[18:19], v[18:19], v[26:27]
	s_waitcnt lgkmcnt(4)
	v_add_f64 v[20:21], v[20:21], v[28:29]
	v_cmp_gt_i32_e32 vcc_lo, 32, v22
	s_waitcnt lgkmcnt(2)
	v_add_f64 v[10:11], v[10:11], v[30:31]
	s_waitcnt lgkmcnt(0)
	v_add_f64 v[12:13], v[12:13], v[32:33]
	;; [unrolled: 28-line block ×3, first 2 shown]
	v_cndmask_b32_e32 v22, v36, v22, vcc_lo
	v_cmp_gt_i32_e32 vcc_lo, 32, v34
	v_lshlrev_b32_e32 v33, 2, v22
	ds_bpermute_b32 v22, v33, v14
	ds_bpermute_b32 v23, v33, v15
	;; [unrolled: 1-line block ×12, first 2 shown]
	s_waitcnt lgkmcnt(10)
	v_add_f64 v[14:15], v[14:15], v[22:23]
	s_waitcnt lgkmcnt(8)
	v_add_f64 v[16:17], v[16:17], v[24:25]
	;; [unrolled: 2-line block ×5, first 2 shown]
	v_cndmask_b32_e32 v10, v36, v34, vcc_lo
	s_waitcnt lgkmcnt(0)
	v_add_f64 v[26:27], v[12:13], v[32:33]
	v_lshlrev_b32_e32 v20, 2, v10
	ds_bpermute_b32 v10, v20, v14
	ds_bpermute_b32 v11, v20, v15
	;; [unrolled: 1-line block ×12, first 2 shown]
	s_waitcnt lgkmcnt(10)
	v_add_f64 v[10:11], v[14:15], v[10:11]
	s_waitcnt lgkmcnt(8)
	v_add_f64 v[20:21], v[16:17], v[12:13]
	;; [unrolled: 2-line block ×3, first 2 shown]
	v_xor_b32_e32 v28, 1, v36
	s_waitcnt lgkmcnt(4)
	v_add_f64 v[18:19], v[22:23], v[30:31]
	s_waitcnt lgkmcnt(2)
	v_add_f64 v[14:15], v[24:25], v[32:33]
	;; [unrolled: 2-line block ×3, first 2 shown]
	v_cmp_gt_i32_e32 vcc_lo, 32, v28
	v_cndmask_b32_e32 v22, v36, v28, vcc_lo
	v_cmp_eq_u32_e32 vcc_lo, 63, v0
	v_lshlrev_b32_e32 v25, 2, v22
	ds_bpermute_b32 v32, v25, v10
	ds_bpermute_b32 v33, v25, v11
	;; [unrolled: 1-line block ×12, first 2 shown]
	s_and_b32 exec_lo, exec_lo, vcc_lo
	s_cbranch_execz .LBB130_21
; %bb.17:
	v_cmp_eq_f64_e32 vcc_lo, 0, v[5:6]
	v_cmp_eq_f64_e64 s0, 0, v[7:8]
	s_waitcnt lgkmcnt(10)
	v_add_f64 v[10:11], v[10:11], v[32:33]
	s_waitcnt lgkmcnt(8)
	v_add_f64 v[20:21], v[20:21], v[30:31]
	;; [unrolled: 2-line block ×6, first 2 shown]
	s_load_dwordx2 s[2:3], s[4:5], 0x48
	s_and_b32 s0, vcc_lo, s0
	s_and_saveexec_b32 s1, s0
	s_xor_b32 s0, exec_lo, s1
	s_cbranch_execz .LBB130_19
; %bb.18:
	v_mul_f64 v[5:6], v[20:21], -v[3:4]
	v_mul_f64 v[7:8], v[1:2], v[20:21]
	v_mul_f64 v[20:21], v[18:19], -v[3:4]
	v_mul_f64 v[18:19], v[1:2], v[18:19]
	;; [unrolled: 2-line block ×3, first 2 shown]
	v_lshl_add_u32 v24, v9, 1, v9
	v_ashrrev_i32_e32 v25, 31, v24
	v_fma_f64 v[5:6], v[1:2], v[10:11], v[5:6]
	v_fma_f64 v[7:8], v[3:4], v[10:11], v[7:8]
	;; [unrolled: 1-line block ×6, first 2 shown]
	v_lshlrev_b64 v[13:14], 4, v[24:25]
                                        ; implicit-def: $vgpr20_vgpr21
                                        ; implicit-def: $vgpr18_vgpr19
                                        ; implicit-def: $vgpr16_vgpr17
	s_waitcnt lgkmcnt(0)
	v_add_co_u32 v13, vcc_lo, s2, v13
	v_add_co_ci_u32_e64 v14, null, s3, v14, vcc_lo
	global_store_dwordx4 v[13:14], v[5:8], off
	global_store_dwordx4 v[13:14], v[9:12], off offset:16
	global_store_dwordx4 v[13:14], v[0:3], off offset:32
                                        ; implicit-def: $vgpr9
                                        ; implicit-def: $vgpr10_vgpr11
                                        ; implicit-def: $vgpr12_vgpr13
                                        ; implicit-def: $vgpr14_vgpr15
                                        ; implicit-def: $vgpr7_vgpr8
                                        ; implicit-def: $vgpr3_vgpr4
.LBB130_19:
	s_andn2_saveexec_b32 s0, s0
	s_cbranch_execz .LBB130_21
; %bb.20:
	v_lshl_add_u32 v22, v9, 1, v9
	v_mul_f64 v[36:37], v[20:21], -v[3:4]
	v_mul_f64 v[20:21], v[1:2], v[20:21]
	v_mul_f64 v[38:39], v[18:19], -v[3:4]
	v_mul_f64 v[18:19], v[1:2], v[18:19]
	v_ashrrev_i32_e32 v23, 31, v22
	v_mul_f64 v[40:41], v[16:17], -v[3:4]
	v_mul_f64 v[16:17], v[1:2], v[16:17]
	v_lshlrev_b64 v[22:23], 4, v[22:23]
	s_waitcnt lgkmcnt(0)
	v_add_co_u32 v34, vcc_lo, s2, v22
	v_add_co_ci_u32_e64 v35, null, s3, v23, vcc_lo
	s_clause 0x2
	global_load_dwordx4 v[22:25], v[34:35], off
	global_load_dwordx4 v[26:29], v[34:35], off offset:16
	global_load_dwordx4 v[30:33], v[34:35], off offset:32
	v_fma_f64 v[36:37], v[1:2], v[10:11], v[36:37]
	v_fma_f64 v[9:10], v[3:4], v[10:11], v[20:21]
	;; [unrolled: 1-line block ×6, first 2 shown]
	s_waitcnt vmcnt(2)
	v_fma_f64 v[13:14], v[5:6], v[22:23], v[36:37]
	v_fma_f64 v[9:10], v[7:8], v[22:23], v[9:10]
	s_waitcnt vmcnt(1)
	v_fma_f64 v[15:16], v[5:6], v[26:27], v[20:21]
	v_fma_f64 v[11:12], v[7:8], v[26:27], v[11:12]
	;; [unrolled: 3-line block ×3, first 2 shown]
	v_fma_f64 v[0:1], -v[7:8], v[24:25], v[13:14]
	v_fma_f64 v[2:3], v[5:6], v[24:25], v[9:10]
	v_fma_f64 v[9:10], -v[7:8], v[28:29], v[15:16]
	v_fma_f64 v[11:12], v[5:6], v[28:29], v[11:12]
	;; [unrolled: 2-line block ×3, first 2 shown]
	global_store_dwordx4 v[34:35], v[0:3], off
	global_store_dwordx4 v[34:35], v[9:12], off offset:16
	global_store_dwordx4 v[34:35], v[13:16], off offset:32
.LBB130_21:
	s_endpgm
	.section	.rodata,"a",@progbits
	.p2align	6, 0x0
	.amdhsa_kernel _ZN9rocsparseL19gebsrmvn_3xn_kernelILj128ELj5ELj64E21rocsparse_complex_numIdEEEvi20rocsparse_direction_NS_24const_host_device_scalarIT2_EEPKiS8_PKS5_SA_S6_PS5_21rocsparse_index_base_b
		.amdhsa_group_segment_fixed_size 0
		.amdhsa_private_segment_fixed_size 0
		.amdhsa_kernarg_size 88
		.amdhsa_user_sgpr_count 6
		.amdhsa_user_sgpr_private_segment_buffer 1
		.amdhsa_user_sgpr_dispatch_ptr 0
		.amdhsa_user_sgpr_queue_ptr 0
		.amdhsa_user_sgpr_kernarg_segment_ptr 1
		.amdhsa_user_sgpr_dispatch_id 0
		.amdhsa_user_sgpr_flat_scratch_init 0
		.amdhsa_user_sgpr_private_segment_size 0
		.amdhsa_wavefront_size32 1
		.amdhsa_uses_dynamic_stack 0
		.amdhsa_system_sgpr_private_segment_wavefront_offset 0
		.amdhsa_system_sgpr_workgroup_id_x 1
		.amdhsa_system_sgpr_workgroup_id_y 0
		.amdhsa_system_sgpr_workgroup_id_z 0
		.amdhsa_system_sgpr_workgroup_info 0
		.amdhsa_system_vgpr_workitem_id 0
		.amdhsa_next_free_vgpr 104
		.amdhsa_next_free_sgpr 16
		.amdhsa_reserve_vcc 1
		.amdhsa_reserve_flat_scratch 0
		.amdhsa_float_round_mode_32 0
		.amdhsa_float_round_mode_16_64 0
		.amdhsa_float_denorm_mode_32 3
		.amdhsa_float_denorm_mode_16_64 3
		.amdhsa_dx10_clamp 1
		.amdhsa_ieee_mode 1
		.amdhsa_fp16_overflow 0
		.amdhsa_workgroup_processor_mode 1
		.amdhsa_memory_ordered 1
		.amdhsa_forward_progress 1
		.amdhsa_shared_vgpr_count 0
		.amdhsa_exception_fp_ieee_invalid_op 0
		.amdhsa_exception_fp_denorm_src 0
		.amdhsa_exception_fp_ieee_div_zero 0
		.amdhsa_exception_fp_ieee_overflow 0
		.amdhsa_exception_fp_ieee_underflow 0
		.amdhsa_exception_fp_ieee_inexact 0
		.amdhsa_exception_int_div_zero 0
	.end_amdhsa_kernel
	.section	.text._ZN9rocsparseL19gebsrmvn_3xn_kernelILj128ELj5ELj64E21rocsparse_complex_numIdEEEvi20rocsparse_direction_NS_24const_host_device_scalarIT2_EEPKiS8_PKS5_SA_S6_PS5_21rocsparse_index_base_b,"axG",@progbits,_ZN9rocsparseL19gebsrmvn_3xn_kernelILj128ELj5ELj64E21rocsparse_complex_numIdEEEvi20rocsparse_direction_NS_24const_host_device_scalarIT2_EEPKiS8_PKS5_SA_S6_PS5_21rocsparse_index_base_b,comdat
.Lfunc_end130:
	.size	_ZN9rocsparseL19gebsrmvn_3xn_kernelILj128ELj5ELj64E21rocsparse_complex_numIdEEEvi20rocsparse_direction_NS_24const_host_device_scalarIT2_EEPKiS8_PKS5_SA_S6_PS5_21rocsparse_index_base_b, .Lfunc_end130-_ZN9rocsparseL19gebsrmvn_3xn_kernelILj128ELj5ELj64E21rocsparse_complex_numIdEEEvi20rocsparse_direction_NS_24const_host_device_scalarIT2_EEPKiS8_PKS5_SA_S6_PS5_21rocsparse_index_base_b
                                        ; -- End function
	.set _ZN9rocsparseL19gebsrmvn_3xn_kernelILj128ELj5ELj64E21rocsparse_complex_numIdEEEvi20rocsparse_direction_NS_24const_host_device_scalarIT2_EEPKiS8_PKS5_SA_S6_PS5_21rocsparse_index_base_b.num_vgpr, 104
	.set _ZN9rocsparseL19gebsrmvn_3xn_kernelILj128ELj5ELj64E21rocsparse_complex_numIdEEEvi20rocsparse_direction_NS_24const_host_device_scalarIT2_EEPKiS8_PKS5_SA_S6_PS5_21rocsparse_index_base_b.num_agpr, 0
	.set _ZN9rocsparseL19gebsrmvn_3xn_kernelILj128ELj5ELj64E21rocsparse_complex_numIdEEEvi20rocsparse_direction_NS_24const_host_device_scalarIT2_EEPKiS8_PKS5_SA_S6_PS5_21rocsparse_index_base_b.numbered_sgpr, 16
	.set _ZN9rocsparseL19gebsrmvn_3xn_kernelILj128ELj5ELj64E21rocsparse_complex_numIdEEEvi20rocsparse_direction_NS_24const_host_device_scalarIT2_EEPKiS8_PKS5_SA_S6_PS5_21rocsparse_index_base_b.num_named_barrier, 0
	.set _ZN9rocsparseL19gebsrmvn_3xn_kernelILj128ELj5ELj64E21rocsparse_complex_numIdEEEvi20rocsparse_direction_NS_24const_host_device_scalarIT2_EEPKiS8_PKS5_SA_S6_PS5_21rocsparse_index_base_b.private_seg_size, 0
	.set _ZN9rocsparseL19gebsrmvn_3xn_kernelILj128ELj5ELj64E21rocsparse_complex_numIdEEEvi20rocsparse_direction_NS_24const_host_device_scalarIT2_EEPKiS8_PKS5_SA_S6_PS5_21rocsparse_index_base_b.uses_vcc, 1
	.set _ZN9rocsparseL19gebsrmvn_3xn_kernelILj128ELj5ELj64E21rocsparse_complex_numIdEEEvi20rocsparse_direction_NS_24const_host_device_scalarIT2_EEPKiS8_PKS5_SA_S6_PS5_21rocsparse_index_base_b.uses_flat_scratch, 0
	.set _ZN9rocsparseL19gebsrmvn_3xn_kernelILj128ELj5ELj64E21rocsparse_complex_numIdEEEvi20rocsparse_direction_NS_24const_host_device_scalarIT2_EEPKiS8_PKS5_SA_S6_PS5_21rocsparse_index_base_b.has_dyn_sized_stack, 0
	.set _ZN9rocsparseL19gebsrmvn_3xn_kernelILj128ELj5ELj64E21rocsparse_complex_numIdEEEvi20rocsparse_direction_NS_24const_host_device_scalarIT2_EEPKiS8_PKS5_SA_S6_PS5_21rocsparse_index_base_b.has_recursion, 0
	.set _ZN9rocsparseL19gebsrmvn_3xn_kernelILj128ELj5ELj64E21rocsparse_complex_numIdEEEvi20rocsparse_direction_NS_24const_host_device_scalarIT2_EEPKiS8_PKS5_SA_S6_PS5_21rocsparse_index_base_b.has_indirect_call, 0
	.section	.AMDGPU.csdata,"",@progbits
; Kernel info:
; codeLenInByte = 4868
; TotalNumSgprs: 18
; NumVgprs: 104
; ScratchSize: 0
; MemoryBound: 0
; FloatMode: 240
; IeeeMode: 1
; LDSByteSize: 0 bytes/workgroup (compile time only)
; SGPRBlocks: 0
; VGPRBlocks: 12
; NumSGPRsForWavesPerEU: 18
; NumVGPRsForWavesPerEU: 104
; Occupancy: 9
; WaveLimiterHint : 1
; COMPUTE_PGM_RSRC2:SCRATCH_EN: 0
; COMPUTE_PGM_RSRC2:USER_SGPR: 6
; COMPUTE_PGM_RSRC2:TRAP_HANDLER: 0
; COMPUTE_PGM_RSRC2:TGID_X_EN: 1
; COMPUTE_PGM_RSRC2:TGID_Y_EN: 0
; COMPUTE_PGM_RSRC2:TGID_Z_EN: 0
; COMPUTE_PGM_RSRC2:TIDIG_COMP_CNT: 0
	.section	.text._ZN9rocsparseL19gebsrmvn_3xn_kernelILj128ELj6ELj4E21rocsparse_complex_numIdEEEvi20rocsparse_direction_NS_24const_host_device_scalarIT2_EEPKiS8_PKS5_SA_S6_PS5_21rocsparse_index_base_b,"axG",@progbits,_ZN9rocsparseL19gebsrmvn_3xn_kernelILj128ELj6ELj4E21rocsparse_complex_numIdEEEvi20rocsparse_direction_NS_24const_host_device_scalarIT2_EEPKiS8_PKS5_SA_S6_PS5_21rocsparse_index_base_b,comdat
	.globl	_ZN9rocsparseL19gebsrmvn_3xn_kernelILj128ELj6ELj4E21rocsparse_complex_numIdEEEvi20rocsparse_direction_NS_24const_host_device_scalarIT2_EEPKiS8_PKS5_SA_S6_PS5_21rocsparse_index_base_b ; -- Begin function _ZN9rocsparseL19gebsrmvn_3xn_kernelILj128ELj6ELj4E21rocsparse_complex_numIdEEEvi20rocsparse_direction_NS_24const_host_device_scalarIT2_EEPKiS8_PKS5_SA_S6_PS5_21rocsparse_index_base_b
	.p2align	8
	.type	_ZN9rocsparseL19gebsrmvn_3xn_kernelILj128ELj6ELj4E21rocsparse_complex_numIdEEEvi20rocsparse_direction_NS_24const_host_device_scalarIT2_EEPKiS8_PKS5_SA_S6_PS5_21rocsparse_index_base_b,@function
_ZN9rocsparseL19gebsrmvn_3xn_kernelILj128ELj6ELj4E21rocsparse_complex_numIdEEEvi20rocsparse_direction_NS_24const_host_device_scalarIT2_EEPKiS8_PKS5_SA_S6_PS5_21rocsparse_index_base_b: ; @_ZN9rocsparseL19gebsrmvn_3xn_kernelILj128ELj6ELj4E21rocsparse_complex_numIdEEEvi20rocsparse_direction_NS_24const_host_device_scalarIT2_EEPKiS8_PKS5_SA_S6_PS5_21rocsparse_index_base_b
; %bb.0:
	s_clause 0x1
	s_load_dwordx2 s[2:3], s[4:5], 0x50
	s_load_dwordx2 s[0:1], s[4:5], 0x8
	s_add_u32 s7, s4, 8
	s_addc_u32 s10, s5, 0
	s_add_u32 s11, s4, 56
	s_addc_u32 s12, s5, 0
	s_load_dwordx2 s[8:9], s[4:5], 0x38
	s_waitcnt lgkmcnt(0)
	s_bitcmp1_b32 s3, 0
	s_cselect_b32 s0, s7, s0
	s_cselect_b32 s1, s10, s1
	v_mov_b32_e32 v1, s0
	v_mov_b32_e32 v2, s1
	s_cselect_b32 s0, s11, s8
	s_cselect_b32 s1, s12, s9
	v_mov_b32_e32 v5, s0
	v_mov_b32_e32 v6, s1
	flat_load_dwordx4 v[1:4], v[1:2]
	flat_load_dwordx4 v[5:8], v[5:6]
	s_waitcnt vmcnt(1) lgkmcnt(1)
	v_cmp_eq_f64_e32 vcc_lo, 0, v[1:2]
	v_cmp_eq_f64_e64 s0, 0, v[3:4]
	s_and_b32 s3, vcc_lo, s0
	s_mov_b32 s0, -1
	s_and_saveexec_b32 s1, s3
	s_cbranch_execz .LBB131_2
; %bb.1:
	s_waitcnt vmcnt(0) lgkmcnt(0)
	v_cmp_neq_f64_e32 vcc_lo, 1.0, v[5:6]
	v_cmp_neq_f64_e64 s0, 0, v[7:8]
	s_or_b32 s0, vcc_lo, s0
	s_orn2_b32 s0, s0, exec_lo
.LBB131_2:
	s_or_b32 exec_lo, exec_lo, s1
	s_and_saveexec_b32 s1, s0
	s_cbranch_execz .LBB131_21
; %bb.3:
	s_load_dwordx2 s[0:1], s[4:5], 0x0
	v_lshrrev_b32_e32 v9, 2, v0
	v_lshl_or_b32 v9, s6, 5, v9
	s_waitcnt lgkmcnt(0)
	v_cmp_gt_i32_e32 vcc_lo, s0, v9
	s_and_b32 exec_lo, exec_lo, vcc_lo
	s_cbranch_execz .LBB131_21
; %bb.4:
	s_load_dwordx8 s[8:15], s[4:5], 0x18
	v_ashrrev_i32_e32 v10, 31, v9
	v_and_b32_e32 v0, 3, v0
	s_cmp_lg_u32 s1, 0
	v_lshlrev_b64 v[10:11], 2, v[9:10]
	s_waitcnt lgkmcnt(0)
	v_add_co_u32 v10, vcc_lo, s8, v10
	v_add_co_ci_u32_e64 v11, null, s9, v11, vcc_lo
	global_load_dwordx2 v[10:11], v[10:11], off
	s_waitcnt vmcnt(0)
	v_subrev_nc_u32_e32 v10, s2, v10
	v_subrev_nc_u32_e32 v31, s2, v11
	v_add_nc_u32_e32 v10, v10, v0
	v_cmp_lt_i32_e64 s0, v10, v31
	s_cbranch_scc0 .LBB131_10
; %bb.5:
	v_mov_b32_e32 v16, 0
	v_mov_b32_e32 v22, 0
	v_mov_b32_e32 v12, 0
	v_mov_b32_e32 v14, 0
	v_mov_b32_e32 v18, 0
	v_mov_b32_e32 v20, 0
	v_mov_b32_e32 v17, 0
	v_mov_b32_e32 v23, 0
	v_mov_b32_e32 v13, 0
	v_mov_b32_e32 v15, 0
	v_mov_b32_e32 v19, 0
	v_mov_b32_e32 v21, 0
	s_and_saveexec_b32 s1, s0
	s_cbranch_execz .LBB131_9
; %bb.6:
	v_mad_u64_u32 v[24:25], null, v10, 18, 17
	v_mov_b32_e32 v16, 0
	v_mov_b32_e32 v22, 0
	;; [unrolled: 1-line block ×14, first 2 shown]
	s_mov_b32 s3, 0
.LBB131_7:                              ; =>This Inner Loop Header: Depth=1
	v_ashrrev_i32_e32 v29, 31, v28
	v_subrev_nc_u32_e32 v26, 17, v24
	v_mov_b32_e32 v25, v27
	v_mov_b32_e32 v30, v27
	v_lshlrev_b64 v[32:33], 2, v[28:29]
	v_lshlrev_b64 v[34:35], 4, v[26:27]
	v_add_nc_u32_e32 v26, -15, v24
	v_add_nc_u32_e32 v28, 4, v28
	v_add_co_u32 v32, vcc_lo, s10, v32
	v_add_co_ci_u32_e64 v33, null, s11, v33, vcc_lo
	v_lshlrev_b64 v[36:37], 4, v[26:27]
	v_add_nc_u32_e32 v26, -14, v24
	v_add_co_u32 v38, vcc_lo, s12, v34
	global_load_dword v11, v[32:33], off
	v_lshlrev_b64 v[32:33], 4, v[24:25]
	v_lshlrev_b64 v[48:49], 4, v[26:27]
	v_add_nc_u32_e32 v26, -13, v24
	v_add_co_ci_u32_e64 v39, null, s13, v35, vcc_lo
	v_add_co_u32 v40, vcc_lo, s12, v32
	v_lshlrev_b64 v[50:51], 4, v[26:27]
	v_add_nc_u32_e32 v26, -12, v24
	v_add_co_ci_u32_e64 v41, null, s13, v33, vcc_lo
	v_add_co_u32 v44, vcc_lo, s12, v36
	;; [unrolled: 4-line block ×3, first 2 shown]
	v_lshlrev_b64 v[25:26], 4, v[26:27]
	v_add_co_ci_u32_e64 v49, null, s13, v49, vcc_lo
	v_add_co_u32 v52, vcc_lo, s12, v50
	v_add_co_ci_u32_e64 v53, null, s13, v51, vcc_lo
	v_add_co_u32 v56, vcc_lo, s12, v56
	;; [unrolled: 2-line block ×3, first 2 shown]
	v_add_co_ci_u32_e64 v26, null, s13, v26, vcc_lo
	s_clause 0x7
	global_load_dwordx4 v[32:35], v[38:39], off offset:16
	global_load_dwordx4 v[36:39], v[38:39], off
	global_load_dwordx4 v[40:43], v[40:41], off
	;; [unrolled: 1-line block ×7, first 2 shown]
	s_waitcnt vmcnt(8)
	v_subrev_nc_u32_e32 v11, s2, v11
	v_mul_lo_u32 v29, v11, 6
	v_lshlrev_b64 v[64:65], 4, v[29:30]
	v_add_nc_u32_e32 v26, 2, v29
	v_lshlrev_b64 v[72:73], 4, v[26:27]
	v_add_co_u32 v68, vcc_lo, s14, v64
	v_add_co_ci_u32_e64 v69, null, s15, v65, vcc_lo
	v_add_nc_u32_e32 v26, -10, v24
	s_clause 0x1
	global_load_dwordx4 v[64:67], v[68:69], off
	global_load_dwordx4 v[68:71], v[68:69], off offset:16
	v_add_co_u32 v76, vcc_lo, s14, v72
	v_lshlrev_b64 v[74:75], 4, v[26:27]
	v_add_nc_u32_e32 v26, -9, v24
	v_add_co_ci_u32_e64 v77, null, s15, v73, vcc_lo
	v_lshlrev_b64 v[80:81], 4, v[26:27]
	v_add_co_u32 v82, vcc_lo, s12, v74
	v_add_co_ci_u32_e64 v83, null, s13, v75, vcc_lo
	s_clause 0x1
	global_load_dwordx4 v[72:75], v[76:77], off
	global_load_dwordx4 v[76:79], v[76:77], off offset:16
	v_add_co_u32 v84, vcc_lo, s12, v80
	v_add_co_ci_u32_e64 v85, null, s13, v81, vcc_lo
	global_load_dwordx4 v[80:83], v[82:83], off
	v_add_nc_u32_e32 v26, -8, v24
	global_load_dwordx4 v[84:87], v[84:85], off
	v_lshlrev_b64 v[88:89], 4, v[26:27]
	v_add_nc_u32_e32 v26, -7, v24
	v_lshlrev_b64 v[90:91], 4, v[26:27]
	v_add_nc_u32_e32 v26, -6, v24
	v_add_co_u32 v88, vcc_lo, s12, v88
	v_add_co_ci_u32_e64 v89, null, s13, v89, vcc_lo
	v_lshlrev_b64 v[92:93], 4, v[26:27]
	v_add_nc_u32_e32 v26, -5, v24
	v_add_co_u32 v94, vcc_lo, s12, v90
	v_add_co_ci_u32_e64 v95, null, s13, v91, vcc_lo
	v_lshlrev_b64 v[96:97], 4, v[26:27]
	v_add_nc_u32_e32 v26, 4, v29
	v_add_co_u32 v29, vcc_lo, s12, v92
	v_add_co_ci_u32_e64 v30, null, s13, v93, vcc_lo
	v_add_co_u32 v102, vcc_lo, s12, v96
	s_clause 0x1
	global_load_dwordx4 v[88:91], v[88:89], off
	global_load_dwordx4 v[92:95], v[94:95], off
	v_add_co_ci_u32_e64 v103, null, s13, v97, vcc_lo
	global_load_dwordx4 v[96:99], v[29:30], off
	v_lshlrev_b64 v[100:101], 4, v[26:27]
	v_add_nc_u32_e32 v26, -4, v24
	v_add_co_u32 v100, vcc_lo, s14, v100
	v_add_co_ci_u32_e64 v101, null, s15, v101, vcc_lo
	s_waitcnt vmcnt(8)
	v_fma_f64 v[16:17], v[38:39], v[64:65], v[16:17]
	v_fma_f64 v[22:23], v[36:37], v[64:65], v[22:23]
	;; [unrolled: 1-line block ×7, first 2 shown]
	v_lshlrev_b64 v[16:17], 4, v[26:27]
	v_add_nc_u32_e32 v26, -3, v24
	v_fma_f64 v[29:30], -v[38:39], v[66:67], v[22:23]
	global_load_dwordx4 v[36:39], v[102:103], off
	v_fma_f64 v[102:103], -v[34:35], v[66:67], v[18:19]
	v_fma_f64 v[106:107], v[32:33], v[66:67], v[20:21]
	v_lshlrev_b64 v[18:19], 4, v[26:27]
	v_add_co_u32 v16, vcc_lo, s12, v16
	v_add_co_ci_u32_e64 v17, null, s13, v17, vcc_lo
	v_fma_f64 v[64:65], -v[46:47], v[66:67], v[11:12]
	v_add_co_u32 v20, vcc_lo, s12, v18
	v_add_co_ci_u32_e64 v21, null, s13, v19, vcc_lo
	v_fma_f64 v[66:67], v[44:45], v[66:67], v[13:14]
	global_load_dwordx4 v[11:14], v[100:101], off
	s_clause 0x1
	global_load_dwordx4 v[15:18], v[16:17], off
	global_load_dwordx4 v[19:22], v[20:21], off
	v_add_nc_u32_e32 v26, -2, v24
	s_waitcnt vmcnt(11)
	v_fma_f64 v[34:35], v[50:51], v[68:69], v[104:105]
	v_fma_f64 v[29:30], v[48:49], v[68:69], v[29:30]
	v_lshlrev_b64 v[32:33], 4, v[26:27]
	v_fma_f64 v[46:47], v[52:53], v[68:69], v[102:103]
	v_add_nc_u32_e32 v26, -1, v24
	v_add_nc_u32_e32 v24, 0x48, v24
	v_add_co_u32 v44, vcc_lo, s12, v32
	v_lshlrev_b64 v[25:26], 4, v[26:27]
	v_add_co_ci_u32_e64 v45, null, s13, v33, vcc_lo
	v_add_co_u32 v25, vcc_lo, s12, v25
	v_add_co_ci_u32_e64 v26, null, s13, v26, vcc_lo
	v_fma_f64 v[104:105], v[48:49], v[70:71], v[34:35]
	v_fma_f64 v[48:49], v[54:55], v[68:69], v[106:107]
	global_load_dwordx4 v[32:35], v[100:101], off offset:16
	v_fma_f64 v[29:30], -v[50:51], v[70:71], v[29:30]
	v_cmp_ge_i32_e32 vcc_lo, v28, v31
	v_fma_f64 v[54:55], -v[54:55], v[70:71], v[46:47]
	s_or_b32 s3, vcc_lo, s3
	v_fma_f64 v[52:53], v[52:53], v[70:71], v[48:49]
	s_clause 0x1
	global_load_dwordx4 v[44:47], v[44:45], off
	global_load_dwordx4 v[48:51], v[25:26], off
	v_fma_f64 v[25:26], v[56:57], v[68:69], v[64:65]
	v_fma_f64 v[64:65], v[58:59], v[68:69], v[66:67]
	s_waitcnt vmcnt(13)
	v_fma_f64 v[29:30], v[60:61], v[72:73], v[29:30]
	s_waitcnt vmcnt(11)
	v_fma_f64 v[54:55], v[80:81], v[72:73], v[54:55]
	v_fma_f64 v[52:53], v[82:83], v[72:73], v[52:53]
	v_fma_f64 v[25:26], -v[58:59], v[70:71], v[25:26]
	v_fma_f64 v[56:57], v[56:57], v[70:71], v[64:65]
	v_fma_f64 v[58:59], v[62:63], v[72:73], v[104:105]
	v_fma_f64 v[29:30], -v[62:63], v[74:75], v[29:30]
	v_fma_f64 v[54:55], -v[82:83], v[74:75], v[54:55]
	v_fma_f64 v[52:53], v[80:81], v[74:75], v[52:53]
	s_waitcnt vmcnt(10)
	v_fma_f64 v[25:26], v[84:85], v[72:73], v[25:26]
	v_fma_f64 v[56:57], v[86:87], v[72:73], v[56:57]
	;; [unrolled: 1-line block ×3, first 2 shown]
	s_waitcnt vmcnt(9)
	v_fma_f64 v[29:30], v[88:89], v[76:77], v[29:30]
	s_waitcnt vmcnt(8)
	v_fma_f64 v[54:55], v[92:93], v[76:77], v[54:55]
	v_fma_f64 v[52:53], v[94:95], v[76:77], v[52:53]
	v_fma_f64 v[25:26], -v[86:87], v[74:75], v[25:26]
	v_fma_f64 v[56:57], v[84:85], v[74:75], v[56:57]
	v_fma_f64 v[58:59], v[90:91], v[76:77], v[58:59]
	v_fma_f64 v[29:30], -v[90:91], v[78:79], v[29:30]
	v_fma_f64 v[54:55], -v[94:95], v[78:79], v[54:55]
	v_fma_f64 v[52:53], v[92:93], v[78:79], v[52:53]
	s_waitcnt vmcnt(7)
	v_fma_f64 v[25:26], v[96:97], v[76:77], v[25:26]
	v_fma_f64 v[56:57], v[98:99], v[76:77], v[56:57]
	;; [unrolled: 1-line block ×3, first 2 shown]
	v_fma_f64 v[25:26], -v[98:99], v[78:79], v[25:26]
	v_fma_f64 v[56:57], v[96:97], v[78:79], v[56:57]
	s_waitcnt vmcnt(5)
	v_fma_f64 v[29:30], v[36:37], v[11:12], v[29:30]
	v_fma_f64 v[58:59], v[38:39], v[11:12], v[58:59]
	s_waitcnt vmcnt(4)
	v_fma_f64 v[54:55], v[15:16], v[11:12], v[54:55]
	v_fma_f64 v[52:53], v[17:18], v[11:12], v[52:53]
	s_waitcnt vmcnt(3)
	v_fma_f64 v[25:26], v[19:20], v[11:12], v[25:26]
	v_fma_f64 v[11:12], v[21:22], v[11:12], v[56:57]
	v_fma_f64 v[29:30], -v[38:39], v[13:14], v[29:30]
	v_fma_f64 v[36:37], v[36:37], v[13:14], v[58:59]
	v_fma_f64 v[17:18], -v[17:18], v[13:14], v[54:55]
	v_fma_f64 v[15:16], v[15:16], v[13:14], v[52:53]
	v_fma_f64 v[21:22], -v[21:22], v[13:14], v[25:26]
	v_fma_f64 v[11:12], v[19:20], v[13:14], v[11:12]
	s_waitcnt vmcnt(1)
	v_fma_f64 v[13:14], v[44:45], v[32:33], v[29:30]
	v_fma_f64 v[19:20], v[46:47], v[32:33], v[36:37]
	s_waitcnt vmcnt(0)
	v_fma_f64 v[25:26], v[48:49], v[32:33], v[17:18]
	v_fma_f64 v[29:30], v[50:51], v[32:33], v[15:16]
	;; [unrolled: 1-line block ×4, first 2 shown]
	v_fma_f64 v[22:23], -v[46:47], v[34:35], v[13:14]
	v_fma_f64 v[16:17], v[44:45], v[34:35], v[19:20]
	v_fma_f64 v[18:19], -v[50:51], v[34:35], v[25:26]
	v_fma_f64 v[20:21], v[48:49], v[34:35], v[29:30]
	;; [unrolled: 2-line block ×3, first 2 shown]
	s_andn2_b32 exec_lo, exec_lo, s3
	s_cbranch_execnz .LBB131_7
; %bb.8:
	s_or_b32 exec_lo, exec_lo, s3
.LBB131_9:
	s_or_b32 exec_lo, exec_lo, s1
	s_cbranch_execz .LBB131_11
	s_branch .LBB131_16
.LBB131_10:
                                        ; implicit-def: $vgpr16_vgpr17
                                        ; implicit-def: $vgpr22_vgpr23
                                        ; implicit-def: $vgpr12_vgpr13
                                        ; implicit-def: $vgpr14_vgpr15
                                        ; implicit-def: $vgpr18_vgpr19
                                        ; implicit-def: $vgpr20_vgpr21
.LBB131_11:
	v_mov_b32_e32 v16, 0
	v_mov_b32_e32 v22, 0
	;; [unrolled: 1-line block ×12, first 2 shown]
	s_and_saveexec_b32 s1, s0
	s_cbranch_execz .LBB131_15
; %bb.12:
	v_mad_u64_u32 v[24:25], null, v10, 18, 17
	v_mov_b32_e32 v16, 0
	v_mov_b32_e32 v22, 0
	;; [unrolled: 1-line block ×13, first 2 shown]
	s_mov_b32 s0, 0
.LBB131_13:                             ; =>This Inner Loop Header: Depth=1
	v_ashrrev_i32_e32 v11, 31, v10
	v_subrev_nc_u32_e32 v26, 17, v24
	v_add_nc_u32_e32 v28, -11, v24
	v_mov_b32_e32 v29, v27
	v_add_nc_u32_e32 v32, -5, v24
	v_lshlrev_b64 v[36:37], 2, v[10:11]
	v_lshlrev_b64 v[34:35], 4, v[26:27]
	v_add_nc_u32_e32 v26, -10, v24
	v_mov_b32_e32 v33, v27
	v_mov_b32_e32 v25, v27
	v_lshlrev_b64 v[28:29], 4, v[28:29]
	v_add_co_u32 v36, vcc_lo, s10, v36
	v_add_co_ci_u32_e64 v37, null, s11, v37, vcc_lo
	v_lshlrev_b64 v[40:41], 4, v[26:27]
	v_add_nc_u32_e32 v26, -4, v24
	v_lshlrev_b64 v[32:33], 4, v[32:33]
	global_load_dword v11, v[36:37], off
	v_lshlrev_b64 v[38:39], 4, v[24:25]
	v_add_co_u32 v42, vcc_lo, s12, v34
	v_lshlrev_b64 v[52:53], 4, v[26:27]
	v_add_nc_u32_e32 v26, -15, v24
	v_add_co_ci_u32_e64 v43, null, s13, v35, vcc_lo
	v_add_co_u32 v28, vcc_lo, s12, v28
	v_add_co_ci_u32_e64 v29, null, s13, v29, vcc_lo
	v_add_co_u32 v44, vcc_lo, s12, v32
	;; [unrolled: 2-line block ×3, first 2 shown]
	v_lshlrev_b64 v[25:26], 4, v[26:27]
	v_add_co_ci_u32_e64 v81, null, s13, v39, vcc_lo
	v_add_co_u32 v48, vcc_lo, s12, v40
	v_add_co_ci_u32_e64 v49, null, s13, v41, vcc_lo
	s_clause 0x3
	global_load_dwordx4 v[32:35], v[42:43], off offset:16
	global_load_dwordx4 v[36:39], v[42:43], off
	global_load_dwordx4 v[40:43], v[28:29], off
	;; [unrolled: 1-line block ×3, first 2 shown]
	v_add_co_u32 v28, vcc_lo, s12, v52
	v_add_co_ci_u32_e64 v29, null, s13, v53, vcc_lo
	v_add_co_u32 v25, vcc_lo, s12, v25
	v_add_co_ci_u32_e64 v26, null, s13, v26, vcc_lo
	s_clause 0x2
	global_load_dwordx4 v[48:51], v[48:49], off
	global_load_dwordx4 v[52:55], v[28:29], off
	;; [unrolled: 1-line block ×3, first 2 shown]
	v_mov_b32_e32 v30, v27
	v_add_nc_u32_e32 v10, 4, v10
	s_waitcnt vmcnt(7)
	v_subrev_nc_u32_e32 v11, s2, v11
	v_mul_lo_u32 v29, v11, 6
	v_lshlrev_b64 v[60:61], 4, v[29:30]
	v_add_nc_u32_e32 v26, 2, v29
	v_lshlrev_b64 v[68:69], 4, v[26:27]
	v_add_co_u32 v64, vcc_lo, s14, v60
	v_add_co_ci_u32_e64 v65, null, s15, v61, vcc_lo
	v_add_nc_u32_e32 v26, -9, v24
	v_add_co_u32 v72, vcc_lo, s14, v68
	s_clause 0x1
	global_load_dwordx4 v[60:63], v[64:65], off
	global_load_dwordx4 v[64:67], v[64:65], off offset:16
	v_add_co_ci_u32_e64 v73, null, s15, v69, vcc_lo
	v_lshlrev_b64 v[76:77], 4, v[26:27]
	s_clause 0x1
	global_load_dwordx4 v[68:71], v[72:73], off
	global_load_dwordx4 v[72:75], v[72:73], off offset:16
	v_add_nc_u32_e32 v26, -3, v24
	v_add_co_u32 v76, vcc_lo, s12, v76
	v_add_co_ci_u32_e64 v77, null, s13, v77, vcc_lo
	v_lshlrev_b64 v[78:79], 4, v[26:27]
	v_add_nc_u32_e32 v26, -14, v24
	v_add_co_u32 v84, vcc_lo, s12, v78
	v_add_co_ci_u32_e64 v85, null, s13, v79, vcc_lo
	global_load_dwordx4 v[76:79], v[76:77], off
	v_lshlrev_b64 v[82:83], 4, v[26:27]
	v_add_nc_u32_e32 v26, -8, v24
	s_waitcnt vmcnt(4)
	v_fma_f64 v[22:23], v[36:37], v[60:61], v[22:23]
	v_fma_f64 v[16:17], v[38:39], v[60:61], v[16:17]
	;; [unrolled: 1-line block ×6, first 2 shown]
	v_fma_f64 v[86:87], -v[38:39], v[62:63], v[22:23]
	v_fma_f64 v[88:89], v[36:37], v[62:63], v[16:17]
	global_load_dwordx4 v[36:39], v[84:85], off
	v_lshlrev_b64 v[16:17], 4, v[26:27]
	v_add_nc_u32_e32 v26, -2, v24
	v_fma_f64 v[42:43], -v[42:43], v[62:63], v[18:19]
	v_add_co_u32 v22, vcc_lo, s12, v82
	v_add_co_ci_u32_e64 v23, null, s13, v83, vcc_lo
	v_lshlrev_b64 v[18:19], 4, v[26:27]
	v_add_nc_u32_e32 v26, -13, v24
	v_fma_f64 v[40:41], v[40:41], v[62:63], v[20:21]
	v_add_co_u32 v20, vcc_lo, s12, v16
	v_fma_f64 v[46:47], -v[46:47], v[62:63], v[11:12]
	v_fma_f64 v[44:45], v[44:45], v[62:63], v[13:14]
	v_add_co_ci_u32_e64 v21, null, s13, v17, vcc_lo
	v_add_co_u32 v28, vcc_lo, s12, v18
	v_lshlrev_b64 v[82:83], 4, v[26:27]
	v_add_nc_u32_e32 v26, 4, v29
	v_add_co_ci_u32_e64 v29, null, s13, v19, vcc_lo
	s_waitcnt vmcnt(4)
	v_fma_f64 v[84:85], v[34:35], v[64:65], v[88:89]
	s_clause 0x2
	global_load_dwordx4 v[16:19], v[22:23], off
	global_load_dwordx4 v[11:14], v[20:21], off
	;; [unrolled: 1-line block ×3, first 2 shown]
	v_add_co_u32 v28, vcc_lo, s12, v82
	v_add_co_ci_u32_e64 v29, null, s13, v83, vcc_lo
	v_fma_f64 v[82:83], v[32:33], v[64:65], v[86:87]
	v_fma_f64 v[42:43], v[48:49], v[64:65], v[42:43]
	;; [unrolled: 1-line block ×3, first 2 shown]
	v_lshlrev_b64 v[60:61], 4, v[26:27]
	v_fma_f64 v[46:47], v[52:53], v[64:65], v[46:47]
	v_fma_f64 v[44:45], v[54:55], v[64:65], v[44:45]
	v_add_nc_u32_e32 v26, -7, v24
	v_lshlrev_b64 v[62:63], 4, v[26:27]
	v_add_nc_u32_e32 v26, -1, v24
	v_fma_f64 v[84:85], v[32:33], v[66:67], v[84:85]
	v_fma_f64 v[82:83], -v[34:35], v[66:67], v[82:83]
	global_load_dwordx4 v[32:35], v[28:29], off
	v_add_co_u32 v28, vcc_lo, s14, v60
	v_add_co_ci_u32_e64 v29, null, s15, v61, vcc_lo
	v_lshlrev_b64 v[60:61], 4, v[26:27]
	v_fma_f64 v[86:87], -v[50:51], v[66:67], v[42:43]
	v_fma_f64 v[88:89], v[48:49], v[66:67], v[40:41]
	global_load_dwordx4 v[40:43], v[28:29], off offset:16
	v_fma_f64 v[90:91], -v[54:55], v[66:67], v[46:47]
	v_fma_f64 v[92:93], v[52:53], v[66:67], v[44:45]
	global_load_dwordx4 v[44:47], v[28:29], off
	v_add_co_u32 v28, vcc_lo, s12, v62
	v_add_co_ci_u32_e64 v29, null, s13, v63, vcc_lo
	v_add_co_u32 v52, vcc_lo, s12, v60
	v_add_co_ci_u32_e64 v53, null, s13, v61, vcc_lo
	s_waitcnt vmcnt(9)
	v_fma_f64 v[60:61], v[58:59], v[68:69], v[84:85]
	s_clause 0x1
	global_load_dwordx4 v[48:51], v[28:29], off
	global_load_dwordx4 v[52:55], v[52:53], off
	v_add_nc_u32_e32 v26, -12, v24
	v_fma_f64 v[28:29], v[56:57], v[68:69], v[82:83]
	v_lshlrev_b64 v[62:63], 4, v[26:27]
	s_waitcnt vmcnt(9)
	v_fma_f64 v[64:65], v[78:79], v[68:69], v[88:89]
	v_add_nc_u32_e32 v26, -6, v24
	v_add_nc_u32_e32 v24, 0x48, v24
	v_lshlrev_b64 v[25:26], 4, v[26:27]
	v_fma_f64 v[82:83], v[56:57], v[70:71], v[60:61]
	v_add_co_u32 v60, vcc_lo, s12, v62
	v_add_co_ci_u32_e64 v61, null, s13, v63, vcc_lo
	v_fma_f64 v[62:63], v[76:77], v[68:69], v[86:87]
	v_add_co_u32 v25, vcc_lo, s12, v25
	v_add_co_ci_u32_e64 v26, null, s13, v26, vcc_lo
	v_fma_f64 v[28:29], -v[58:59], v[70:71], v[28:29]
	global_load_dwordx4 v[56:59], v[80:81], off
	v_fma_f64 v[76:77], v[76:77], v[70:71], v[64:65]
	v_cmp_ge_i32_e32 vcc_lo, v10, v31
	s_or_b32 s0, vcc_lo, s0
	v_fma_f64 v[78:79], -v[78:79], v[70:71], v[62:63]
	s_clause 0x1
	global_load_dwordx4 v[60:63], v[60:61], off
	global_load_dwordx4 v[64:67], v[25:26], off
	s_waitcnt vmcnt(11)
	v_fma_f64 v[25:26], v[36:37], v[68:69], v[90:91]
	v_fma_f64 v[68:69], v[38:39], v[68:69], v[92:93]
	v_fma_f64 v[25:26], -v[38:39], v[70:71], v[25:26]
	v_fma_f64 v[36:37], v[36:37], v[70:71], v[68:69]
	s_waitcnt vmcnt(10)
	v_fma_f64 v[28:29], v[16:17], v[72:73], v[28:29]
	v_fma_f64 v[38:39], v[18:19], v[72:73], v[82:83]
	s_waitcnt vmcnt(9)
	v_fma_f64 v[68:69], v[11:12], v[72:73], v[78:79]
	;; [unrolled: 3-line block ×3, first 2 shown]
	v_fma_f64 v[36:37], v[22:23], v[72:73], v[36:37]
	v_fma_f64 v[18:19], -v[18:19], v[74:75], v[28:29]
	v_fma_f64 v[15:16], v[16:17], v[74:75], v[38:39]
	v_fma_f64 v[13:14], -v[13:14], v[74:75], v[68:69]
	;; [unrolled: 2-line block ×3, first 2 shown]
	v_fma_f64 v[20:21], v[20:21], v[74:75], v[36:37]
	s_waitcnt vmcnt(5)
	v_fma_f64 v[17:18], v[32:33], v[44:45], v[18:19]
	v_fma_f64 v[15:16], v[34:35], v[44:45], v[15:16]
	s_waitcnt vmcnt(4)
	v_fma_f64 v[13:14], v[48:49], v[44:45], v[13:14]
	;; [unrolled: 3-line block ×3, first 2 shown]
	v_fma_f64 v[19:20], v[54:55], v[44:45], v[20:21]
	v_fma_f64 v[17:18], -v[34:35], v[46:47], v[17:18]
	v_fma_f64 v[15:16], v[32:33], v[46:47], v[15:16]
	v_fma_f64 v[13:14], -v[50:51], v[46:47], v[13:14]
	;; [unrolled: 2-line block ×3, first 2 shown]
	v_fma_f64 v[19:20], v[52:53], v[46:47], v[19:20]
	s_waitcnt vmcnt(1)
	v_fma_f64 v[17:18], v[60:61], v[40:41], v[17:18]
	v_fma_f64 v[15:16], v[62:63], v[40:41], v[15:16]
	s_waitcnt vmcnt(0)
	v_fma_f64 v[13:14], v[64:65], v[40:41], v[13:14]
	v_fma_f64 v[11:12], v[66:67], v[40:41], v[11:12]
	v_fma_f64 v[25:26], v[56:57], v[40:41], v[21:22]
	v_fma_f64 v[28:29], v[58:59], v[40:41], v[19:20]
	v_fma_f64 v[22:23], -v[62:63], v[42:43], v[17:18]
	v_fma_f64 v[16:17], v[60:61], v[42:43], v[15:16]
	v_fma_f64 v[18:19], -v[66:67], v[42:43], v[13:14]
	v_fma_f64 v[20:21], v[64:65], v[42:43], v[11:12]
	;; [unrolled: 2-line block ×3, first 2 shown]
	s_andn2_b32 exec_lo, exec_lo, s0
	s_cbranch_execnz .LBB131_13
; %bb.14:
	s_or_b32 exec_lo, exec_lo, s0
.LBB131_15:
	s_or_b32 exec_lo, exec_lo, s1
.LBB131_16:
	v_mbcnt_lo_u32_b32 v36, -1, 0
	v_xor_b32_e32 v10, 2, v36
	v_cmp_gt_i32_e32 vcc_lo, 32, v10
	v_cndmask_b32_e32 v10, v36, v10, vcc_lo
	v_lshlrev_b32_e32 v26, 2, v10
	ds_bpermute_b32 v10, v26, v22
	ds_bpermute_b32 v11, v26, v23
	;; [unrolled: 1-line block ×12, first 2 shown]
	s_waitcnt lgkmcnt(10)
	v_add_f64 v[10:11], v[22:23], v[10:11]
	s_waitcnt lgkmcnt(8)
	v_add_f64 v[26:27], v[16:17], v[24:25]
	;; [unrolled: 2-line block ×3, first 2 shown]
	v_xor_b32_e32 v28, 1, v36
	s_waitcnt lgkmcnt(4)
	v_add_f64 v[18:19], v[20:21], v[30:31]
	s_waitcnt lgkmcnt(2)
	v_add_f64 v[16:17], v[12:13], v[32:33]
	;; [unrolled: 2-line block ×3, first 2 shown]
	v_cmp_gt_i32_e32 vcc_lo, 32, v28
	v_cndmask_b32_e32 v12, v36, v28, vcc_lo
	v_cmp_eq_u32_e32 vcc_lo, 3, v0
	v_lshlrev_b32_e32 v29, 2, v12
	ds_bpermute_b32 v32, v29, v10
	ds_bpermute_b32 v33, v29, v11
	;; [unrolled: 1-line block ×12, first 2 shown]
	s_and_b32 exec_lo, exec_lo, vcc_lo
	s_cbranch_execz .LBB131_21
; %bb.17:
	v_cmp_eq_f64_e32 vcc_lo, 0, v[5:6]
	v_cmp_eq_f64_e64 s0, 0, v[7:8]
	s_waitcnt lgkmcnt(10)
	v_add_f64 v[10:11], v[10:11], v[32:33]
	s_waitcnt lgkmcnt(8)
	v_add_f64 v[20:21], v[26:27], v[20:21]
	;; [unrolled: 2-line block ×6, first 2 shown]
	s_load_dwordx2 s[2:3], s[4:5], 0x48
	s_and_b32 s0, vcc_lo, s0
	s_and_saveexec_b32 s1, s0
	s_xor_b32 s0, exec_lo, s1
	s_cbranch_execz .LBB131_19
; %bb.18:
	v_mul_f64 v[5:6], v[20:21], -v[3:4]
	v_mul_f64 v[7:8], v[1:2], v[20:21]
	v_mul_f64 v[20:21], v[18:19], -v[3:4]
	v_mul_f64 v[18:19], v[1:2], v[18:19]
	;; [unrolled: 2-line block ×3, first 2 shown]
	v_lshl_add_u32 v24, v9, 1, v9
	v_ashrrev_i32_e32 v25, 31, v24
	v_fma_f64 v[5:6], v[1:2], v[10:11], v[5:6]
	v_fma_f64 v[7:8], v[3:4], v[10:11], v[7:8]
	;; [unrolled: 1-line block ×6, first 2 shown]
	v_lshlrev_b64 v[13:14], 4, v[24:25]
                                        ; implicit-def: $vgpr20_vgpr21
                                        ; implicit-def: $vgpr18_vgpr19
                                        ; implicit-def: $vgpr16_vgpr17
	s_waitcnt lgkmcnt(0)
	v_add_co_u32 v13, vcc_lo, s2, v13
	v_add_co_ci_u32_e64 v14, null, s3, v14, vcc_lo
	global_store_dwordx4 v[13:14], v[5:8], off
	global_store_dwordx4 v[13:14], v[9:12], off offset:16
	global_store_dwordx4 v[13:14], v[0:3], off offset:32
                                        ; implicit-def: $vgpr9
                                        ; implicit-def: $vgpr10_vgpr11
                                        ; implicit-def: $vgpr12_vgpr13
                                        ; implicit-def: $vgpr14_vgpr15
                                        ; implicit-def: $vgpr7_vgpr8
                                        ; implicit-def: $vgpr3_vgpr4
.LBB131_19:
	s_andn2_saveexec_b32 s0, s0
	s_cbranch_execz .LBB131_21
; %bb.20:
	v_lshl_add_u32 v22, v9, 1, v9
	v_mul_f64 v[36:37], v[20:21], -v[3:4]
	v_mul_f64 v[20:21], v[1:2], v[20:21]
	v_mul_f64 v[38:39], v[18:19], -v[3:4]
	v_mul_f64 v[18:19], v[1:2], v[18:19]
	v_ashrrev_i32_e32 v23, 31, v22
	v_mul_f64 v[40:41], v[16:17], -v[3:4]
	v_mul_f64 v[16:17], v[1:2], v[16:17]
	v_lshlrev_b64 v[22:23], 4, v[22:23]
	s_waitcnt lgkmcnt(0)
	v_add_co_u32 v34, vcc_lo, s2, v22
	v_add_co_ci_u32_e64 v35, null, s3, v23, vcc_lo
	s_clause 0x2
	global_load_dwordx4 v[22:25], v[34:35], off
	global_load_dwordx4 v[26:29], v[34:35], off offset:16
	global_load_dwordx4 v[30:33], v[34:35], off offset:32
	v_fma_f64 v[36:37], v[1:2], v[10:11], v[36:37]
	v_fma_f64 v[9:10], v[3:4], v[10:11], v[20:21]
	;; [unrolled: 1-line block ×6, first 2 shown]
	s_waitcnt vmcnt(2)
	v_fma_f64 v[13:14], v[5:6], v[22:23], v[36:37]
	v_fma_f64 v[9:10], v[7:8], v[22:23], v[9:10]
	s_waitcnt vmcnt(1)
	v_fma_f64 v[15:16], v[5:6], v[26:27], v[20:21]
	v_fma_f64 v[11:12], v[7:8], v[26:27], v[11:12]
	s_waitcnt vmcnt(0)
	v_fma_f64 v[17:18], v[5:6], v[30:31], v[0:1]
	v_fma_f64 v[19:20], v[7:8], v[30:31], v[2:3]
	v_fma_f64 v[0:1], -v[7:8], v[24:25], v[13:14]
	v_fma_f64 v[2:3], v[5:6], v[24:25], v[9:10]
	v_fma_f64 v[9:10], -v[7:8], v[28:29], v[15:16]
	v_fma_f64 v[11:12], v[5:6], v[28:29], v[11:12]
	;; [unrolled: 2-line block ×3, first 2 shown]
	global_store_dwordx4 v[34:35], v[0:3], off
	global_store_dwordx4 v[34:35], v[9:12], off offset:16
	global_store_dwordx4 v[34:35], v[13:16], off offset:32
.LBB131_21:
	s_endpgm
	.section	.rodata,"a",@progbits
	.p2align	6, 0x0
	.amdhsa_kernel _ZN9rocsparseL19gebsrmvn_3xn_kernelILj128ELj6ELj4E21rocsparse_complex_numIdEEEvi20rocsparse_direction_NS_24const_host_device_scalarIT2_EEPKiS8_PKS5_SA_S6_PS5_21rocsparse_index_base_b
		.amdhsa_group_segment_fixed_size 0
		.amdhsa_private_segment_fixed_size 0
		.amdhsa_kernarg_size 88
		.amdhsa_user_sgpr_count 6
		.amdhsa_user_sgpr_private_segment_buffer 1
		.amdhsa_user_sgpr_dispatch_ptr 0
		.amdhsa_user_sgpr_queue_ptr 0
		.amdhsa_user_sgpr_kernarg_segment_ptr 1
		.amdhsa_user_sgpr_dispatch_id 0
		.amdhsa_user_sgpr_flat_scratch_init 0
		.amdhsa_user_sgpr_private_segment_size 0
		.amdhsa_wavefront_size32 1
		.amdhsa_uses_dynamic_stack 0
		.amdhsa_system_sgpr_private_segment_wavefront_offset 0
		.amdhsa_system_sgpr_workgroup_id_x 1
		.amdhsa_system_sgpr_workgroup_id_y 0
		.amdhsa_system_sgpr_workgroup_id_z 0
		.amdhsa_system_sgpr_workgroup_info 0
		.amdhsa_system_vgpr_workitem_id 0
		.amdhsa_next_free_vgpr 108
		.amdhsa_next_free_sgpr 16
		.amdhsa_reserve_vcc 1
		.amdhsa_reserve_flat_scratch 0
		.amdhsa_float_round_mode_32 0
		.amdhsa_float_round_mode_16_64 0
		.amdhsa_float_denorm_mode_32 3
		.amdhsa_float_denorm_mode_16_64 3
		.amdhsa_dx10_clamp 1
		.amdhsa_ieee_mode 1
		.amdhsa_fp16_overflow 0
		.amdhsa_workgroup_processor_mode 1
		.amdhsa_memory_ordered 1
		.amdhsa_forward_progress 1
		.amdhsa_shared_vgpr_count 0
		.amdhsa_exception_fp_ieee_invalid_op 0
		.amdhsa_exception_fp_denorm_src 0
		.amdhsa_exception_fp_ieee_div_zero 0
		.amdhsa_exception_fp_ieee_overflow 0
		.amdhsa_exception_fp_ieee_underflow 0
		.amdhsa_exception_fp_ieee_inexact 0
		.amdhsa_exception_int_div_zero 0
	.end_amdhsa_kernel
	.section	.text._ZN9rocsparseL19gebsrmvn_3xn_kernelILj128ELj6ELj4E21rocsparse_complex_numIdEEEvi20rocsparse_direction_NS_24const_host_device_scalarIT2_EEPKiS8_PKS5_SA_S6_PS5_21rocsparse_index_base_b,"axG",@progbits,_ZN9rocsparseL19gebsrmvn_3xn_kernelILj128ELj6ELj4E21rocsparse_complex_numIdEEEvi20rocsparse_direction_NS_24const_host_device_scalarIT2_EEPKiS8_PKS5_SA_S6_PS5_21rocsparse_index_base_b,comdat
.Lfunc_end131:
	.size	_ZN9rocsparseL19gebsrmvn_3xn_kernelILj128ELj6ELj4E21rocsparse_complex_numIdEEEvi20rocsparse_direction_NS_24const_host_device_scalarIT2_EEPKiS8_PKS5_SA_S6_PS5_21rocsparse_index_base_b, .Lfunc_end131-_ZN9rocsparseL19gebsrmvn_3xn_kernelILj128ELj6ELj4E21rocsparse_complex_numIdEEEvi20rocsparse_direction_NS_24const_host_device_scalarIT2_EEPKiS8_PKS5_SA_S6_PS5_21rocsparse_index_base_b
                                        ; -- End function
	.set _ZN9rocsparseL19gebsrmvn_3xn_kernelILj128ELj6ELj4E21rocsparse_complex_numIdEEEvi20rocsparse_direction_NS_24const_host_device_scalarIT2_EEPKiS8_PKS5_SA_S6_PS5_21rocsparse_index_base_b.num_vgpr, 108
	.set _ZN9rocsparseL19gebsrmvn_3xn_kernelILj128ELj6ELj4E21rocsparse_complex_numIdEEEvi20rocsparse_direction_NS_24const_host_device_scalarIT2_EEPKiS8_PKS5_SA_S6_PS5_21rocsparse_index_base_b.num_agpr, 0
	.set _ZN9rocsparseL19gebsrmvn_3xn_kernelILj128ELj6ELj4E21rocsparse_complex_numIdEEEvi20rocsparse_direction_NS_24const_host_device_scalarIT2_EEPKiS8_PKS5_SA_S6_PS5_21rocsparse_index_base_b.numbered_sgpr, 16
	.set _ZN9rocsparseL19gebsrmvn_3xn_kernelILj128ELj6ELj4E21rocsparse_complex_numIdEEEvi20rocsparse_direction_NS_24const_host_device_scalarIT2_EEPKiS8_PKS5_SA_S6_PS5_21rocsparse_index_base_b.num_named_barrier, 0
	.set _ZN9rocsparseL19gebsrmvn_3xn_kernelILj128ELj6ELj4E21rocsparse_complex_numIdEEEvi20rocsparse_direction_NS_24const_host_device_scalarIT2_EEPKiS8_PKS5_SA_S6_PS5_21rocsparse_index_base_b.private_seg_size, 0
	.set _ZN9rocsparseL19gebsrmvn_3xn_kernelILj128ELj6ELj4E21rocsparse_complex_numIdEEEvi20rocsparse_direction_NS_24const_host_device_scalarIT2_EEPKiS8_PKS5_SA_S6_PS5_21rocsparse_index_base_b.uses_vcc, 1
	.set _ZN9rocsparseL19gebsrmvn_3xn_kernelILj128ELj6ELj4E21rocsparse_complex_numIdEEEvi20rocsparse_direction_NS_24const_host_device_scalarIT2_EEPKiS8_PKS5_SA_S6_PS5_21rocsparse_index_base_b.uses_flat_scratch, 0
	.set _ZN9rocsparseL19gebsrmvn_3xn_kernelILj128ELj6ELj4E21rocsparse_complex_numIdEEEvi20rocsparse_direction_NS_24const_host_device_scalarIT2_EEPKiS8_PKS5_SA_S6_PS5_21rocsparse_index_base_b.has_dyn_sized_stack, 0
	.set _ZN9rocsparseL19gebsrmvn_3xn_kernelILj128ELj6ELj4E21rocsparse_complex_numIdEEEvi20rocsparse_direction_NS_24const_host_device_scalarIT2_EEPKiS8_PKS5_SA_S6_PS5_21rocsparse_index_base_b.has_recursion, 0
	.set _ZN9rocsparseL19gebsrmvn_3xn_kernelILj128ELj6ELj4E21rocsparse_complex_numIdEEEvi20rocsparse_direction_NS_24const_host_device_scalarIT2_EEPKiS8_PKS5_SA_S6_PS5_21rocsparse_index_base_b.has_indirect_call, 0
	.section	.AMDGPU.csdata,"",@progbits
; Kernel info:
; codeLenInByte = 4428
; TotalNumSgprs: 18
; NumVgprs: 108
; ScratchSize: 0
; MemoryBound: 0
; FloatMode: 240
; IeeeMode: 1
; LDSByteSize: 0 bytes/workgroup (compile time only)
; SGPRBlocks: 0
; VGPRBlocks: 13
; NumSGPRsForWavesPerEU: 18
; NumVGPRsForWavesPerEU: 108
; Occupancy: 9
; WaveLimiterHint : 1
; COMPUTE_PGM_RSRC2:SCRATCH_EN: 0
; COMPUTE_PGM_RSRC2:USER_SGPR: 6
; COMPUTE_PGM_RSRC2:TRAP_HANDLER: 0
; COMPUTE_PGM_RSRC2:TGID_X_EN: 1
; COMPUTE_PGM_RSRC2:TGID_Y_EN: 0
; COMPUTE_PGM_RSRC2:TGID_Z_EN: 0
; COMPUTE_PGM_RSRC2:TIDIG_COMP_CNT: 0
	.section	.text._ZN9rocsparseL19gebsrmvn_3xn_kernelILj128ELj6ELj8E21rocsparse_complex_numIdEEEvi20rocsparse_direction_NS_24const_host_device_scalarIT2_EEPKiS8_PKS5_SA_S6_PS5_21rocsparse_index_base_b,"axG",@progbits,_ZN9rocsparseL19gebsrmvn_3xn_kernelILj128ELj6ELj8E21rocsparse_complex_numIdEEEvi20rocsparse_direction_NS_24const_host_device_scalarIT2_EEPKiS8_PKS5_SA_S6_PS5_21rocsparse_index_base_b,comdat
	.globl	_ZN9rocsparseL19gebsrmvn_3xn_kernelILj128ELj6ELj8E21rocsparse_complex_numIdEEEvi20rocsparse_direction_NS_24const_host_device_scalarIT2_EEPKiS8_PKS5_SA_S6_PS5_21rocsparse_index_base_b ; -- Begin function _ZN9rocsparseL19gebsrmvn_3xn_kernelILj128ELj6ELj8E21rocsparse_complex_numIdEEEvi20rocsparse_direction_NS_24const_host_device_scalarIT2_EEPKiS8_PKS5_SA_S6_PS5_21rocsparse_index_base_b
	.p2align	8
	.type	_ZN9rocsparseL19gebsrmvn_3xn_kernelILj128ELj6ELj8E21rocsparse_complex_numIdEEEvi20rocsparse_direction_NS_24const_host_device_scalarIT2_EEPKiS8_PKS5_SA_S6_PS5_21rocsparse_index_base_b,@function
_ZN9rocsparseL19gebsrmvn_3xn_kernelILj128ELj6ELj8E21rocsparse_complex_numIdEEEvi20rocsparse_direction_NS_24const_host_device_scalarIT2_EEPKiS8_PKS5_SA_S6_PS5_21rocsparse_index_base_b: ; @_ZN9rocsparseL19gebsrmvn_3xn_kernelILj128ELj6ELj8E21rocsparse_complex_numIdEEEvi20rocsparse_direction_NS_24const_host_device_scalarIT2_EEPKiS8_PKS5_SA_S6_PS5_21rocsparse_index_base_b
; %bb.0:
	s_clause 0x1
	s_load_dwordx2 s[2:3], s[4:5], 0x50
	s_load_dwordx2 s[0:1], s[4:5], 0x8
	s_add_u32 s7, s4, 8
	s_addc_u32 s10, s5, 0
	s_add_u32 s11, s4, 56
	s_addc_u32 s12, s5, 0
	s_load_dwordx2 s[8:9], s[4:5], 0x38
	s_waitcnt lgkmcnt(0)
	s_bitcmp1_b32 s3, 0
	s_cselect_b32 s0, s7, s0
	s_cselect_b32 s1, s10, s1
	v_mov_b32_e32 v1, s0
	v_mov_b32_e32 v2, s1
	s_cselect_b32 s0, s11, s8
	s_cselect_b32 s1, s12, s9
	v_mov_b32_e32 v5, s0
	v_mov_b32_e32 v6, s1
	flat_load_dwordx4 v[1:4], v[1:2]
	flat_load_dwordx4 v[5:8], v[5:6]
	s_waitcnt vmcnt(1) lgkmcnt(1)
	v_cmp_eq_f64_e32 vcc_lo, 0, v[1:2]
	v_cmp_eq_f64_e64 s0, 0, v[3:4]
	s_and_b32 s3, vcc_lo, s0
	s_mov_b32 s0, -1
	s_and_saveexec_b32 s1, s3
	s_cbranch_execz .LBB132_2
; %bb.1:
	s_waitcnt vmcnt(0) lgkmcnt(0)
	v_cmp_neq_f64_e32 vcc_lo, 1.0, v[5:6]
	v_cmp_neq_f64_e64 s0, 0, v[7:8]
	s_or_b32 s0, vcc_lo, s0
	s_orn2_b32 s0, s0, exec_lo
.LBB132_2:
	s_or_b32 exec_lo, exec_lo, s1
	s_and_saveexec_b32 s1, s0
	s_cbranch_execz .LBB132_21
; %bb.3:
	s_load_dwordx2 s[0:1], s[4:5], 0x0
	v_lshrrev_b32_e32 v9, 3, v0
	v_lshl_or_b32 v9, s6, 4, v9
	s_waitcnt lgkmcnt(0)
	v_cmp_gt_i32_e32 vcc_lo, s0, v9
	s_and_b32 exec_lo, exec_lo, vcc_lo
	s_cbranch_execz .LBB132_21
; %bb.4:
	s_load_dwordx8 s[8:15], s[4:5], 0x18
	v_ashrrev_i32_e32 v10, 31, v9
	v_and_b32_e32 v0, 7, v0
	s_cmp_lg_u32 s1, 0
	v_lshlrev_b64 v[10:11], 2, v[9:10]
	s_waitcnt lgkmcnt(0)
	v_add_co_u32 v10, vcc_lo, s8, v10
	v_add_co_ci_u32_e64 v11, null, s9, v11, vcc_lo
	global_load_dwordx2 v[10:11], v[10:11], off
	s_waitcnt vmcnt(0)
	v_subrev_nc_u32_e32 v10, s2, v10
	v_subrev_nc_u32_e32 v31, s2, v11
	v_add_nc_u32_e32 v10, v10, v0
	v_cmp_lt_i32_e64 s0, v10, v31
	s_cbranch_scc0 .LBB132_10
; %bb.5:
	v_mov_b32_e32 v16, 0
	v_mov_b32_e32 v22, 0
	;; [unrolled: 1-line block ×12, first 2 shown]
	s_and_saveexec_b32 s1, s0
	s_cbranch_execz .LBB132_9
; %bb.6:
	v_mad_u64_u32 v[24:25], null, v10, 18, 17
	v_mov_b32_e32 v16, 0
	v_mov_b32_e32 v22, 0
	;; [unrolled: 1-line block ×14, first 2 shown]
	s_mov_b32 s3, 0
.LBB132_7:                              ; =>This Inner Loop Header: Depth=1
	v_ashrrev_i32_e32 v29, 31, v28
	v_subrev_nc_u32_e32 v26, 17, v24
	v_mov_b32_e32 v25, v27
	v_mov_b32_e32 v30, v27
	v_lshlrev_b64 v[32:33], 2, v[28:29]
	v_lshlrev_b64 v[34:35], 4, v[26:27]
	v_add_nc_u32_e32 v26, -15, v24
	v_add_nc_u32_e32 v28, 8, v28
	v_add_co_u32 v32, vcc_lo, s10, v32
	v_add_co_ci_u32_e64 v33, null, s11, v33, vcc_lo
	v_lshlrev_b64 v[36:37], 4, v[26:27]
	v_add_nc_u32_e32 v26, -14, v24
	v_add_co_u32 v38, vcc_lo, s12, v34
	global_load_dword v11, v[32:33], off
	v_lshlrev_b64 v[32:33], 4, v[24:25]
	v_lshlrev_b64 v[48:49], 4, v[26:27]
	v_add_nc_u32_e32 v26, -13, v24
	v_add_co_ci_u32_e64 v39, null, s13, v35, vcc_lo
	v_add_co_u32 v40, vcc_lo, s12, v32
	v_lshlrev_b64 v[50:51], 4, v[26:27]
	v_add_nc_u32_e32 v26, -12, v24
	v_add_co_ci_u32_e64 v41, null, s13, v33, vcc_lo
	v_add_co_u32 v44, vcc_lo, s12, v36
	;; [unrolled: 4-line block ×3, first 2 shown]
	v_lshlrev_b64 v[25:26], 4, v[26:27]
	v_add_co_ci_u32_e64 v49, null, s13, v49, vcc_lo
	v_add_co_u32 v52, vcc_lo, s12, v50
	v_add_co_ci_u32_e64 v53, null, s13, v51, vcc_lo
	v_add_co_u32 v56, vcc_lo, s12, v56
	;; [unrolled: 2-line block ×3, first 2 shown]
	v_add_co_ci_u32_e64 v26, null, s13, v26, vcc_lo
	s_clause 0x7
	global_load_dwordx4 v[32:35], v[38:39], off offset:16
	global_load_dwordx4 v[36:39], v[38:39], off
	global_load_dwordx4 v[40:43], v[40:41], off
	;; [unrolled: 1-line block ×7, first 2 shown]
	s_waitcnt vmcnt(8)
	v_subrev_nc_u32_e32 v11, s2, v11
	v_mul_lo_u32 v29, v11, 6
	v_lshlrev_b64 v[64:65], 4, v[29:30]
	v_add_nc_u32_e32 v26, 2, v29
	v_lshlrev_b64 v[72:73], 4, v[26:27]
	v_add_co_u32 v68, vcc_lo, s14, v64
	v_add_co_ci_u32_e64 v69, null, s15, v65, vcc_lo
	v_add_nc_u32_e32 v26, -10, v24
	s_clause 0x1
	global_load_dwordx4 v[64:67], v[68:69], off
	global_load_dwordx4 v[68:71], v[68:69], off offset:16
	v_add_co_u32 v76, vcc_lo, s14, v72
	v_lshlrev_b64 v[74:75], 4, v[26:27]
	v_add_nc_u32_e32 v26, -9, v24
	v_add_co_ci_u32_e64 v77, null, s15, v73, vcc_lo
	v_lshlrev_b64 v[80:81], 4, v[26:27]
	v_add_co_u32 v82, vcc_lo, s12, v74
	v_add_co_ci_u32_e64 v83, null, s13, v75, vcc_lo
	s_clause 0x1
	global_load_dwordx4 v[72:75], v[76:77], off
	global_load_dwordx4 v[76:79], v[76:77], off offset:16
	v_add_co_u32 v84, vcc_lo, s12, v80
	v_add_co_ci_u32_e64 v85, null, s13, v81, vcc_lo
	global_load_dwordx4 v[80:83], v[82:83], off
	v_add_nc_u32_e32 v26, -8, v24
	global_load_dwordx4 v[84:87], v[84:85], off
	v_lshlrev_b64 v[88:89], 4, v[26:27]
	v_add_nc_u32_e32 v26, -7, v24
	v_lshlrev_b64 v[90:91], 4, v[26:27]
	v_add_nc_u32_e32 v26, -6, v24
	v_add_co_u32 v88, vcc_lo, s12, v88
	v_add_co_ci_u32_e64 v89, null, s13, v89, vcc_lo
	v_lshlrev_b64 v[92:93], 4, v[26:27]
	v_add_nc_u32_e32 v26, -5, v24
	v_add_co_u32 v94, vcc_lo, s12, v90
	v_add_co_ci_u32_e64 v95, null, s13, v91, vcc_lo
	v_lshlrev_b64 v[96:97], 4, v[26:27]
	v_add_nc_u32_e32 v26, 4, v29
	v_add_co_u32 v29, vcc_lo, s12, v92
	v_add_co_ci_u32_e64 v30, null, s13, v93, vcc_lo
	v_add_co_u32 v102, vcc_lo, s12, v96
	s_clause 0x1
	global_load_dwordx4 v[88:91], v[88:89], off
	global_load_dwordx4 v[92:95], v[94:95], off
	v_add_co_ci_u32_e64 v103, null, s13, v97, vcc_lo
	global_load_dwordx4 v[96:99], v[29:30], off
	v_lshlrev_b64 v[100:101], 4, v[26:27]
	v_add_nc_u32_e32 v26, -4, v24
	v_add_co_u32 v100, vcc_lo, s14, v100
	v_add_co_ci_u32_e64 v101, null, s15, v101, vcc_lo
	s_waitcnt vmcnt(8)
	v_fma_f64 v[16:17], v[38:39], v[64:65], v[16:17]
	v_fma_f64 v[22:23], v[36:37], v[64:65], v[22:23]
	;; [unrolled: 1-line block ×7, first 2 shown]
	v_lshlrev_b64 v[16:17], 4, v[26:27]
	v_add_nc_u32_e32 v26, -3, v24
	v_fma_f64 v[29:30], -v[38:39], v[66:67], v[22:23]
	global_load_dwordx4 v[36:39], v[102:103], off
	v_fma_f64 v[102:103], -v[34:35], v[66:67], v[18:19]
	v_fma_f64 v[106:107], v[32:33], v[66:67], v[20:21]
	v_lshlrev_b64 v[18:19], 4, v[26:27]
	v_add_co_u32 v16, vcc_lo, s12, v16
	v_add_co_ci_u32_e64 v17, null, s13, v17, vcc_lo
	v_fma_f64 v[64:65], -v[46:47], v[66:67], v[11:12]
	v_add_co_u32 v20, vcc_lo, s12, v18
	v_add_co_ci_u32_e64 v21, null, s13, v19, vcc_lo
	v_fma_f64 v[66:67], v[44:45], v[66:67], v[13:14]
	global_load_dwordx4 v[11:14], v[100:101], off
	s_clause 0x1
	global_load_dwordx4 v[15:18], v[16:17], off
	global_load_dwordx4 v[19:22], v[20:21], off
	v_add_nc_u32_e32 v26, -2, v24
	s_waitcnt vmcnt(11)
	v_fma_f64 v[34:35], v[50:51], v[68:69], v[104:105]
	v_fma_f64 v[29:30], v[48:49], v[68:69], v[29:30]
	v_lshlrev_b64 v[32:33], 4, v[26:27]
	v_fma_f64 v[46:47], v[52:53], v[68:69], v[102:103]
	v_add_nc_u32_e32 v26, -1, v24
	v_add_nc_u32_e32 v24, 0x90, v24
	v_add_co_u32 v44, vcc_lo, s12, v32
	v_lshlrev_b64 v[25:26], 4, v[26:27]
	v_add_co_ci_u32_e64 v45, null, s13, v33, vcc_lo
	v_add_co_u32 v25, vcc_lo, s12, v25
	v_add_co_ci_u32_e64 v26, null, s13, v26, vcc_lo
	v_fma_f64 v[104:105], v[48:49], v[70:71], v[34:35]
	v_fma_f64 v[48:49], v[54:55], v[68:69], v[106:107]
	global_load_dwordx4 v[32:35], v[100:101], off offset:16
	v_fma_f64 v[29:30], -v[50:51], v[70:71], v[29:30]
	v_cmp_ge_i32_e32 vcc_lo, v28, v31
	v_fma_f64 v[54:55], -v[54:55], v[70:71], v[46:47]
	s_or_b32 s3, vcc_lo, s3
	v_fma_f64 v[52:53], v[52:53], v[70:71], v[48:49]
	s_clause 0x1
	global_load_dwordx4 v[44:47], v[44:45], off
	global_load_dwordx4 v[48:51], v[25:26], off
	v_fma_f64 v[25:26], v[56:57], v[68:69], v[64:65]
	v_fma_f64 v[64:65], v[58:59], v[68:69], v[66:67]
	s_waitcnt vmcnt(13)
	v_fma_f64 v[29:30], v[60:61], v[72:73], v[29:30]
	s_waitcnt vmcnt(11)
	v_fma_f64 v[54:55], v[80:81], v[72:73], v[54:55]
	v_fma_f64 v[52:53], v[82:83], v[72:73], v[52:53]
	v_fma_f64 v[25:26], -v[58:59], v[70:71], v[25:26]
	v_fma_f64 v[56:57], v[56:57], v[70:71], v[64:65]
	v_fma_f64 v[58:59], v[62:63], v[72:73], v[104:105]
	v_fma_f64 v[29:30], -v[62:63], v[74:75], v[29:30]
	v_fma_f64 v[54:55], -v[82:83], v[74:75], v[54:55]
	v_fma_f64 v[52:53], v[80:81], v[74:75], v[52:53]
	s_waitcnt vmcnt(10)
	v_fma_f64 v[25:26], v[84:85], v[72:73], v[25:26]
	v_fma_f64 v[56:57], v[86:87], v[72:73], v[56:57]
	;; [unrolled: 1-line block ×3, first 2 shown]
	s_waitcnt vmcnt(9)
	v_fma_f64 v[29:30], v[88:89], v[76:77], v[29:30]
	s_waitcnt vmcnt(8)
	v_fma_f64 v[54:55], v[92:93], v[76:77], v[54:55]
	v_fma_f64 v[52:53], v[94:95], v[76:77], v[52:53]
	v_fma_f64 v[25:26], -v[86:87], v[74:75], v[25:26]
	v_fma_f64 v[56:57], v[84:85], v[74:75], v[56:57]
	v_fma_f64 v[58:59], v[90:91], v[76:77], v[58:59]
	v_fma_f64 v[29:30], -v[90:91], v[78:79], v[29:30]
	v_fma_f64 v[54:55], -v[94:95], v[78:79], v[54:55]
	v_fma_f64 v[52:53], v[92:93], v[78:79], v[52:53]
	s_waitcnt vmcnt(7)
	v_fma_f64 v[25:26], v[96:97], v[76:77], v[25:26]
	v_fma_f64 v[56:57], v[98:99], v[76:77], v[56:57]
	;; [unrolled: 1-line block ×3, first 2 shown]
	v_fma_f64 v[25:26], -v[98:99], v[78:79], v[25:26]
	v_fma_f64 v[56:57], v[96:97], v[78:79], v[56:57]
	s_waitcnt vmcnt(5)
	v_fma_f64 v[29:30], v[36:37], v[11:12], v[29:30]
	v_fma_f64 v[58:59], v[38:39], v[11:12], v[58:59]
	s_waitcnt vmcnt(4)
	v_fma_f64 v[54:55], v[15:16], v[11:12], v[54:55]
	v_fma_f64 v[52:53], v[17:18], v[11:12], v[52:53]
	s_waitcnt vmcnt(3)
	v_fma_f64 v[25:26], v[19:20], v[11:12], v[25:26]
	v_fma_f64 v[11:12], v[21:22], v[11:12], v[56:57]
	v_fma_f64 v[29:30], -v[38:39], v[13:14], v[29:30]
	v_fma_f64 v[36:37], v[36:37], v[13:14], v[58:59]
	v_fma_f64 v[17:18], -v[17:18], v[13:14], v[54:55]
	;; [unrolled: 2-line block ×3, first 2 shown]
	v_fma_f64 v[11:12], v[19:20], v[13:14], v[11:12]
	s_waitcnt vmcnt(1)
	v_fma_f64 v[13:14], v[44:45], v[32:33], v[29:30]
	v_fma_f64 v[19:20], v[46:47], v[32:33], v[36:37]
	s_waitcnt vmcnt(0)
	v_fma_f64 v[25:26], v[48:49], v[32:33], v[17:18]
	v_fma_f64 v[29:30], v[50:51], v[32:33], v[15:16]
	;; [unrolled: 1-line block ×4, first 2 shown]
	v_fma_f64 v[22:23], -v[46:47], v[34:35], v[13:14]
	v_fma_f64 v[16:17], v[44:45], v[34:35], v[19:20]
	v_fma_f64 v[18:19], -v[50:51], v[34:35], v[25:26]
	v_fma_f64 v[20:21], v[48:49], v[34:35], v[29:30]
	;; [unrolled: 2-line block ×3, first 2 shown]
	s_andn2_b32 exec_lo, exec_lo, s3
	s_cbranch_execnz .LBB132_7
; %bb.8:
	s_or_b32 exec_lo, exec_lo, s3
.LBB132_9:
	s_or_b32 exec_lo, exec_lo, s1
	s_cbranch_execz .LBB132_11
	s_branch .LBB132_16
.LBB132_10:
                                        ; implicit-def: $vgpr16_vgpr17
                                        ; implicit-def: $vgpr22_vgpr23
                                        ; implicit-def: $vgpr12_vgpr13
                                        ; implicit-def: $vgpr14_vgpr15
                                        ; implicit-def: $vgpr18_vgpr19
                                        ; implicit-def: $vgpr20_vgpr21
.LBB132_11:
	v_mov_b32_e32 v16, 0
	v_mov_b32_e32 v22, 0
	;; [unrolled: 1-line block ×12, first 2 shown]
	s_and_saveexec_b32 s1, s0
	s_cbranch_execz .LBB132_15
; %bb.12:
	v_mad_u64_u32 v[24:25], null, v10, 18, 17
	v_mov_b32_e32 v16, 0
	v_mov_b32_e32 v22, 0
	;; [unrolled: 1-line block ×13, first 2 shown]
	s_mov_b32 s0, 0
.LBB132_13:                             ; =>This Inner Loop Header: Depth=1
	v_ashrrev_i32_e32 v11, 31, v10
	v_subrev_nc_u32_e32 v26, 17, v24
	v_add_nc_u32_e32 v28, -11, v24
	v_mov_b32_e32 v29, v27
	v_add_nc_u32_e32 v32, -5, v24
	v_lshlrev_b64 v[36:37], 2, v[10:11]
	v_lshlrev_b64 v[34:35], 4, v[26:27]
	v_add_nc_u32_e32 v26, -10, v24
	v_mov_b32_e32 v33, v27
	v_mov_b32_e32 v25, v27
	v_lshlrev_b64 v[28:29], 4, v[28:29]
	v_add_co_u32 v36, vcc_lo, s10, v36
	v_add_co_ci_u32_e64 v37, null, s11, v37, vcc_lo
	v_lshlrev_b64 v[40:41], 4, v[26:27]
	v_add_nc_u32_e32 v26, -4, v24
	v_lshlrev_b64 v[32:33], 4, v[32:33]
	global_load_dword v11, v[36:37], off
	v_lshlrev_b64 v[38:39], 4, v[24:25]
	v_add_co_u32 v42, vcc_lo, s12, v34
	v_lshlrev_b64 v[52:53], 4, v[26:27]
	v_add_nc_u32_e32 v26, -15, v24
	v_add_co_ci_u32_e64 v43, null, s13, v35, vcc_lo
	v_add_co_u32 v28, vcc_lo, s12, v28
	v_add_co_ci_u32_e64 v29, null, s13, v29, vcc_lo
	v_add_co_u32 v44, vcc_lo, s12, v32
	;; [unrolled: 2-line block ×3, first 2 shown]
	v_lshlrev_b64 v[25:26], 4, v[26:27]
	v_add_co_ci_u32_e64 v81, null, s13, v39, vcc_lo
	v_add_co_u32 v48, vcc_lo, s12, v40
	v_add_co_ci_u32_e64 v49, null, s13, v41, vcc_lo
	s_clause 0x3
	global_load_dwordx4 v[32:35], v[42:43], off offset:16
	global_load_dwordx4 v[36:39], v[42:43], off
	global_load_dwordx4 v[40:43], v[28:29], off
	;; [unrolled: 1-line block ×3, first 2 shown]
	v_add_co_u32 v28, vcc_lo, s12, v52
	v_add_co_ci_u32_e64 v29, null, s13, v53, vcc_lo
	v_add_co_u32 v25, vcc_lo, s12, v25
	v_add_co_ci_u32_e64 v26, null, s13, v26, vcc_lo
	s_clause 0x2
	global_load_dwordx4 v[48:51], v[48:49], off
	global_load_dwordx4 v[52:55], v[28:29], off
	;; [unrolled: 1-line block ×3, first 2 shown]
	v_mov_b32_e32 v30, v27
	v_add_nc_u32_e32 v10, 8, v10
	s_waitcnt vmcnt(7)
	v_subrev_nc_u32_e32 v11, s2, v11
	v_mul_lo_u32 v29, v11, 6
	v_lshlrev_b64 v[60:61], 4, v[29:30]
	v_add_nc_u32_e32 v26, 2, v29
	v_lshlrev_b64 v[68:69], 4, v[26:27]
	v_add_co_u32 v64, vcc_lo, s14, v60
	v_add_co_ci_u32_e64 v65, null, s15, v61, vcc_lo
	v_add_nc_u32_e32 v26, -9, v24
	v_add_co_u32 v72, vcc_lo, s14, v68
	s_clause 0x1
	global_load_dwordx4 v[60:63], v[64:65], off
	global_load_dwordx4 v[64:67], v[64:65], off offset:16
	v_add_co_ci_u32_e64 v73, null, s15, v69, vcc_lo
	v_lshlrev_b64 v[76:77], 4, v[26:27]
	s_clause 0x1
	global_load_dwordx4 v[68:71], v[72:73], off
	global_load_dwordx4 v[72:75], v[72:73], off offset:16
	v_add_nc_u32_e32 v26, -3, v24
	v_add_co_u32 v76, vcc_lo, s12, v76
	v_add_co_ci_u32_e64 v77, null, s13, v77, vcc_lo
	v_lshlrev_b64 v[78:79], 4, v[26:27]
	v_add_nc_u32_e32 v26, -14, v24
	v_add_co_u32 v84, vcc_lo, s12, v78
	v_add_co_ci_u32_e64 v85, null, s13, v79, vcc_lo
	global_load_dwordx4 v[76:79], v[76:77], off
	v_lshlrev_b64 v[82:83], 4, v[26:27]
	v_add_nc_u32_e32 v26, -8, v24
	s_waitcnt vmcnt(4)
	v_fma_f64 v[22:23], v[36:37], v[60:61], v[22:23]
	v_fma_f64 v[16:17], v[38:39], v[60:61], v[16:17]
	;; [unrolled: 1-line block ×6, first 2 shown]
	v_fma_f64 v[86:87], -v[38:39], v[62:63], v[22:23]
	v_fma_f64 v[88:89], v[36:37], v[62:63], v[16:17]
	global_load_dwordx4 v[36:39], v[84:85], off
	v_lshlrev_b64 v[16:17], 4, v[26:27]
	v_add_nc_u32_e32 v26, -2, v24
	v_fma_f64 v[42:43], -v[42:43], v[62:63], v[18:19]
	v_add_co_u32 v22, vcc_lo, s12, v82
	v_add_co_ci_u32_e64 v23, null, s13, v83, vcc_lo
	v_lshlrev_b64 v[18:19], 4, v[26:27]
	v_add_nc_u32_e32 v26, -13, v24
	v_fma_f64 v[40:41], v[40:41], v[62:63], v[20:21]
	v_add_co_u32 v20, vcc_lo, s12, v16
	v_fma_f64 v[46:47], -v[46:47], v[62:63], v[11:12]
	v_fma_f64 v[44:45], v[44:45], v[62:63], v[13:14]
	v_add_co_ci_u32_e64 v21, null, s13, v17, vcc_lo
	v_add_co_u32 v28, vcc_lo, s12, v18
	v_lshlrev_b64 v[82:83], 4, v[26:27]
	v_add_nc_u32_e32 v26, 4, v29
	v_add_co_ci_u32_e64 v29, null, s13, v19, vcc_lo
	s_waitcnt vmcnt(4)
	v_fma_f64 v[84:85], v[34:35], v[64:65], v[88:89]
	s_clause 0x2
	global_load_dwordx4 v[16:19], v[22:23], off
	global_load_dwordx4 v[11:14], v[20:21], off
	;; [unrolled: 1-line block ×3, first 2 shown]
	v_add_co_u32 v28, vcc_lo, s12, v82
	v_add_co_ci_u32_e64 v29, null, s13, v83, vcc_lo
	v_fma_f64 v[82:83], v[32:33], v[64:65], v[86:87]
	v_fma_f64 v[42:43], v[48:49], v[64:65], v[42:43]
	;; [unrolled: 1-line block ×3, first 2 shown]
	v_lshlrev_b64 v[60:61], 4, v[26:27]
	v_fma_f64 v[46:47], v[52:53], v[64:65], v[46:47]
	v_fma_f64 v[44:45], v[54:55], v[64:65], v[44:45]
	v_add_nc_u32_e32 v26, -7, v24
	v_lshlrev_b64 v[62:63], 4, v[26:27]
	v_add_nc_u32_e32 v26, -1, v24
	v_fma_f64 v[84:85], v[32:33], v[66:67], v[84:85]
	v_fma_f64 v[82:83], -v[34:35], v[66:67], v[82:83]
	global_load_dwordx4 v[32:35], v[28:29], off
	v_add_co_u32 v28, vcc_lo, s14, v60
	v_add_co_ci_u32_e64 v29, null, s15, v61, vcc_lo
	v_lshlrev_b64 v[60:61], 4, v[26:27]
	v_fma_f64 v[86:87], -v[50:51], v[66:67], v[42:43]
	v_fma_f64 v[88:89], v[48:49], v[66:67], v[40:41]
	global_load_dwordx4 v[40:43], v[28:29], off offset:16
	v_fma_f64 v[90:91], -v[54:55], v[66:67], v[46:47]
	v_fma_f64 v[92:93], v[52:53], v[66:67], v[44:45]
	global_load_dwordx4 v[44:47], v[28:29], off
	v_add_co_u32 v28, vcc_lo, s12, v62
	v_add_co_ci_u32_e64 v29, null, s13, v63, vcc_lo
	v_add_co_u32 v52, vcc_lo, s12, v60
	v_add_co_ci_u32_e64 v53, null, s13, v61, vcc_lo
	s_waitcnt vmcnt(9)
	v_fma_f64 v[60:61], v[58:59], v[68:69], v[84:85]
	s_clause 0x1
	global_load_dwordx4 v[48:51], v[28:29], off
	global_load_dwordx4 v[52:55], v[52:53], off
	v_add_nc_u32_e32 v26, -12, v24
	v_fma_f64 v[28:29], v[56:57], v[68:69], v[82:83]
	v_lshlrev_b64 v[62:63], 4, v[26:27]
	s_waitcnt vmcnt(9)
	v_fma_f64 v[64:65], v[78:79], v[68:69], v[88:89]
	v_add_nc_u32_e32 v26, -6, v24
	v_add_nc_u32_e32 v24, 0x90, v24
	v_lshlrev_b64 v[25:26], 4, v[26:27]
	v_fma_f64 v[82:83], v[56:57], v[70:71], v[60:61]
	v_add_co_u32 v60, vcc_lo, s12, v62
	v_add_co_ci_u32_e64 v61, null, s13, v63, vcc_lo
	v_fma_f64 v[62:63], v[76:77], v[68:69], v[86:87]
	v_add_co_u32 v25, vcc_lo, s12, v25
	v_add_co_ci_u32_e64 v26, null, s13, v26, vcc_lo
	v_fma_f64 v[28:29], -v[58:59], v[70:71], v[28:29]
	global_load_dwordx4 v[56:59], v[80:81], off
	v_fma_f64 v[76:77], v[76:77], v[70:71], v[64:65]
	v_cmp_ge_i32_e32 vcc_lo, v10, v31
	s_or_b32 s0, vcc_lo, s0
	v_fma_f64 v[78:79], -v[78:79], v[70:71], v[62:63]
	s_clause 0x1
	global_load_dwordx4 v[60:63], v[60:61], off
	global_load_dwordx4 v[64:67], v[25:26], off
	s_waitcnt vmcnt(11)
	v_fma_f64 v[25:26], v[36:37], v[68:69], v[90:91]
	v_fma_f64 v[68:69], v[38:39], v[68:69], v[92:93]
	v_fma_f64 v[25:26], -v[38:39], v[70:71], v[25:26]
	v_fma_f64 v[36:37], v[36:37], v[70:71], v[68:69]
	s_waitcnt vmcnt(10)
	v_fma_f64 v[28:29], v[16:17], v[72:73], v[28:29]
	v_fma_f64 v[38:39], v[18:19], v[72:73], v[82:83]
	s_waitcnt vmcnt(9)
	v_fma_f64 v[68:69], v[11:12], v[72:73], v[78:79]
	v_fma_f64 v[70:71], v[13:14], v[72:73], v[76:77]
	s_waitcnt vmcnt(8)
	v_fma_f64 v[25:26], v[20:21], v[72:73], v[25:26]
	v_fma_f64 v[36:37], v[22:23], v[72:73], v[36:37]
	v_fma_f64 v[18:19], -v[18:19], v[74:75], v[28:29]
	v_fma_f64 v[15:16], v[16:17], v[74:75], v[38:39]
	v_fma_f64 v[13:14], -v[13:14], v[74:75], v[68:69]
	;; [unrolled: 2-line block ×3, first 2 shown]
	v_fma_f64 v[20:21], v[20:21], v[74:75], v[36:37]
	s_waitcnt vmcnt(5)
	v_fma_f64 v[17:18], v[32:33], v[44:45], v[18:19]
	v_fma_f64 v[15:16], v[34:35], v[44:45], v[15:16]
	s_waitcnt vmcnt(4)
	v_fma_f64 v[13:14], v[48:49], v[44:45], v[13:14]
	;; [unrolled: 3-line block ×3, first 2 shown]
	v_fma_f64 v[19:20], v[54:55], v[44:45], v[20:21]
	v_fma_f64 v[17:18], -v[34:35], v[46:47], v[17:18]
	v_fma_f64 v[15:16], v[32:33], v[46:47], v[15:16]
	v_fma_f64 v[13:14], -v[50:51], v[46:47], v[13:14]
	v_fma_f64 v[11:12], v[48:49], v[46:47], v[11:12]
	v_fma_f64 v[21:22], -v[54:55], v[46:47], v[22:23]
	v_fma_f64 v[19:20], v[52:53], v[46:47], v[19:20]
	s_waitcnt vmcnt(1)
	v_fma_f64 v[17:18], v[60:61], v[40:41], v[17:18]
	v_fma_f64 v[15:16], v[62:63], v[40:41], v[15:16]
	s_waitcnt vmcnt(0)
	v_fma_f64 v[13:14], v[64:65], v[40:41], v[13:14]
	v_fma_f64 v[11:12], v[66:67], v[40:41], v[11:12]
	;; [unrolled: 1-line block ×4, first 2 shown]
	v_fma_f64 v[22:23], -v[62:63], v[42:43], v[17:18]
	v_fma_f64 v[16:17], v[60:61], v[42:43], v[15:16]
	v_fma_f64 v[18:19], -v[66:67], v[42:43], v[13:14]
	v_fma_f64 v[20:21], v[64:65], v[42:43], v[11:12]
	;; [unrolled: 2-line block ×3, first 2 shown]
	s_andn2_b32 exec_lo, exec_lo, s0
	s_cbranch_execnz .LBB132_13
; %bb.14:
	s_or_b32 exec_lo, exec_lo, s0
.LBB132_15:
	s_or_b32 exec_lo, exec_lo, s1
.LBB132_16:
	v_mbcnt_lo_u32_b32 v36, -1, 0
	v_xor_b32_e32 v10, 4, v36
	v_xor_b32_e32 v34, 2, v36
	v_cmp_gt_i32_e32 vcc_lo, 32, v10
	v_cndmask_b32_e32 v10, v36, v10, vcc_lo
	v_cmp_gt_i32_e32 vcc_lo, 32, v34
	v_lshlrev_b32_e32 v33, 2, v10
	ds_bpermute_b32 v10, v33, v22
	ds_bpermute_b32 v11, v33, v23
	;; [unrolled: 1-line block ×12, first 2 shown]
	s_waitcnt lgkmcnt(10)
	v_add_f64 v[10:11], v[22:23], v[10:11]
	s_waitcnt lgkmcnt(8)
	v_add_f64 v[16:17], v[16:17], v[24:25]
	;; [unrolled: 2-line block ×5, first 2 shown]
	v_cndmask_b32_e32 v12, v36, v34, vcc_lo
	s_waitcnt lgkmcnt(0)
	v_add_f64 v[26:27], v[14:15], v[32:33]
	v_lshlrev_b32_e32 v20, 2, v12
	ds_bpermute_b32 v12, v20, v10
	ds_bpermute_b32 v13, v20, v11
	;; [unrolled: 1-line block ×12, first 2 shown]
	s_waitcnt lgkmcnt(10)
	v_add_f64 v[10:11], v[10:11], v[12:13]
	s_waitcnt lgkmcnt(8)
	v_add_f64 v[20:21], v[16:17], v[14:15]
	s_waitcnt lgkmcnt(6)
	v_add_f64 v[12:13], v[18:19], v[28:29]
	v_xor_b32_e32 v28, 1, v36
	s_waitcnt lgkmcnt(4)
	v_add_f64 v[18:19], v[22:23], v[30:31]
	s_waitcnt lgkmcnt(2)
	v_add_f64 v[14:15], v[24:25], v[32:33]
	;; [unrolled: 2-line block ×3, first 2 shown]
	v_cmp_gt_i32_e32 vcc_lo, 32, v28
	v_cndmask_b32_e32 v22, v36, v28, vcc_lo
	v_cmp_eq_u32_e32 vcc_lo, 7, v0
	v_lshlrev_b32_e32 v25, 2, v22
	ds_bpermute_b32 v32, v25, v10
	ds_bpermute_b32 v33, v25, v11
	;; [unrolled: 1-line block ×12, first 2 shown]
	s_and_b32 exec_lo, exec_lo, vcc_lo
	s_cbranch_execz .LBB132_21
; %bb.17:
	v_cmp_eq_f64_e32 vcc_lo, 0, v[5:6]
	v_cmp_eq_f64_e64 s0, 0, v[7:8]
	s_waitcnt lgkmcnt(10)
	v_add_f64 v[10:11], v[10:11], v[32:33]
	s_waitcnt lgkmcnt(8)
	v_add_f64 v[20:21], v[20:21], v[30:31]
	s_waitcnt lgkmcnt(6)
	v_add_f64 v[12:13], v[12:13], v[28:29]
	s_waitcnt lgkmcnt(4)
	v_add_f64 v[18:19], v[18:19], v[26:27]
	s_waitcnt lgkmcnt(2)
	v_add_f64 v[14:15], v[14:15], v[22:23]
	s_waitcnt lgkmcnt(0)
	v_add_f64 v[16:17], v[16:17], v[24:25]
	s_load_dwordx2 s[2:3], s[4:5], 0x48
	s_and_b32 s0, vcc_lo, s0
	s_and_saveexec_b32 s1, s0
	s_xor_b32 s0, exec_lo, s1
	s_cbranch_execz .LBB132_19
; %bb.18:
	v_mul_f64 v[5:6], v[20:21], -v[3:4]
	v_mul_f64 v[7:8], v[1:2], v[20:21]
	v_mul_f64 v[20:21], v[18:19], -v[3:4]
	v_mul_f64 v[18:19], v[1:2], v[18:19]
	;; [unrolled: 2-line block ×3, first 2 shown]
	v_lshl_add_u32 v24, v9, 1, v9
	v_ashrrev_i32_e32 v25, 31, v24
	v_fma_f64 v[5:6], v[1:2], v[10:11], v[5:6]
	v_fma_f64 v[7:8], v[3:4], v[10:11], v[7:8]
	;; [unrolled: 1-line block ×6, first 2 shown]
	v_lshlrev_b64 v[13:14], 4, v[24:25]
                                        ; implicit-def: $vgpr20_vgpr21
                                        ; implicit-def: $vgpr18_vgpr19
                                        ; implicit-def: $vgpr16_vgpr17
	s_waitcnt lgkmcnt(0)
	v_add_co_u32 v13, vcc_lo, s2, v13
	v_add_co_ci_u32_e64 v14, null, s3, v14, vcc_lo
	global_store_dwordx4 v[13:14], v[5:8], off
	global_store_dwordx4 v[13:14], v[9:12], off offset:16
	global_store_dwordx4 v[13:14], v[0:3], off offset:32
                                        ; implicit-def: $vgpr9
                                        ; implicit-def: $vgpr10_vgpr11
                                        ; implicit-def: $vgpr12_vgpr13
                                        ; implicit-def: $vgpr14_vgpr15
                                        ; implicit-def: $vgpr7_vgpr8
                                        ; implicit-def: $vgpr3_vgpr4
.LBB132_19:
	s_andn2_saveexec_b32 s0, s0
	s_cbranch_execz .LBB132_21
; %bb.20:
	v_lshl_add_u32 v22, v9, 1, v9
	v_mul_f64 v[36:37], v[20:21], -v[3:4]
	v_mul_f64 v[20:21], v[1:2], v[20:21]
	v_mul_f64 v[38:39], v[18:19], -v[3:4]
	v_mul_f64 v[18:19], v[1:2], v[18:19]
	v_ashrrev_i32_e32 v23, 31, v22
	v_mul_f64 v[40:41], v[16:17], -v[3:4]
	v_mul_f64 v[16:17], v[1:2], v[16:17]
	v_lshlrev_b64 v[22:23], 4, v[22:23]
	s_waitcnt lgkmcnt(0)
	v_add_co_u32 v34, vcc_lo, s2, v22
	v_add_co_ci_u32_e64 v35, null, s3, v23, vcc_lo
	s_clause 0x2
	global_load_dwordx4 v[22:25], v[34:35], off
	global_load_dwordx4 v[26:29], v[34:35], off offset:16
	global_load_dwordx4 v[30:33], v[34:35], off offset:32
	v_fma_f64 v[36:37], v[1:2], v[10:11], v[36:37]
	v_fma_f64 v[9:10], v[3:4], v[10:11], v[20:21]
	;; [unrolled: 1-line block ×6, first 2 shown]
	s_waitcnt vmcnt(2)
	v_fma_f64 v[13:14], v[5:6], v[22:23], v[36:37]
	v_fma_f64 v[9:10], v[7:8], v[22:23], v[9:10]
	s_waitcnt vmcnt(1)
	v_fma_f64 v[15:16], v[5:6], v[26:27], v[20:21]
	v_fma_f64 v[11:12], v[7:8], v[26:27], v[11:12]
	;; [unrolled: 3-line block ×3, first 2 shown]
	v_fma_f64 v[0:1], -v[7:8], v[24:25], v[13:14]
	v_fma_f64 v[2:3], v[5:6], v[24:25], v[9:10]
	v_fma_f64 v[9:10], -v[7:8], v[28:29], v[15:16]
	v_fma_f64 v[11:12], v[5:6], v[28:29], v[11:12]
	;; [unrolled: 2-line block ×3, first 2 shown]
	global_store_dwordx4 v[34:35], v[0:3], off
	global_store_dwordx4 v[34:35], v[9:12], off offset:16
	global_store_dwordx4 v[34:35], v[13:16], off offset:32
.LBB132_21:
	s_endpgm
	.section	.rodata,"a",@progbits
	.p2align	6, 0x0
	.amdhsa_kernel _ZN9rocsparseL19gebsrmvn_3xn_kernelILj128ELj6ELj8E21rocsparse_complex_numIdEEEvi20rocsparse_direction_NS_24const_host_device_scalarIT2_EEPKiS8_PKS5_SA_S6_PS5_21rocsparse_index_base_b
		.amdhsa_group_segment_fixed_size 0
		.amdhsa_private_segment_fixed_size 0
		.amdhsa_kernarg_size 88
		.amdhsa_user_sgpr_count 6
		.amdhsa_user_sgpr_private_segment_buffer 1
		.amdhsa_user_sgpr_dispatch_ptr 0
		.amdhsa_user_sgpr_queue_ptr 0
		.amdhsa_user_sgpr_kernarg_segment_ptr 1
		.amdhsa_user_sgpr_dispatch_id 0
		.amdhsa_user_sgpr_flat_scratch_init 0
		.amdhsa_user_sgpr_private_segment_size 0
		.amdhsa_wavefront_size32 1
		.amdhsa_uses_dynamic_stack 0
		.amdhsa_system_sgpr_private_segment_wavefront_offset 0
		.amdhsa_system_sgpr_workgroup_id_x 1
		.amdhsa_system_sgpr_workgroup_id_y 0
		.amdhsa_system_sgpr_workgroup_id_z 0
		.amdhsa_system_sgpr_workgroup_info 0
		.amdhsa_system_vgpr_workitem_id 0
		.amdhsa_next_free_vgpr 108
		.amdhsa_next_free_sgpr 16
		.amdhsa_reserve_vcc 1
		.amdhsa_reserve_flat_scratch 0
		.amdhsa_float_round_mode_32 0
		.amdhsa_float_round_mode_16_64 0
		.amdhsa_float_denorm_mode_32 3
		.amdhsa_float_denorm_mode_16_64 3
		.amdhsa_dx10_clamp 1
		.amdhsa_ieee_mode 1
		.amdhsa_fp16_overflow 0
		.amdhsa_workgroup_processor_mode 1
		.amdhsa_memory_ordered 1
		.amdhsa_forward_progress 1
		.amdhsa_shared_vgpr_count 0
		.amdhsa_exception_fp_ieee_invalid_op 0
		.amdhsa_exception_fp_denorm_src 0
		.amdhsa_exception_fp_ieee_div_zero 0
		.amdhsa_exception_fp_ieee_overflow 0
		.amdhsa_exception_fp_ieee_underflow 0
		.amdhsa_exception_fp_ieee_inexact 0
		.amdhsa_exception_int_div_zero 0
	.end_amdhsa_kernel
	.section	.text._ZN9rocsparseL19gebsrmvn_3xn_kernelILj128ELj6ELj8E21rocsparse_complex_numIdEEEvi20rocsparse_direction_NS_24const_host_device_scalarIT2_EEPKiS8_PKS5_SA_S6_PS5_21rocsparse_index_base_b,"axG",@progbits,_ZN9rocsparseL19gebsrmvn_3xn_kernelILj128ELj6ELj8E21rocsparse_complex_numIdEEEvi20rocsparse_direction_NS_24const_host_device_scalarIT2_EEPKiS8_PKS5_SA_S6_PS5_21rocsparse_index_base_b,comdat
.Lfunc_end132:
	.size	_ZN9rocsparseL19gebsrmvn_3xn_kernelILj128ELj6ELj8E21rocsparse_complex_numIdEEEvi20rocsparse_direction_NS_24const_host_device_scalarIT2_EEPKiS8_PKS5_SA_S6_PS5_21rocsparse_index_base_b, .Lfunc_end132-_ZN9rocsparseL19gebsrmvn_3xn_kernelILj128ELj6ELj8E21rocsparse_complex_numIdEEEvi20rocsparse_direction_NS_24const_host_device_scalarIT2_EEPKiS8_PKS5_SA_S6_PS5_21rocsparse_index_base_b
                                        ; -- End function
	.set _ZN9rocsparseL19gebsrmvn_3xn_kernelILj128ELj6ELj8E21rocsparse_complex_numIdEEEvi20rocsparse_direction_NS_24const_host_device_scalarIT2_EEPKiS8_PKS5_SA_S6_PS5_21rocsparse_index_base_b.num_vgpr, 108
	.set _ZN9rocsparseL19gebsrmvn_3xn_kernelILj128ELj6ELj8E21rocsparse_complex_numIdEEEvi20rocsparse_direction_NS_24const_host_device_scalarIT2_EEPKiS8_PKS5_SA_S6_PS5_21rocsparse_index_base_b.num_agpr, 0
	.set _ZN9rocsparseL19gebsrmvn_3xn_kernelILj128ELj6ELj8E21rocsparse_complex_numIdEEEvi20rocsparse_direction_NS_24const_host_device_scalarIT2_EEPKiS8_PKS5_SA_S6_PS5_21rocsparse_index_base_b.numbered_sgpr, 16
	.set _ZN9rocsparseL19gebsrmvn_3xn_kernelILj128ELj6ELj8E21rocsparse_complex_numIdEEEvi20rocsparse_direction_NS_24const_host_device_scalarIT2_EEPKiS8_PKS5_SA_S6_PS5_21rocsparse_index_base_b.num_named_barrier, 0
	.set _ZN9rocsparseL19gebsrmvn_3xn_kernelILj128ELj6ELj8E21rocsparse_complex_numIdEEEvi20rocsparse_direction_NS_24const_host_device_scalarIT2_EEPKiS8_PKS5_SA_S6_PS5_21rocsparse_index_base_b.private_seg_size, 0
	.set _ZN9rocsparseL19gebsrmvn_3xn_kernelILj128ELj6ELj8E21rocsparse_complex_numIdEEEvi20rocsparse_direction_NS_24const_host_device_scalarIT2_EEPKiS8_PKS5_SA_S6_PS5_21rocsparse_index_base_b.uses_vcc, 1
	.set _ZN9rocsparseL19gebsrmvn_3xn_kernelILj128ELj6ELj8E21rocsparse_complex_numIdEEEvi20rocsparse_direction_NS_24const_host_device_scalarIT2_EEPKiS8_PKS5_SA_S6_PS5_21rocsparse_index_base_b.uses_flat_scratch, 0
	.set _ZN9rocsparseL19gebsrmvn_3xn_kernelILj128ELj6ELj8E21rocsparse_complex_numIdEEEvi20rocsparse_direction_NS_24const_host_device_scalarIT2_EEPKiS8_PKS5_SA_S6_PS5_21rocsparse_index_base_b.has_dyn_sized_stack, 0
	.set _ZN9rocsparseL19gebsrmvn_3xn_kernelILj128ELj6ELj8E21rocsparse_complex_numIdEEEvi20rocsparse_direction_NS_24const_host_device_scalarIT2_EEPKiS8_PKS5_SA_S6_PS5_21rocsparse_index_base_b.has_recursion, 0
	.set _ZN9rocsparseL19gebsrmvn_3xn_kernelILj128ELj6ELj8E21rocsparse_complex_numIdEEEvi20rocsparse_direction_NS_24const_host_device_scalarIT2_EEPKiS8_PKS5_SA_S6_PS5_21rocsparse_index_base_b.has_indirect_call, 0
	.section	.AMDGPU.csdata,"",@progbits
; Kernel info:
; codeLenInByte = 4612
; TotalNumSgprs: 18
; NumVgprs: 108
; ScratchSize: 0
; MemoryBound: 0
; FloatMode: 240
; IeeeMode: 1
; LDSByteSize: 0 bytes/workgroup (compile time only)
; SGPRBlocks: 0
; VGPRBlocks: 13
; NumSGPRsForWavesPerEU: 18
; NumVGPRsForWavesPerEU: 108
; Occupancy: 9
; WaveLimiterHint : 1
; COMPUTE_PGM_RSRC2:SCRATCH_EN: 0
; COMPUTE_PGM_RSRC2:USER_SGPR: 6
; COMPUTE_PGM_RSRC2:TRAP_HANDLER: 0
; COMPUTE_PGM_RSRC2:TGID_X_EN: 1
; COMPUTE_PGM_RSRC2:TGID_Y_EN: 0
; COMPUTE_PGM_RSRC2:TGID_Z_EN: 0
; COMPUTE_PGM_RSRC2:TIDIG_COMP_CNT: 0
	.section	.text._ZN9rocsparseL19gebsrmvn_3xn_kernelILj128ELj6ELj16E21rocsparse_complex_numIdEEEvi20rocsparse_direction_NS_24const_host_device_scalarIT2_EEPKiS8_PKS5_SA_S6_PS5_21rocsparse_index_base_b,"axG",@progbits,_ZN9rocsparseL19gebsrmvn_3xn_kernelILj128ELj6ELj16E21rocsparse_complex_numIdEEEvi20rocsparse_direction_NS_24const_host_device_scalarIT2_EEPKiS8_PKS5_SA_S6_PS5_21rocsparse_index_base_b,comdat
	.globl	_ZN9rocsparseL19gebsrmvn_3xn_kernelILj128ELj6ELj16E21rocsparse_complex_numIdEEEvi20rocsparse_direction_NS_24const_host_device_scalarIT2_EEPKiS8_PKS5_SA_S6_PS5_21rocsparse_index_base_b ; -- Begin function _ZN9rocsparseL19gebsrmvn_3xn_kernelILj128ELj6ELj16E21rocsparse_complex_numIdEEEvi20rocsparse_direction_NS_24const_host_device_scalarIT2_EEPKiS8_PKS5_SA_S6_PS5_21rocsparse_index_base_b
	.p2align	8
	.type	_ZN9rocsparseL19gebsrmvn_3xn_kernelILj128ELj6ELj16E21rocsparse_complex_numIdEEEvi20rocsparse_direction_NS_24const_host_device_scalarIT2_EEPKiS8_PKS5_SA_S6_PS5_21rocsparse_index_base_b,@function
_ZN9rocsparseL19gebsrmvn_3xn_kernelILj128ELj6ELj16E21rocsparse_complex_numIdEEEvi20rocsparse_direction_NS_24const_host_device_scalarIT2_EEPKiS8_PKS5_SA_S6_PS5_21rocsparse_index_base_b: ; @_ZN9rocsparseL19gebsrmvn_3xn_kernelILj128ELj6ELj16E21rocsparse_complex_numIdEEEvi20rocsparse_direction_NS_24const_host_device_scalarIT2_EEPKiS8_PKS5_SA_S6_PS5_21rocsparse_index_base_b
; %bb.0:
	s_clause 0x1
	s_load_dwordx2 s[2:3], s[4:5], 0x50
	s_load_dwordx2 s[0:1], s[4:5], 0x8
	s_add_u32 s7, s4, 8
	s_addc_u32 s10, s5, 0
	s_add_u32 s11, s4, 56
	s_addc_u32 s12, s5, 0
	s_load_dwordx2 s[8:9], s[4:5], 0x38
	s_waitcnt lgkmcnt(0)
	s_bitcmp1_b32 s3, 0
	s_cselect_b32 s0, s7, s0
	s_cselect_b32 s1, s10, s1
	v_mov_b32_e32 v1, s0
	v_mov_b32_e32 v2, s1
	s_cselect_b32 s0, s11, s8
	s_cselect_b32 s1, s12, s9
	v_mov_b32_e32 v5, s0
	v_mov_b32_e32 v6, s1
	flat_load_dwordx4 v[1:4], v[1:2]
	flat_load_dwordx4 v[5:8], v[5:6]
	s_waitcnt vmcnt(1) lgkmcnt(1)
	v_cmp_eq_f64_e32 vcc_lo, 0, v[1:2]
	v_cmp_eq_f64_e64 s0, 0, v[3:4]
	s_and_b32 s3, vcc_lo, s0
	s_mov_b32 s0, -1
	s_and_saveexec_b32 s1, s3
	s_cbranch_execz .LBB133_2
; %bb.1:
	s_waitcnt vmcnt(0) lgkmcnt(0)
	v_cmp_neq_f64_e32 vcc_lo, 1.0, v[5:6]
	v_cmp_neq_f64_e64 s0, 0, v[7:8]
	s_or_b32 s0, vcc_lo, s0
	s_orn2_b32 s0, s0, exec_lo
.LBB133_2:
	s_or_b32 exec_lo, exec_lo, s1
	s_and_saveexec_b32 s1, s0
	s_cbranch_execz .LBB133_21
; %bb.3:
	s_load_dwordx2 s[0:1], s[4:5], 0x0
	v_lshrrev_b32_e32 v9, 4, v0
	v_lshl_or_b32 v9, s6, 3, v9
	s_waitcnt lgkmcnt(0)
	v_cmp_gt_i32_e32 vcc_lo, s0, v9
	s_and_b32 exec_lo, exec_lo, vcc_lo
	s_cbranch_execz .LBB133_21
; %bb.4:
	s_load_dwordx8 s[8:15], s[4:5], 0x18
	v_ashrrev_i32_e32 v10, 31, v9
	v_and_b32_e32 v0, 15, v0
	s_cmp_lg_u32 s1, 0
	v_lshlrev_b64 v[10:11], 2, v[9:10]
	s_waitcnt lgkmcnt(0)
	v_add_co_u32 v10, vcc_lo, s8, v10
	v_add_co_ci_u32_e64 v11, null, s9, v11, vcc_lo
	global_load_dwordx2 v[10:11], v[10:11], off
	s_waitcnt vmcnt(0)
	v_subrev_nc_u32_e32 v10, s2, v10
	v_subrev_nc_u32_e32 v31, s2, v11
	v_add_nc_u32_e32 v10, v10, v0
	v_cmp_lt_i32_e64 s0, v10, v31
	s_cbranch_scc0 .LBB133_10
; %bb.5:
	v_mov_b32_e32 v16, 0
	v_mov_b32_e32 v22, 0
	;; [unrolled: 1-line block ×12, first 2 shown]
	s_and_saveexec_b32 s1, s0
	s_cbranch_execz .LBB133_9
; %bb.6:
	v_mad_u64_u32 v[24:25], null, v10, 18, 17
	v_mov_b32_e32 v16, 0
	v_mov_b32_e32 v22, 0
	v_mov_b32_e32 v12, 0
	v_mov_b32_e32 v14, 0
	v_mov_b32_e32 v18, 0
	v_mov_b32_e32 v20, 0
	v_mov_b32_e32 v17, 0
	v_mov_b32_e32 v27, 0
	v_mov_b32_e32 v23, 0
	v_mov_b32_e32 v13, 0
	v_mov_b32_e32 v15, 0
	v_mov_b32_e32 v19, 0
	v_mov_b32_e32 v21, 0
	v_mov_b32_e32 v28, v10
	s_mov_b32 s3, 0
.LBB133_7:                              ; =>This Inner Loop Header: Depth=1
	v_ashrrev_i32_e32 v29, 31, v28
	v_subrev_nc_u32_e32 v26, 17, v24
	v_mov_b32_e32 v25, v27
	v_mov_b32_e32 v30, v27
	v_lshlrev_b64 v[32:33], 2, v[28:29]
	v_lshlrev_b64 v[34:35], 4, v[26:27]
	v_add_nc_u32_e32 v26, -15, v24
	v_add_nc_u32_e32 v28, 16, v28
	v_add_co_u32 v32, vcc_lo, s10, v32
	v_add_co_ci_u32_e64 v33, null, s11, v33, vcc_lo
	v_lshlrev_b64 v[36:37], 4, v[26:27]
	v_add_nc_u32_e32 v26, -14, v24
	v_add_co_u32 v38, vcc_lo, s12, v34
	global_load_dword v11, v[32:33], off
	v_lshlrev_b64 v[32:33], 4, v[24:25]
	v_lshlrev_b64 v[48:49], 4, v[26:27]
	v_add_nc_u32_e32 v26, -13, v24
	v_add_co_ci_u32_e64 v39, null, s13, v35, vcc_lo
	v_add_co_u32 v40, vcc_lo, s12, v32
	v_lshlrev_b64 v[50:51], 4, v[26:27]
	v_add_nc_u32_e32 v26, -12, v24
	v_add_co_ci_u32_e64 v41, null, s13, v33, vcc_lo
	v_add_co_u32 v44, vcc_lo, s12, v36
	;; [unrolled: 4-line block ×3, first 2 shown]
	v_lshlrev_b64 v[25:26], 4, v[26:27]
	v_add_co_ci_u32_e64 v49, null, s13, v49, vcc_lo
	v_add_co_u32 v52, vcc_lo, s12, v50
	v_add_co_ci_u32_e64 v53, null, s13, v51, vcc_lo
	v_add_co_u32 v56, vcc_lo, s12, v56
	;; [unrolled: 2-line block ×3, first 2 shown]
	v_add_co_ci_u32_e64 v26, null, s13, v26, vcc_lo
	s_clause 0x7
	global_load_dwordx4 v[32:35], v[38:39], off offset:16
	global_load_dwordx4 v[36:39], v[38:39], off
	global_load_dwordx4 v[40:43], v[40:41], off
	global_load_dwordx4 v[44:47], v[44:45], off
	global_load_dwordx4 v[48:51], v[48:49], off
	global_load_dwordx4 v[52:55], v[52:53], off
	global_load_dwordx4 v[56:59], v[56:57], off
	global_load_dwordx4 v[60:63], v[25:26], off
	s_waitcnt vmcnt(8)
	v_subrev_nc_u32_e32 v11, s2, v11
	v_mul_lo_u32 v29, v11, 6
	v_lshlrev_b64 v[64:65], 4, v[29:30]
	v_add_nc_u32_e32 v26, 2, v29
	v_lshlrev_b64 v[72:73], 4, v[26:27]
	v_add_co_u32 v68, vcc_lo, s14, v64
	v_add_co_ci_u32_e64 v69, null, s15, v65, vcc_lo
	v_add_nc_u32_e32 v26, -10, v24
	s_clause 0x1
	global_load_dwordx4 v[64:67], v[68:69], off
	global_load_dwordx4 v[68:71], v[68:69], off offset:16
	v_add_co_u32 v76, vcc_lo, s14, v72
	v_lshlrev_b64 v[74:75], 4, v[26:27]
	v_add_nc_u32_e32 v26, -9, v24
	v_add_co_ci_u32_e64 v77, null, s15, v73, vcc_lo
	v_lshlrev_b64 v[80:81], 4, v[26:27]
	v_add_co_u32 v82, vcc_lo, s12, v74
	v_add_co_ci_u32_e64 v83, null, s13, v75, vcc_lo
	s_clause 0x1
	global_load_dwordx4 v[72:75], v[76:77], off
	global_load_dwordx4 v[76:79], v[76:77], off offset:16
	v_add_co_u32 v84, vcc_lo, s12, v80
	v_add_co_ci_u32_e64 v85, null, s13, v81, vcc_lo
	global_load_dwordx4 v[80:83], v[82:83], off
	v_add_nc_u32_e32 v26, -8, v24
	global_load_dwordx4 v[84:87], v[84:85], off
	v_lshlrev_b64 v[88:89], 4, v[26:27]
	v_add_nc_u32_e32 v26, -7, v24
	v_lshlrev_b64 v[90:91], 4, v[26:27]
	v_add_nc_u32_e32 v26, -6, v24
	v_add_co_u32 v88, vcc_lo, s12, v88
	v_add_co_ci_u32_e64 v89, null, s13, v89, vcc_lo
	v_lshlrev_b64 v[92:93], 4, v[26:27]
	v_add_nc_u32_e32 v26, -5, v24
	v_add_co_u32 v94, vcc_lo, s12, v90
	v_add_co_ci_u32_e64 v95, null, s13, v91, vcc_lo
	v_lshlrev_b64 v[96:97], 4, v[26:27]
	v_add_nc_u32_e32 v26, 4, v29
	v_add_co_u32 v29, vcc_lo, s12, v92
	v_add_co_ci_u32_e64 v30, null, s13, v93, vcc_lo
	v_add_co_u32 v102, vcc_lo, s12, v96
	s_clause 0x1
	global_load_dwordx4 v[88:91], v[88:89], off
	global_load_dwordx4 v[92:95], v[94:95], off
	v_add_co_ci_u32_e64 v103, null, s13, v97, vcc_lo
	global_load_dwordx4 v[96:99], v[29:30], off
	v_lshlrev_b64 v[100:101], 4, v[26:27]
	v_add_nc_u32_e32 v26, -4, v24
	v_add_co_u32 v100, vcc_lo, s14, v100
	v_add_co_ci_u32_e64 v101, null, s15, v101, vcc_lo
	s_waitcnt vmcnt(8)
	v_fma_f64 v[16:17], v[38:39], v[64:65], v[16:17]
	v_fma_f64 v[22:23], v[36:37], v[64:65], v[22:23]
	;; [unrolled: 1-line block ×7, first 2 shown]
	v_lshlrev_b64 v[16:17], 4, v[26:27]
	v_add_nc_u32_e32 v26, -3, v24
	v_fma_f64 v[29:30], -v[38:39], v[66:67], v[22:23]
	global_load_dwordx4 v[36:39], v[102:103], off
	v_fma_f64 v[102:103], -v[34:35], v[66:67], v[18:19]
	v_fma_f64 v[106:107], v[32:33], v[66:67], v[20:21]
	v_lshlrev_b64 v[18:19], 4, v[26:27]
	v_add_co_u32 v16, vcc_lo, s12, v16
	v_add_co_ci_u32_e64 v17, null, s13, v17, vcc_lo
	v_fma_f64 v[64:65], -v[46:47], v[66:67], v[11:12]
	v_add_co_u32 v20, vcc_lo, s12, v18
	v_add_co_ci_u32_e64 v21, null, s13, v19, vcc_lo
	v_fma_f64 v[66:67], v[44:45], v[66:67], v[13:14]
	global_load_dwordx4 v[11:14], v[100:101], off
	s_clause 0x1
	global_load_dwordx4 v[15:18], v[16:17], off
	global_load_dwordx4 v[19:22], v[20:21], off
	v_add_nc_u32_e32 v26, -2, v24
	s_waitcnt vmcnt(11)
	v_fma_f64 v[34:35], v[50:51], v[68:69], v[104:105]
	v_fma_f64 v[29:30], v[48:49], v[68:69], v[29:30]
	v_lshlrev_b64 v[32:33], 4, v[26:27]
	v_fma_f64 v[46:47], v[52:53], v[68:69], v[102:103]
	v_add_nc_u32_e32 v26, -1, v24
	v_add_nc_u32_e32 v24, 0x120, v24
	v_add_co_u32 v44, vcc_lo, s12, v32
	v_lshlrev_b64 v[25:26], 4, v[26:27]
	v_add_co_ci_u32_e64 v45, null, s13, v33, vcc_lo
	v_add_co_u32 v25, vcc_lo, s12, v25
	v_add_co_ci_u32_e64 v26, null, s13, v26, vcc_lo
	v_fma_f64 v[104:105], v[48:49], v[70:71], v[34:35]
	v_fma_f64 v[48:49], v[54:55], v[68:69], v[106:107]
	global_load_dwordx4 v[32:35], v[100:101], off offset:16
	v_fma_f64 v[29:30], -v[50:51], v[70:71], v[29:30]
	v_cmp_ge_i32_e32 vcc_lo, v28, v31
	v_fma_f64 v[54:55], -v[54:55], v[70:71], v[46:47]
	s_or_b32 s3, vcc_lo, s3
	v_fma_f64 v[52:53], v[52:53], v[70:71], v[48:49]
	s_clause 0x1
	global_load_dwordx4 v[44:47], v[44:45], off
	global_load_dwordx4 v[48:51], v[25:26], off
	v_fma_f64 v[25:26], v[56:57], v[68:69], v[64:65]
	v_fma_f64 v[64:65], v[58:59], v[68:69], v[66:67]
	s_waitcnt vmcnt(13)
	v_fma_f64 v[29:30], v[60:61], v[72:73], v[29:30]
	s_waitcnt vmcnt(11)
	v_fma_f64 v[54:55], v[80:81], v[72:73], v[54:55]
	v_fma_f64 v[52:53], v[82:83], v[72:73], v[52:53]
	v_fma_f64 v[25:26], -v[58:59], v[70:71], v[25:26]
	v_fma_f64 v[56:57], v[56:57], v[70:71], v[64:65]
	v_fma_f64 v[58:59], v[62:63], v[72:73], v[104:105]
	v_fma_f64 v[29:30], -v[62:63], v[74:75], v[29:30]
	v_fma_f64 v[54:55], -v[82:83], v[74:75], v[54:55]
	v_fma_f64 v[52:53], v[80:81], v[74:75], v[52:53]
	s_waitcnt vmcnt(10)
	v_fma_f64 v[25:26], v[84:85], v[72:73], v[25:26]
	v_fma_f64 v[56:57], v[86:87], v[72:73], v[56:57]
	;; [unrolled: 1-line block ×3, first 2 shown]
	s_waitcnt vmcnt(9)
	v_fma_f64 v[29:30], v[88:89], v[76:77], v[29:30]
	s_waitcnt vmcnt(8)
	v_fma_f64 v[54:55], v[92:93], v[76:77], v[54:55]
	v_fma_f64 v[52:53], v[94:95], v[76:77], v[52:53]
	v_fma_f64 v[25:26], -v[86:87], v[74:75], v[25:26]
	v_fma_f64 v[56:57], v[84:85], v[74:75], v[56:57]
	v_fma_f64 v[58:59], v[90:91], v[76:77], v[58:59]
	v_fma_f64 v[29:30], -v[90:91], v[78:79], v[29:30]
	v_fma_f64 v[54:55], -v[94:95], v[78:79], v[54:55]
	v_fma_f64 v[52:53], v[92:93], v[78:79], v[52:53]
	s_waitcnt vmcnt(7)
	v_fma_f64 v[25:26], v[96:97], v[76:77], v[25:26]
	v_fma_f64 v[56:57], v[98:99], v[76:77], v[56:57]
	;; [unrolled: 1-line block ×3, first 2 shown]
	v_fma_f64 v[25:26], -v[98:99], v[78:79], v[25:26]
	v_fma_f64 v[56:57], v[96:97], v[78:79], v[56:57]
	s_waitcnt vmcnt(5)
	v_fma_f64 v[29:30], v[36:37], v[11:12], v[29:30]
	v_fma_f64 v[58:59], v[38:39], v[11:12], v[58:59]
	s_waitcnt vmcnt(4)
	v_fma_f64 v[54:55], v[15:16], v[11:12], v[54:55]
	;; [unrolled: 3-line block ×3, first 2 shown]
	v_fma_f64 v[11:12], v[21:22], v[11:12], v[56:57]
	v_fma_f64 v[29:30], -v[38:39], v[13:14], v[29:30]
	v_fma_f64 v[36:37], v[36:37], v[13:14], v[58:59]
	v_fma_f64 v[17:18], -v[17:18], v[13:14], v[54:55]
	v_fma_f64 v[15:16], v[15:16], v[13:14], v[52:53]
	v_fma_f64 v[21:22], -v[21:22], v[13:14], v[25:26]
	v_fma_f64 v[11:12], v[19:20], v[13:14], v[11:12]
	s_waitcnt vmcnt(1)
	v_fma_f64 v[13:14], v[44:45], v[32:33], v[29:30]
	v_fma_f64 v[19:20], v[46:47], v[32:33], v[36:37]
	s_waitcnt vmcnt(0)
	v_fma_f64 v[25:26], v[48:49], v[32:33], v[17:18]
	v_fma_f64 v[29:30], v[50:51], v[32:33], v[15:16]
	;; [unrolled: 1-line block ×4, first 2 shown]
	v_fma_f64 v[22:23], -v[46:47], v[34:35], v[13:14]
	v_fma_f64 v[16:17], v[44:45], v[34:35], v[19:20]
	v_fma_f64 v[18:19], -v[50:51], v[34:35], v[25:26]
	v_fma_f64 v[20:21], v[48:49], v[34:35], v[29:30]
	v_fma_f64 v[12:13], -v[42:43], v[34:35], v[36:37]
	v_fma_f64 v[14:15], v[40:41], v[34:35], v[32:33]
	s_andn2_b32 exec_lo, exec_lo, s3
	s_cbranch_execnz .LBB133_7
; %bb.8:
	s_or_b32 exec_lo, exec_lo, s3
.LBB133_9:
	s_or_b32 exec_lo, exec_lo, s1
	s_cbranch_execz .LBB133_11
	s_branch .LBB133_16
.LBB133_10:
                                        ; implicit-def: $vgpr16_vgpr17
                                        ; implicit-def: $vgpr22_vgpr23
                                        ; implicit-def: $vgpr12_vgpr13
                                        ; implicit-def: $vgpr14_vgpr15
                                        ; implicit-def: $vgpr18_vgpr19
                                        ; implicit-def: $vgpr20_vgpr21
.LBB133_11:
	v_mov_b32_e32 v16, 0
	v_mov_b32_e32 v22, 0
	;; [unrolled: 1-line block ×12, first 2 shown]
	s_and_saveexec_b32 s1, s0
	s_cbranch_execz .LBB133_15
; %bb.12:
	v_mad_u64_u32 v[24:25], null, v10, 18, 17
	v_mov_b32_e32 v16, 0
	v_mov_b32_e32 v22, 0
	;; [unrolled: 1-line block ×13, first 2 shown]
	s_mov_b32 s0, 0
.LBB133_13:                             ; =>This Inner Loop Header: Depth=1
	v_ashrrev_i32_e32 v11, 31, v10
	v_subrev_nc_u32_e32 v26, 17, v24
	v_add_nc_u32_e32 v28, -11, v24
	v_mov_b32_e32 v29, v27
	v_add_nc_u32_e32 v32, -5, v24
	v_lshlrev_b64 v[36:37], 2, v[10:11]
	v_lshlrev_b64 v[34:35], 4, v[26:27]
	v_add_nc_u32_e32 v26, -10, v24
	v_mov_b32_e32 v33, v27
	v_mov_b32_e32 v25, v27
	v_lshlrev_b64 v[28:29], 4, v[28:29]
	v_add_co_u32 v36, vcc_lo, s10, v36
	v_add_co_ci_u32_e64 v37, null, s11, v37, vcc_lo
	v_lshlrev_b64 v[40:41], 4, v[26:27]
	v_add_nc_u32_e32 v26, -4, v24
	v_lshlrev_b64 v[32:33], 4, v[32:33]
	global_load_dword v11, v[36:37], off
	v_lshlrev_b64 v[38:39], 4, v[24:25]
	v_add_co_u32 v42, vcc_lo, s12, v34
	v_lshlrev_b64 v[52:53], 4, v[26:27]
	v_add_nc_u32_e32 v26, -15, v24
	v_add_co_ci_u32_e64 v43, null, s13, v35, vcc_lo
	v_add_co_u32 v28, vcc_lo, s12, v28
	v_add_co_ci_u32_e64 v29, null, s13, v29, vcc_lo
	v_add_co_u32 v44, vcc_lo, s12, v32
	;; [unrolled: 2-line block ×3, first 2 shown]
	v_lshlrev_b64 v[25:26], 4, v[26:27]
	v_add_co_ci_u32_e64 v81, null, s13, v39, vcc_lo
	v_add_co_u32 v48, vcc_lo, s12, v40
	v_add_co_ci_u32_e64 v49, null, s13, v41, vcc_lo
	s_clause 0x3
	global_load_dwordx4 v[32:35], v[42:43], off offset:16
	global_load_dwordx4 v[36:39], v[42:43], off
	global_load_dwordx4 v[40:43], v[28:29], off
	;; [unrolled: 1-line block ×3, first 2 shown]
	v_add_co_u32 v28, vcc_lo, s12, v52
	v_add_co_ci_u32_e64 v29, null, s13, v53, vcc_lo
	v_add_co_u32 v25, vcc_lo, s12, v25
	v_add_co_ci_u32_e64 v26, null, s13, v26, vcc_lo
	s_clause 0x2
	global_load_dwordx4 v[48:51], v[48:49], off
	global_load_dwordx4 v[52:55], v[28:29], off
	;; [unrolled: 1-line block ×3, first 2 shown]
	v_mov_b32_e32 v30, v27
	v_add_nc_u32_e32 v10, 16, v10
	s_waitcnt vmcnt(7)
	v_subrev_nc_u32_e32 v11, s2, v11
	v_mul_lo_u32 v29, v11, 6
	v_lshlrev_b64 v[60:61], 4, v[29:30]
	v_add_nc_u32_e32 v26, 2, v29
	v_lshlrev_b64 v[68:69], 4, v[26:27]
	v_add_co_u32 v64, vcc_lo, s14, v60
	v_add_co_ci_u32_e64 v65, null, s15, v61, vcc_lo
	v_add_nc_u32_e32 v26, -9, v24
	v_add_co_u32 v72, vcc_lo, s14, v68
	s_clause 0x1
	global_load_dwordx4 v[60:63], v[64:65], off
	global_load_dwordx4 v[64:67], v[64:65], off offset:16
	v_add_co_ci_u32_e64 v73, null, s15, v69, vcc_lo
	v_lshlrev_b64 v[76:77], 4, v[26:27]
	s_clause 0x1
	global_load_dwordx4 v[68:71], v[72:73], off
	global_load_dwordx4 v[72:75], v[72:73], off offset:16
	v_add_nc_u32_e32 v26, -3, v24
	v_add_co_u32 v76, vcc_lo, s12, v76
	v_add_co_ci_u32_e64 v77, null, s13, v77, vcc_lo
	v_lshlrev_b64 v[78:79], 4, v[26:27]
	v_add_nc_u32_e32 v26, -14, v24
	v_add_co_u32 v84, vcc_lo, s12, v78
	v_add_co_ci_u32_e64 v85, null, s13, v79, vcc_lo
	global_load_dwordx4 v[76:79], v[76:77], off
	v_lshlrev_b64 v[82:83], 4, v[26:27]
	v_add_nc_u32_e32 v26, -8, v24
	s_waitcnt vmcnt(4)
	v_fma_f64 v[22:23], v[36:37], v[60:61], v[22:23]
	v_fma_f64 v[16:17], v[38:39], v[60:61], v[16:17]
	;; [unrolled: 1-line block ×6, first 2 shown]
	v_fma_f64 v[86:87], -v[38:39], v[62:63], v[22:23]
	v_fma_f64 v[88:89], v[36:37], v[62:63], v[16:17]
	global_load_dwordx4 v[36:39], v[84:85], off
	v_lshlrev_b64 v[16:17], 4, v[26:27]
	v_add_nc_u32_e32 v26, -2, v24
	v_fma_f64 v[42:43], -v[42:43], v[62:63], v[18:19]
	v_add_co_u32 v22, vcc_lo, s12, v82
	v_add_co_ci_u32_e64 v23, null, s13, v83, vcc_lo
	v_lshlrev_b64 v[18:19], 4, v[26:27]
	v_add_nc_u32_e32 v26, -13, v24
	v_fma_f64 v[40:41], v[40:41], v[62:63], v[20:21]
	v_add_co_u32 v20, vcc_lo, s12, v16
	v_fma_f64 v[46:47], -v[46:47], v[62:63], v[11:12]
	v_fma_f64 v[44:45], v[44:45], v[62:63], v[13:14]
	v_add_co_ci_u32_e64 v21, null, s13, v17, vcc_lo
	v_add_co_u32 v28, vcc_lo, s12, v18
	v_lshlrev_b64 v[82:83], 4, v[26:27]
	v_add_nc_u32_e32 v26, 4, v29
	v_add_co_ci_u32_e64 v29, null, s13, v19, vcc_lo
	s_waitcnt vmcnt(4)
	v_fma_f64 v[84:85], v[34:35], v[64:65], v[88:89]
	s_clause 0x2
	global_load_dwordx4 v[16:19], v[22:23], off
	global_load_dwordx4 v[11:14], v[20:21], off
	;; [unrolled: 1-line block ×3, first 2 shown]
	v_add_co_u32 v28, vcc_lo, s12, v82
	v_add_co_ci_u32_e64 v29, null, s13, v83, vcc_lo
	v_fma_f64 v[82:83], v[32:33], v[64:65], v[86:87]
	v_fma_f64 v[42:43], v[48:49], v[64:65], v[42:43]
	;; [unrolled: 1-line block ×3, first 2 shown]
	v_lshlrev_b64 v[60:61], 4, v[26:27]
	v_fma_f64 v[46:47], v[52:53], v[64:65], v[46:47]
	v_fma_f64 v[44:45], v[54:55], v[64:65], v[44:45]
	v_add_nc_u32_e32 v26, -7, v24
	v_lshlrev_b64 v[62:63], 4, v[26:27]
	v_add_nc_u32_e32 v26, -1, v24
	v_fma_f64 v[84:85], v[32:33], v[66:67], v[84:85]
	v_fma_f64 v[82:83], -v[34:35], v[66:67], v[82:83]
	global_load_dwordx4 v[32:35], v[28:29], off
	v_add_co_u32 v28, vcc_lo, s14, v60
	v_add_co_ci_u32_e64 v29, null, s15, v61, vcc_lo
	v_lshlrev_b64 v[60:61], 4, v[26:27]
	v_fma_f64 v[86:87], -v[50:51], v[66:67], v[42:43]
	v_fma_f64 v[88:89], v[48:49], v[66:67], v[40:41]
	global_load_dwordx4 v[40:43], v[28:29], off offset:16
	v_fma_f64 v[90:91], -v[54:55], v[66:67], v[46:47]
	v_fma_f64 v[92:93], v[52:53], v[66:67], v[44:45]
	global_load_dwordx4 v[44:47], v[28:29], off
	v_add_co_u32 v28, vcc_lo, s12, v62
	v_add_co_ci_u32_e64 v29, null, s13, v63, vcc_lo
	v_add_co_u32 v52, vcc_lo, s12, v60
	v_add_co_ci_u32_e64 v53, null, s13, v61, vcc_lo
	s_waitcnt vmcnt(9)
	v_fma_f64 v[60:61], v[58:59], v[68:69], v[84:85]
	s_clause 0x1
	global_load_dwordx4 v[48:51], v[28:29], off
	global_load_dwordx4 v[52:55], v[52:53], off
	v_add_nc_u32_e32 v26, -12, v24
	v_fma_f64 v[28:29], v[56:57], v[68:69], v[82:83]
	v_lshlrev_b64 v[62:63], 4, v[26:27]
	s_waitcnt vmcnt(9)
	v_fma_f64 v[64:65], v[78:79], v[68:69], v[88:89]
	v_add_nc_u32_e32 v26, -6, v24
	v_add_nc_u32_e32 v24, 0x120, v24
	v_lshlrev_b64 v[25:26], 4, v[26:27]
	v_fma_f64 v[82:83], v[56:57], v[70:71], v[60:61]
	v_add_co_u32 v60, vcc_lo, s12, v62
	v_add_co_ci_u32_e64 v61, null, s13, v63, vcc_lo
	v_fma_f64 v[62:63], v[76:77], v[68:69], v[86:87]
	v_add_co_u32 v25, vcc_lo, s12, v25
	v_add_co_ci_u32_e64 v26, null, s13, v26, vcc_lo
	v_fma_f64 v[28:29], -v[58:59], v[70:71], v[28:29]
	global_load_dwordx4 v[56:59], v[80:81], off
	v_fma_f64 v[76:77], v[76:77], v[70:71], v[64:65]
	v_cmp_ge_i32_e32 vcc_lo, v10, v31
	s_or_b32 s0, vcc_lo, s0
	v_fma_f64 v[78:79], -v[78:79], v[70:71], v[62:63]
	s_clause 0x1
	global_load_dwordx4 v[60:63], v[60:61], off
	global_load_dwordx4 v[64:67], v[25:26], off
	s_waitcnt vmcnt(11)
	v_fma_f64 v[25:26], v[36:37], v[68:69], v[90:91]
	v_fma_f64 v[68:69], v[38:39], v[68:69], v[92:93]
	v_fma_f64 v[25:26], -v[38:39], v[70:71], v[25:26]
	v_fma_f64 v[36:37], v[36:37], v[70:71], v[68:69]
	s_waitcnt vmcnt(10)
	v_fma_f64 v[28:29], v[16:17], v[72:73], v[28:29]
	v_fma_f64 v[38:39], v[18:19], v[72:73], v[82:83]
	s_waitcnt vmcnt(9)
	v_fma_f64 v[68:69], v[11:12], v[72:73], v[78:79]
	v_fma_f64 v[70:71], v[13:14], v[72:73], v[76:77]
	s_waitcnt vmcnt(8)
	v_fma_f64 v[25:26], v[20:21], v[72:73], v[25:26]
	v_fma_f64 v[36:37], v[22:23], v[72:73], v[36:37]
	v_fma_f64 v[18:19], -v[18:19], v[74:75], v[28:29]
	v_fma_f64 v[15:16], v[16:17], v[74:75], v[38:39]
	v_fma_f64 v[13:14], -v[13:14], v[74:75], v[68:69]
	;; [unrolled: 2-line block ×3, first 2 shown]
	v_fma_f64 v[20:21], v[20:21], v[74:75], v[36:37]
	s_waitcnt vmcnt(5)
	v_fma_f64 v[17:18], v[32:33], v[44:45], v[18:19]
	v_fma_f64 v[15:16], v[34:35], v[44:45], v[15:16]
	s_waitcnt vmcnt(4)
	v_fma_f64 v[13:14], v[48:49], v[44:45], v[13:14]
	;; [unrolled: 3-line block ×3, first 2 shown]
	v_fma_f64 v[19:20], v[54:55], v[44:45], v[20:21]
	v_fma_f64 v[17:18], -v[34:35], v[46:47], v[17:18]
	v_fma_f64 v[15:16], v[32:33], v[46:47], v[15:16]
	v_fma_f64 v[13:14], -v[50:51], v[46:47], v[13:14]
	;; [unrolled: 2-line block ×3, first 2 shown]
	v_fma_f64 v[19:20], v[52:53], v[46:47], v[19:20]
	s_waitcnt vmcnt(1)
	v_fma_f64 v[17:18], v[60:61], v[40:41], v[17:18]
	v_fma_f64 v[15:16], v[62:63], v[40:41], v[15:16]
	s_waitcnt vmcnt(0)
	v_fma_f64 v[13:14], v[64:65], v[40:41], v[13:14]
	v_fma_f64 v[11:12], v[66:67], v[40:41], v[11:12]
	;; [unrolled: 1-line block ×4, first 2 shown]
	v_fma_f64 v[22:23], -v[62:63], v[42:43], v[17:18]
	v_fma_f64 v[16:17], v[60:61], v[42:43], v[15:16]
	v_fma_f64 v[18:19], -v[66:67], v[42:43], v[13:14]
	v_fma_f64 v[20:21], v[64:65], v[42:43], v[11:12]
	;; [unrolled: 2-line block ×3, first 2 shown]
	s_andn2_b32 exec_lo, exec_lo, s0
	s_cbranch_execnz .LBB133_13
; %bb.14:
	s_or_b32 exec_lo, exec_lo, s0
.LBB133_15:
	s_or_b32 exec_lo, exec_lo, s1
.LBB133_16:
	v_mbcnt_lo_u32_b32 v36, -1, 0
	v_xor_b32_e32 v10, 8, v36
	v_xor_b32_e32 v34, 2, v36
	v_cmp_gt_i32_e32 vcc_lo, 32, v10
	v_cndmask_b32_e32 v10, v36, v10, vcc_lo
	v_lshlrev_b32_e32 v33, 2, v10
	ds_bpermute_b32 v10, v33, v22
	ds_bpermute_b32 v11, v33, v23
	;; [unrolled: 1-line block ×12, first 2 shown]
	s_waitcnt lgkmcnt(10)
	v_add_f64 v[10:11], v[22:23], v[10:11]
	v_xor_b32_e32 v22, 4, v36
	s_waitcnt lgkmcnt(8)
	v_add_f64 v[16:17], v[16:17], v[24:25]
	s_waitcnt lgkmcnt(6)
	v_add_f64 v[18:19], v[18:19], v[26:27]
	;; [unrolled: 2-line block ×3, first 2 shown]
	v_cmp_gt_i32_e32 vcc_lo, 32, v22
	s_waitcnt lgkmcnt(2)
	v_add_f64 v[12:13], v[12:13], v[30:31]
	s_waitcnt lgkmcnt(0)
	v_add_f64 v[14:15], v[14:15], v[32:33]
	v_cndmask_b32_e32 v22, v36, v22, vcc_lo
	v_cmp_gt_i32_e32 vcc_lo, 32, v34
	v_lshlrev_b32_e32 v33, 2, v22
	ds_bpermute_b32 v22, v33, v10
	ds_bpermute_b32 v23, v33, v11
	ds_bpermute_b32 v24, v33, v16
	ds_bpermute_b32 v25, v33, v17
	ds_bpermute_b32 v26, v33, v18
	ds_bpermute_b32 v27, v33, v19
	ds_bpermute_b32 v28, v33, v20
	ds_bpermute_b32 v29, v33, v21
	ds_bpermute_b32 v30, v33, v12
	ds_bpermute_b32 v31, v33, v13
	ds_bpermute_b32 v32, v33, v14
	ds_bpermute_b32 v33, v33, v15
	s_waitcnt lgkmcnt(10)
	v_add_f64 v[10:11], v[10:11], v[22:23]
	s_waitcnt lgkmcnt(8)
	v_add_f64 v[16:17], v[16:17], v[24:25]
	s_waitcnt lgkmcnt(6)
	v_add_f64 v[18:19], v[18:19], v[26:27]
	s_waitcnt lgkmcnt(4)
	v_add_f64 v[22:23], v[20:21], v[28:29]
	s_waitcnt lgkmcnt(2)
	v_add_f64 v[24:25], v[12:13], v[30:31]
	v_cndmask_b32_e32 v12, v36, v34, vcc_lo
	s_waitcnt lgkmcnt(0)
	v_add_f64 v[26:27], v[14:15], v[32:33]
	v_lshlrev_b32_e32 v20, 2, v12
	ds_bpermute_b32 v12, v20, v10
	ds_bpermute_b32 v13, v20, v11
	;; [unrolled: 1-line block ×12, first 2 shown]
	s_waitcnt lgkmcnt(10)
	v_add_f64 v[10:11], v[10:11], v[12:13]
	s_waitcnt lgkmcnt(8)
	v_add_f64 v[20:21], v[16:17], v[14:15]
	;; [unrolled: 2-line block ×3, first 2 shown]
	v_xor_b32_e32 v28, 1, v36
	s_waitcnt lgkmcnt(4)
	v_add_f64 v[18:19], v[22:23], v[30:31]
	s_waitcnt lgkmcnt(2)
	v_add_f64 v[14:15], v[24:25], v[32:33]
	s_waitcnt lgkmcnt(0)
	v_add_f64 v[16:17], v[26:27], v[34:35]
	v_cmp_gt_i32_e32 vcc_lo, 32, v28
	v_cndmask_b32_e32 v22, v36, v28, vcc_lo
	v_cmp_eq_u32_e32 vcc_lo, 15, v0
	v_lshlrev_b32_e32 v25, 2, v22
	ds_bpermute_b32 v32, v25, v10
	ds_bpermute_b32 v33, v25, v11
	;; [unrolled: 1-line block ×12, first 2 shown]
	s_and_b32 exec_lo, exec_lo, vcc_lo
	s_cbranch_execz .LBB133_21
; %bb.17:
	v_cmp_eq_f64_e32 vcc_lo, 0, v[5:6]
	v_cmp_eq_f64_e64 s0, 0, v[7:8]
	s_waitcnt lgkmcnt(10)
	v_add_f64 v[10:11], v[10:11], v[32:33]
	s_waitcnt lgkmcnt(8)
	v_add_f64 v[20:21], v[20:21], v[30:31]
	;; [unrolled: 2-line block ×6, first 2 shown]
	s_load_dwordx2 s[2:3], s[4:5], 0x48
	s_and_b32 s0, vcc_lo, s0
	s_and_saveexec_b32 s1, s0
	s_xor_b32 s0, exec_lo, s1
	s_cbranch_execz .LBB133_19
; %bb.18:
	v_mul_f64 v[5:6], v[20:21], -v[3:4]
	v_mul_f64 v[7:8], v[1:2], v[20:21]
	v_mul_f64 v[20:21], v[18:19], -v[3:4]
	v_mul_f64 v[18:19], v[1:2], v[18:19]
	;; [unrolled: 2-line block ×3, first 2 shown]
	v_lshl_add_u32 v24, v9, 1, v9
	v_ashrrev_i32_e32 v25, 31, v24
	v_fma_f64 v[5:6], v[1:2], v[10:11], v[5:6]
	v_fma_f64 v[7:8], v[3:4], v[10:11], v[7:8]
	v_fma_f64 v[9:10], v[1:2], v[12:13], v[20:21]
	v_fma_f64 v[11:12], v[3:4], v[12:13], v[18:19]
	v_fma_f64 v[0:1], v[1:2], v[14:15], v[22:23]
	v_fma_f64 v[2:3], v[3:4], v[14:15], v[16:17]
	v_lshlrev_b64 v[13:14], 4, v[24:25]
                                        ; implicit-def: $vgpr20_vgpr21
                                        ; implicit-def: $vgpr18_vgpr19
                                        ; implicit-def: $vgpr16_vgpr17
	s_waitcnt lgkmcnt(0)
	v_add_co_u32 v13, vcc_lo, s2, v13
	v_add_co_ci_u32_e64 v14, null, s3, v14, vcc_lo
	global_store_dwordx4 v[13:14], v[5:8], off
	global_store_dwordx4 v[13:14], v[9:12], off offset:16
	global_store_dwordx4 v[13:14], v[0:3], off offset:32
                                        ; implicit-def: $vgpr9
                                        ; implicit-def: $vgpr10_vgpr11
                                        ; implicit-def: $vgpr12_vgpr13
                                        ; implicit-def: $vgpr14_vgpr15
                                        ; implicit-def: $vgpr7_vgpr8
                                        ; implicit-def: $vgpr3_vgpr4
.LBB133_19:
	s_andn2_saveexec_b32 s0, s0
	s_cbranch_execz .LBB133_21
; %bb.20:
	v_lshl_add_u32 v22, v9, 1, v9
	v_mul_f64 v[36:37], v[20:21], -v[3:4]
	v_mul_f64 v[20:21], v[1:2], v[20:21]
	v_mul_f64 v[38:39], v[18:19], -v[3:4]
	v_mul_f64 v[18:19], v[1:2], v[18:19]
	v_ashrrev_i32_e32 v23, 31, v22
	v_mul_f64 v[40:41], v[16:17], -v[3:4]
	v_mul_f64 v[16:17], v[1:2], v[16:17]
	v_lshlrev_b64 v[22:23], 4, v[22:23]
	s_waitcnt lgkmcnt(0)
	v_add_co_u32 v34, vcc_lo, s2, v22
	v_add_co_ci_u32_e64 v35, null, s3, v23, vcc_lo
	s_clause 0x2
	global_load_dwordx4 v[22:25], v[34:35], off
	global_load_dwordx4 v[26:29], v[34:35], off offset:16
	global_load_dwordx4 v[30:33], v[34:35], off offset:32
	v_fma_f64 v[36:37], v[1:2], v[10:11], v[36:37]
	v_fma_f64 v[9:10], v[3:4], v[10:11], v[20:21]
	;; [unrolled: 1-line block ×6, first 2 shown]
	s_waitcnt vmcnt(2)
	v_fma_f64 v[13:14], v[5:6], v[22:23], v[36:37]
	v_fma_f64 v[9:10], v[7:8], v[22:23], v[9:10]
	s_waitcnt vmcnt(1)
	v_fma_f64 v[15:16], v[5:6], v[26:27], v[20:21]
	v_fma_f64 v[11:12], v[7:8], v[26:27], v[11:12]
	;; [unrolled: 3-line block ×3, first 2 shown]
	v_fma_f64 v[0:1], -v[7:8], v[24:25], v[13:14]
	v_fma_f64 v[2:3], v[5:6], v[24:25], v[9:10]
	v_fma_f64 v[9:10], -v[7:8], v[28:29], v[15:16]
	v_fma_f64 v[11:12], v[5:6], v[28:29], v[11:12]
	;; [unrolled: 2-line block ×3, first 2 shown]
	global_store_dwordx4 v[34:35], v[0:3], off
	global_store_dwordx4 v[34:35], v[9:12], off offset:16
	global_store_dwordx4 v[34:35], v[13:16], off offset:32
.LBB133_21:
	s_endpgm
	.section	.rodata,"a",@progbits
	.p2align	6, 0x0
	.amdhsa_kernel _ZN9rocsparseL19gebsrmvn_3xn_kernelILj128ELj6ELj16E21rocsparse_complex_numIdEEEvi20rocsparse_direction_NS_24const_host_device_scalarIT2_EEPKiS8_PKS5_SA_S6_PS5_21rocsparse_index_base_b
		.amdhsa_group_segment_fixed_size 0
		.amdhsa_private_segment_fixed_size 0
		.amdhsa_kernarg_size 88
		.amdhsa_user_sgpr_count 6
		.amdhsa_user_sgpr_private_segment_buffer 1
		.amdhsa_user_sgpr_dispatch_ptr 0
		.amdhsa_user_sgpr_queue_ptr 0
		.amdhsa_user_sgpr_kernarg_segment_ptr 1
		.amdhsa_user_sgpr_dispatch_id 0
		.amdhsa_user_sgpr_flat_scratch_init 0
		.amdhsa_user_sgpr_private_segment_size 0
		.amdhsa_wavefront_size32 1
		.amdhsa_uses_dynamic_stack 0
		.amdhsa_system_sgpr_private_segment_wavefront_offset 0
		.amdhsa_system_sgpr_workgroup_id_x 1
		.amdhsa_system_sgpr_workgroup_id_y 0
		.amdhsa_system_sgpr_workgroup_id_z 0
		.amdhsa_system_sgpr_workgroup_info 0
		.amdhsa_system_vgpr_workitem_id 0
		.amdhsa_next_free_vgpr 108
		.amdhsa_next_free_sgpr 16
		.amdhsa_reserve_vcc 1
		.amdhsa_reserve_flat_scratch 0
		.amdhsa_float_round_mode_32 0
		.amdhsa_float_round_mode_16_64 0
		.amdhsa_float_denorm_mode_32 3
		.amdhsa_float_denorm_mode_16_64 3
		.amdhsa_dx10_clamp 1
		.amdhsa_ieee_mode 1
		.amdhsa_fp16_overflow 0
		.amdhsa_workgroup_processor_mode 1
		.amdhsa_memory_ordered 1
		.amdhsa_forward_progress 1
		.amdhsa_shared_vgpr_count 0
		.amdhsa_exception_fp_ieee_invalid_op 0
		.amdhsa_exception_fp_denorm_src 0
		.amdhsa_exception_fp_ieee_div_zero 0
		.amdhsa_exception_fp_ieee_overflow 0
		.amdhsa_exception_fp_ieee_underflow 0
		.amdhsa_exception_fp_ieee_inexact 0
		.amdhsa_exception_int_div_zero 0
	.end_amdhsa_kernel
	.section	.text._ZN9rocsparseL19gebsrmvn_3xn_kernelILj128ELj6ELj16E21rocsparse_complex_numIdEEEvi20rocsparse_direction_NS_24const_host_device_scalarIT2_EEPKiS8_PKS5_SA_S6_PS5_21rocsparse_index_base_b,"axG",@progbits,_ZN9rocsparseL19gebsrmvn_3xn_kernelILj128ELj6ELj16E21rocsparse_complex_numIdEEEvi20rocsparse_direction_NS_24const_host_device_scalarIT2_EEPKiS8_PKS5_SA_S6_PS5_21rocsparse_index_base_b,comdat
.Lfunc_end133:
	.size	_ZN9rocsparseL19gebsrmvn_3xn_kernelILj128ELj6ELj16E21rocsparse_complex_numIdEEEvi20rocsparse_direction_NS_24const_host_device_scalarIT2_EEPKiS8_PKS5_SA_S6_PS5_21rocsparse_index_base_b, .Lfunc_end133-_ZN9rocsparseL19gebsrmvn_3xn_kernelILj128ELj6ELj16E21rocsparse_complex_numIdEEEvi20rocsparse_direction_NS_24const_host_device_scalarIT2_EEPKiS8_PKS5_SA_S6_PS5_21rocsparse_index_base_b
                                        ; -- End function
	.set _ZN9rocsparseL19gebsrmvn_3xn_kernelILj128ELj6ELj16E21rocsparse_complex_numIdEEEvi20rocsparse_direction_NS_24const_host_device_scalarIT2_EEPKiS8_PKS5_SA_S6_PS5_21rocsparse_index_base_b.num_vgpr, 108
	.set _ZN9rocsparseL19gebsrmvn_3xn_kernelILj128ELj6ELj16E21rocsparse_complex_numIdEEEvi20rocsparse_direction_NS_24const_host_device_scalarIT2_EEPKiS8_PKS5_SA_S6_PS5_21rocsparse_index_base_b.num_agpr, 0
	.set _ZN9rocsparseL19gebsrmvn_3xn_kernelILj128ELj6ELj16E21rocsparse_complex_numIdEEEvi20rocsparse_direction_NS_24const_host_device_scalarIT2_EEPKiS8_PKS5_SA_S6_PS5_21rocsparse_index_base_b.numbered_sgpr, 16
	.set _ZN9rocsparseL19gebsrmvn_3xn_kernelILj128ELj6ELj16E21rocsparse_complex_numIdEEEvi20rocsparse_direction_NS_24const_host_device_scalarIT2_EEPKiS8_PKS5_SA_S6_PS5_21rocsparse_index_base_b.num_named_barrier, 0
	.set _ZN9rocsparseL19gebsrmvn_3xn_kernelILj128ELj6ELj16E21rocsparse_complex_numIdEEEvi20rocsparse_direction_NS_24const_host_device_scalarIT2_EEPKiS8_PKS5_SA_S6_PS5_21rocsparse_index_base_b.private_seg_size, 0
	.set _ZN9rocsparseL19gebsrmvn_3xn_kernelILj128ELj6ELj16E21rocsparse_complex_numIdEEEvi20rocsparse_direction_NS_24const_host_device_scalarIT2_EEPKiS8_PKS5_SA_S6_PS5_21rocsparse_index_base_b.uses_vcc, 1
	.set _ZN9rocsparseL19gebsrmvn_3xn_kernelILj128ELj6ELj16E21rocsparse_complex_numIdEEEvi20rocsparse_direction_NS_24const_host_device_scalarIT2_EEPKiS8_PKS5_SA_S6_PS5_21rocsparse_index_base_b.uses_flat_scratch, 0
	.set _ZN9rocsparseL19gebsrmvn_3xn_kernelILj128ELj6ELj16E21rocsparse_complex_numIdEEEvi20rocsparse_direction_NS_24const_host_device_scalarIT2_EEPKiS8_PKS5_SA_S6_PS5_21rocsparse_index_base_b.has_dyn_sized_stack, 0
	.set _ZN9rocsparseL19gebsrmvn_3xn_kernelILj128ELj6ELj16E21rocsparse_complex_numIdEEEvi20rocsparse_direction_NS_24const_host_device_scalarIT2_EEPKiS8_PKS5_SA_S6_PS5_21rocsparse_index_base_b.has_recursion, 0
	.set _ZN9rocsparseL19gebsrmvn_3xn_kernelILj128ELj6ELj16E21rocsparse_complex_numIdEEEvi20rocsparse_direction_NS_24const_host_device_scalarIT2_EEPKiS8_PKS5_SA_S6_PS5_21rocsparse_index_base_b.has_indirect_call, 0
	.section	.AMDGPU.csdata,"",@progbits
; Kernel info:
; codeLenInByte = 4796
; TotalNumSgprs: 18
; NumVgprs: 108
; ScratchSize: 0
; MemoryBound: 0
; FloatMode: 240
; IeeeMode: 1
; LDSByteSize: 0 bytes/workgroup (compile time only)
; SGPRBlocks: 0
; VGPRBlocks: 13
; NumSGPRsForWavesPerEU: 18
; NumVGPRsForWavesPerEU: 108
; Occupancy: 9
; WaveLimiterHint : 1
; COMPUTE_PGM_RSRC2:SCRATCH_EN: 0
; COMPUTE_PGM_RSRC2:USER_SGPR: 6
; COMPUTE_PGM_RSRC2:TRAP_HANDLER: 0
; COMPUTE_PGM_RSRC2:TGID_X_EN: 1
; COMPUTE_PGM_RSRC2:TGID_Y_EN: 0
; COMPUTE_PGM_RSRC2:TGID_Z_EN: 0
; COMPUTE_PGM_RSRC2:TIDIG_COMP_CNT: 0
	.section	.text._ZN9rocsparseL19gebsrmvn_3xn_kernelILj128ELj6ELj32E21rocsparse_complex_numIdEEEvi20rocsparse_direction_NS_24const_host_device_scalarIT2_EEPKiS8_PKS5_SA_S6_PS5_21rocsparse_index_base_b,"axG",@progbits,_ZN9rocsparseL19gebsrmvn_3xn_kernelILj128ELj6ELj32E21rocsparse_complex_numIdEEEvi20rocsparse_direction_NS_24const_host_device_scalarIT2_EEPKiS8_PKS5_SA_S6_PS5_21rocsparse_index_base_b,comdat
	.globl	_ZN9rocsparseL19gebsrmvn_3xn_kernelILj128ELj6ELj32E21rocsparse_complex_numIdEEEvi20rocsparse_direction_NS_24const_host_device_scalarIT2_EEPKiS8_PKS5_SA_S6_PS5_21rocsparse_index_base_b ; -- Begin function _ZN9rocsparseL19gebsrmvn_3xn_kernelILj128ELj6ELj32E21rocsparse_complex_numIdEEEvi20rocsparse_direction_NS_24const_host_device_scalarIT2_EEPKiS8_PKS5_SA_S6_PS5_21rocsparse_index_base_b
	.p2align	8
	.type	_ZN9rocsparseL19gebsrmvn_3xn_kernelILj128ELj6ELj32E21rocsparse_complex_numIdEEEvi20rocsparse_direction_NS_24const_host_device_scalarIT2_EEPKiS8_PKS5_SA_S6_PS5_21rocsparse_index_base_b,@function
_ZN9rocsparseL19gebsrmvn_3xn_kernelILj128ELj6ELj32E21rocsparse_complex_numIdEEEvi20rocsparse_direction_NS_24const_host_device_scalarIT2_EEPKiS8_PKS5_SA_S6_PS5_21rocsparse_index_base_b: ; @_ZN9rocsparseL19gebsrmvn_3xn_kernelILj128ELj6ELj32E21rocsparse_complex_numIdEEEvi20rocsparse_direction_NS_24const_host_device_scalarIT2_EEPKiS8_PKS5_SA_S6_PS5_21rocsparse_index_base_b
; %bb.0:
	s_clause 0x1
	s_load_dwordx2 s[2:3], s[4:5], 0x50
	s_load_dwordx2 s[0:1], s[4:5], 0x8
	s_add_u32 s7, s4, 8
	s_addc_u32 s10, s5, 0
	s_add_u32 s11, s4, 56
	s_addc_u32 s12, s5, 0
	s_load_dwordx2 s[8:9], s[4:5], 0x38
	s_waitcnt lgkmcnt(0)
	s_bitcmp1_b32 s3, 0
	s_cselect_b32 s0, s7, s0
	s_cselect_b32 s1, s10, s1
	v_mov_b32_e32 v1, s0
	v_mov_b32_e32 v2, s1
	s_cselect_b32 s0, s11, s8
	s_cselect_b32 s1, s12, s9
	v_mov_b32_e32 v5, s0
	v_mov_b32_e32 v6, s1
	flat_load_dwordx4 v[1:4], v[1:2]
	flat_load_dwordx4 v[5:8], v[5:6]
	s_waitcnt vmcnt(1) lgkmcnt(1)
	v_cmp_eq_f64_e32 vcc_lo, 0, v[1:2]
	v_cmp_eq_f64_e64 s0, 0, v[3:4]
	s_and_b32 s3, vcc_lo, s0
	s_mov_b32 s0, -1
	s_and_saveexec_b32 s1, s3
	s_cbranch_execz .LBB134_2
; %bb.1:
	s_waitcnt vmcnt(0) lgkmcnt(0)
	v_cmp_neq_f64_e32 vcc_lo, 1.0, v[5:6]
	v_cmp_neq_f64_e64 s0, 0, v[7:8]
	s_or_b32 s0, vcc_lo, s0
	s_orn2_b32 s0, s0, exec_lo
.LBB134_2:
	s_or_b32 exec_lo, exec_lo, s1
	s_and_saveexec_b32 s1, s0
	s_cbranch_execz .LBB134_21
; %bb.3:
	s_load_dwordx2 s[0:1], s[4:5], 0x0
	v_lshrrev_b32_e32 v9, 5, v0
	v_lshl_or_b32 v9, s6, 2, v9
	s_waitcnt lgkmcnt(0)
	v_cmp_gt_i32_e32 vcc_lo, s0, v9
	s_and_b32 exec_lo, exec_lo, vcc_lo
	s_cbranch_execz .LBB134_21
; %bb.4:
	s_load_dwordx8 s[8:15], s[4:5], 0x18
	v_ashrrev_i32_e32 v10, 31, v9
	v_and_b32_e32 v0, 31, v0
	s_cmp_lg_u32 s1, 0
	v_lshlrev_b64 v[10:11], 2, v[9:10]
	s_waitcnt lgkmcnt(0)
	v_add_co_u32 v10, vcc_lo, s8, v10
	v_add_co_ci_u32_e64 v11, null, s9, v11, vcc_lo
	global_load_dwordx2 v[10:11], v[10:11], off
	s_waitcnt vmcnt(0)
	v_subrev_nc_u32_e32 v10, s2, v10
	v_subrev_nc_u32_e32 v31, s2, v11
	v_add_nc_u32_e32 v10, v10, v0
	v_cmp_lt_i32_e64 s0, v10, v31
	s_cbranch_scc0 .LBB134_10
; %bb.5:
	v_mov_b32_e32 v16, 0
	v_mov_b32_e32 v22, 0
	;; [unrolled: 1-line block ×12, first 2 shown]
	s_and_saveexec_b32 s1, s0
	s_cbranch_execz .LBB134_9
; %bb.6:
	v_mad_u64_u32 v[24:25], null, v10, 18, 17
	v_mov_b32_e32 v16, 0
	v_mov_b32_e32 v22, 0
	;; [unrolled: 1-line block ×14, first 2 shown]
	s_mov_b32 s3, 0
.LBB134_7:                              ; =>This Inner Loop Header: Depth=1
	v_ashrrev_i32_e32 v29, 31, v28
	v_subrev_nc_u32_e32 v26, 17, v24
	v_mov_b32_e32 v25, v27
	v_mov_b32_e32 v30, v27
	v_lshlrev_b64 v[32:33], 2, v[28:29]
	v_lshlrev_b64 v[34:35], 4, v[26:27]
	v_add_nc_u32_e32 v26, -15, v24
	v_add_nc_u32_e32 v28, 32, v28
	v_add_co_u32 v32, vcc_lo, s10, v32
	v_add_co_ci_u32_e64 v33, null, s11, v33, vcc_lo
	v_lshlrev_b64 v[36:37], 4, v[26:27]
	v_add_nc_u32_e32 v26, -14, v24
	v_add_co_u32 v38, vcc_lo, s12, v34
	global_load_dword v11, v[32:33], off
	v_lshlrev_b64 v[32:33], 4, v[24:25]
	v_lshlrev_b64 v[48:49], 4, v[26:27]
	v_add_nc_u32_e32 v26, -13, v24
	v_add_co_ci_u32_e64 v39, null, s13, v35, vcc_lo
	v_add_co_u32 v40, vcc_lo, s12, v32
	v_lshlrev_b64 v[50:51], 4, v[26:27]
	v_add_nc_u32_e32 v26, -12, v24
	v_add_co_ci_u32_e64 v41, null, s13, v33, vcc_lo
	v_add_co_u32 v44, vcc_lo, s12, v36
	;; [unrolled: 4-line block ×3, first 2 shown]
	v_lshlrev_b64 v[25:26], 4, v[26:27]
	v_add_co_ci_u32_e64 v49, null, s13, v49, vcc_lo
	v_add_co_u32 v52, vcc_lo, s12, v50
	v_add_co_ci_u32_e64 v53, null, s13, v51, vcc_lo
	v_add_co_u32 v56, vcc_lo, s12, v56
	;; [unrolled: 2-line block ×3, first 2 shown]
	v_add_co_ci_u32_e64 v26, null, s13, v26, vcc_lo
	s_clause 0x7
	global_load_dwordx4 v[32:35], v[38:39], off offset:16
	global_load_dwordx4 v[36:39], v[38:39], off
	global_load_dwordx4 v[40:43], v[40:41], off
	;; [unrolled: 1-line block ×7, first 2 shown]
	s_waitcnt vmcnt(8)
	v_subrev_nc_u32_e32 v11, s2, v11
	v_mul_lo_u32 v29, v11, 6
	v_lshlrev_b64 v[64:65], 4, v[29:30]
	v_add_nc_u32_e32 v26, 2, v29
	v_lshlrev_b64 v[72:73], 4, v[26:27]
	v_add_co_u32 v68, vcc_lo, s14, v64
	v_add_co_ci_u32_e64 v69, null, s15, v65, vcc_lo
	v_add_nc_u32_e32 v26, -10, v24
	s_clause 0x1
	global_load_dwordx4 v[64:67], v[68:69], off
	global_load_dwordx4 v[68:71], v[68:69], off offset:16
	v_add_co_u32 v76, vcc_lo, s14, v72
	v_lshlrev_b64 v[74:75], 4, v[26:27]
	v_add_nc_u32_e32 v26, -9, v24
	v_add_co_ci_u32_e64 v77, null, s15, v73, vcc_lo
	v_lshlrev_b64 v[80:81], 4, v[26:27]
	v_add_co_u32 v82, vcc_lo, s12, v74
	v_add_co_ci_u32_e64 v83, null, s13, v75, vcc_lo
	s_clause 0x1
	global_load_dwordx4 v[72:75], v[76:77], off
	global_load_dwordx4 v[76:79], v[76:77], off offset:16
	v_add_co_u32 v84, vcc_lo, s12, v80
	v_add_co_ci_u32_e64 v85, null, s13, v81, vcc_lo
	global_load_dwordx4 v[80:83], v[82:83], off
	v_add_nc_u32_e32 v26, -8, v24
	global_load_dwordx4 v[84:87], v[84:85], off
	v_lshlrev_b64 v[88:89], 4, v[26:27]
	v_add_nc_u32_e32 v26, -7, v24
	v_lshlrev_b64 v[90:91], 4, v[26:27]
	v_add_nc_u32_e32 v26, -6, v24
	v_add_co_u32 v88, vcc_lo, s12, v88
	v_add_co_ci_u32_e64 v89, null, s13, v89, vcc_lo
	v_lshlrev_b64 v[92:93], 4, v[26:27]
	v_add_nc_u32_e32 v26, -5, v24
	v_add_co_u32 v94, vcc_lo, s12, v90
	v_add_co_ci_u32_e64 v95, null, s13, v91, vcc_lo
	v_lshlrev_b64 v[96:97], 4, v[26:27]
	v_add_nc_u32_e32 v26, 4, v29
	v_add_co_u32 v29, vcc_lo, s12, v92
	v_add_co_ci_u32_e64 v30, null, s13, v93, vcc_lo
	v_add_co_u32 v102, vcc_lo, s12, v96
	s_clause 0x1
	global_load_dwordx4 v[88:91], v[88:89], off
	global_load_dwordx4 v[92:95], v[94:95], off
	v_add_co_ci_u32_e64 v103, null, s13, v97, vcc_lo
	global_load_dwordx4 v[96:99], v[29:30], off
	v_lshlrev_b64 v[100:101], 4, v[26:27]
	v_add_nc_u32_e32 v26, -4, v24
	v_add_co_u32 v100, vcc_lo, s14, v100
	v_add_co_ci_u32_e64 v101, null, s15, v101, vcc_lo
	s_waitcnt vmcnt(8)
	v_fma_f64 v[16:17], v[38:39], v[64:65], v[16:17]
	v_fma_f64 v[22:23], v[36:37], v[64:65], v[22:23]
	;; [unrolled: 1-line block ×7, first 2 shown]
	v_lshlrev_b64 v[16:17], 4, v[26:27]
	v_add_nc_u32_e32 v26, -3, v24
	v_fma_f64 v[29:30], -v[38:39], v[66:67], v[22:23]
	global_load_dwordx4 v[36:39], v[102:103], off
	v_fma_f64 v[102:103], -v[34:35], v[66:67], v[18:19]
	v_fma_f64 v[106:107], v[32:33], v[66:67], v[20:21]
	v_lshlrev_b64 v[18:19], 4, v[26:27]
	v_add_co_u32 v16, vcc_lo, s12, v16
	v_add_co_ci_u32_e64 v17, null, s13, v17, vcc_lo
	v_fma_f64 v[64:65], -v[46:47], v[66:67], v[11:12]
	v_add_co_u32 v20, vcc_lo, s12, v18
	v_add_co_ci_u32_e64 v21, null, s13, v19, vcc_lo
	v_fma_f64 v[66:67], v[44:45], v[66:67], v[13:14]
	global_load_dwordx4 v[11:14], v[100:101], off
	s_clause 0x1
	global_load_dwordx4 v[15:18], v[16:17], off
	global_load_dwordx4 v[19:22], v[20:21], off
	v_add_nc_u32_e32 v26, -2, v24
	s_waitcnt vmcnt(11)
	v_fma_f64 v[34:35], v[50:51], v[68:69], v[104:105]
	v_fma_f64 v[29:30], v[48:49], v[68:69], v[29:30]
	v_lshlrev_b64 v[32:33], 4, v[26:27]
	v_fma_f64 v[46:47], v[52:53], v[68:69], v[102:103]
	v_add_nc_u32_e32 v26, -1, v24
	v_add_nc_u32_e32 v24, 0x240, v24
	v_add_co_u32 v44, vcc_lo, s12, v32
	v_lshlrev_b64 v[25:26], 4, v[26:27]
	v_add_co_ci_u32_e64 v45, null, s13, v33, vcc_lo
	v_add_co_u32 v25, vcc_lo, s12, v25
	v_add_co_ci_u32_e64 v26, null, s13, v26, vcc_lo
	v_fma_f64 v[104:105], v[48:49], v[70:71], v[34:35]
	v_fma_f64 v[48:49], v[54:55], v[68:69], v[106:107]
	global_load_dwordx4 v[32:35], v[100:101], off offset:16
	v_fma_f64 v[29:30], -v[50:51], v[70:71], v[29:30]
	v_cmp_ge_i32_e32 vcc_lo, v28, v31
	v_fma_f64 v[54:55], -v[54:55], v[70:71], v[46:47]
	s_or_b32 s3, vcc_lo, s3
	v_fma_f64 v[52:53], v[52:53], v[70:71], v[48:49]
	s_clause 0x1
	global_load_dwordx4 v[44:47], v[44:45], off
	global_load_dwordx4 v[48:51], v[25:26], off
	v_fma_f64 v[25:26], v[56:57], v[68:69], v[64:65]
	v_fma_f64 v[64:65], v[58:59], v[68:69], v[66:67]
	s_waitcnt vmcnt(13)
	v_fma_f64 v[29:30], v[60:61], v[72:73], v[29:30]
	s_waitcnt vmcnt(11)
	v_fma_f64 v[54:55], v[80:81], v[72:73], v[54:55]
	v_fma_f64 v[52:53], v[82:83], v[72:73], v[52:53]
	v_fma_f64 v[25:26], -v[58:59], v[70:71], v[25:26]
	v_fma_f64 v[56:57], v[56:57], v[70:71], v[64:65]
	v_fma_f64 v[58:59], v[62:63], v[72:73], v[104:105]
	v_fma_f64 v[29:30], -v[62:63], v[74:75], v[29:30]
	v_fma_f64 v[54:55], -v[82:83], v[74:75], v[54:55]
	v_fma_f64 v[52:53], v[80:81], v[74:75], v[52:53]
	s_waitcnt vmcnt(10)
	v_fma_f64 v[25:26], v[84:85], v[72:73], v[25:26]
	v_fma_f64 v[56:57], v[86:87], v[72:73], v[56:57]
	;; [unrolled: 1-line block ×3, first 2 shown]
	s_waitcnt vmcnt(9)
	v_fma_f64 v[29:30], v[88:89], v[76:77], v[29:30]
	s_waitcnt vmcnt(8)
	v_fma_f64 v[54:55], v[92:93], v[76:77], v[54:55]
	v_fma_f64 v[52:53], v[94:95], v[76:77], v[52:53]
	v_fma_f64 v[25:26], -v[86:87], v[74:75], v[25:26]
	v_fma_f64 v[56:57], v[84:85], v[74:75], v[56:57]
	v_fma_f64 v[58:59], v[90:91], v[76:77], v[58:59]
	v_fma_f64 v[29:30], -v[90:91], v[78:79], v[29:30]
	v_fma_f64 v[54:55], -v[94:95], v[78:79], v[54:55]
	v_fma_f64 v[52:53], v[92:93], v[78:79], v[52:53]
	s_waitcnt vmcnt(7)
	v_fma_f64 v[25:26], v[96:97], v[76:77], v[25:26]
	v_fma_f64 v[56:57], v[98:99], v[76:77], v[56:57]
	;; [unrolled: 1-line block ×3, first 2 shown]
	v_fma_f64 v[25:26], -v[98:99], v[78:79], v[25:26]
	v_fma_f64 v[56:57], v[96:97], v[78:79], v[56:57]
	s_waitcnt vmcnt(5)
	v_fma_f64 v[29:30], v[36:37], v[11:12], v[29:30]
	v_fma_f64 v[58:59], v[38:39], v[11:12], v[58:59]
	s_waitcnt vmcnt(4)
	v_fma_f64 v[54:55], v[15:16], v[11:12], v[54:55]
	;; [unrolled: 3-line block ×3, first 2 shown]
	v_fma_f64 v[11:12], v[21:22], v[11:12], v[56:57]
	v_fma_f64 v[29:30], -v[38:39], v[13:14], v[29:30]
	v_fma_f64 v[36:37], v[36:37], v[13:14], v[58:59]
	v_fma_f64 v[17:18], -v[17:18], v[13:14], v[54:55]
	;; [unrolled: 2-line block ×3, first 2 shown]
	v_fma_f64 v[11:12], v[19:20], v[13:14], v[11:12]
	s_waitcnt vmcnt(1)
	v_fma_f64 v[13:14], v[44:45], v[32:33], v[29:30]
	v_fma_f64 v[19:20], v[46:47], v[32:33], v[36:37]
	s_waitcnt vmcnt(0)
	v_fma_f64 v[25:26], v[48:49], v[32:33], v[17:18]
	v_fma_f64 v[29:30], v[50:51], v[32:33], v[15:16]
	;; [unrolled: 1-line block ×4, first 2 shown]
	v_fma_f64 v[22:23], -v[46:47], v[34:35], v[13:14]
	v_fma_f64 v[16:17], v[44:45], v[34:35], v[19:20]
	v_fma_f64 v[18:19], -v[50:51], v[34:35], v[25:26]
	v_fma_f64 v[20:21], v[48:49], v[34:35], v[29:30]
	v_fma_f64 v[12:13], -v[42:43], v[34:35], v[36:37]
	v_fma_f64 v[14:15], v[40:41], v[34:35], v[32:33]
	s_andn2_b32 exec_lo, exec_lo, s3
	s_cbranch_execnz .LBB134_7
; %bb.8:
	s_or_b32 exec_lo, exec_lo, s3
.LBB134_9:
	s_or_b32 exec_lo, exec_lo, s1
	s_cbranch_execz .LBB134_11
	s_branch .LBB134_16
.LBB134_10:
                                        ; implicit-def: $vgpr16_vgpr17
                                        ; implicit-def: $vgpr22_vgpr23
                                        ; implicit-def: $vgpr12_vgpr13
                                        ; implicit-def: $vgpr14_vgpr15
                                        ; implicit-def: $vgpr18_vgpr19
                                        ; implicit-def: $vgpr20_vgpr21
.LBB134_11:
	v_mov_b32_e32 v16, 0
	v_mov_b32_e32 v22, 0
	;; [unrolled: 1-line block ×12, first 2 shown]
	s_and_saveexec_b32 s1, s0
	s_cbranch_execz .LBB134_15
; %bb.12:
	v_mad_u64_u32 v[24:25], null, v10, 18, 17
	v_mov_b32_e32 v16, 0
	v_mov_b32_e32 v22, 0
	;; [unrolled: 1-line block ×13, first 2 shown]
	s_mov_b32 s0, 0
.LBB134_13:                             ; =>This Inner Loop Header: Depth=1
	v_ashrrev_i32_e32 v11, 31, v10
	v_subrev_nc_u32_e32 v26, 17, v24
	v_add_nc_u32_e32 v28, -11, v24
	v_mov_b32_e32 v29, v27
	v_add_nc_u32_e32 v32, -5, v24
	v_lshlrev_b64 v[36:37], 2, v[10:11]
	v_lshlrev_b64 v[34:35], 4, v[26:27]
	v_add_nc_u32_e32 v26, -10, v24
	v_mov_b32_e32 v33, v27
	v_mov_b32_e32 v25, v27
	v_lshlrev_b64 v[28:29], 4, v[28:29]
	v_add_co_u32 v36, vcc_lo, s10, v36
	v_add_co_ci_u32_e64 v37, null, s11, v37, vcc_lo
	v_lshlrev_b64 v[40:41], 4, v[26:27]
	v_add_nc_u32_e32 v26, -4, v24
	v_lshlrev_b64 v[32:33], 4, v[32:33]
	global_load_dword v11, v[36:37], off
	v_lshlrev_b64 v[38:39], 4, v[24:25]
	v_add_co_u32 v42, vcc_lo, s12, v34
	v_lshlrev_b64 v[52:53], 4, v[26:27]
	v_add_nc_u32_e32 v26, -15, v24
	v_add_co_ci_u32_e64 v43, null, s13, v35, vcc_lo
	v_add_co_u32 v28, vcc_lo, s12, v28
	v_add_co_ci_u32_e64 v29, null, s13, v29, vcc_lo
	v_add_co_u32 v44, vcc_lo, s12, v32
	v_add_co_ci_u32_e64 v45, null, s13, v33, vcc_lo
	v_add_co_u32 v80, vcc_lo, s12, v38
	v_lshlrev_b64 v[25:26], 4, v[26:27]
	v_add_co_ci_u32_e64 v81, null, s13, v39, vcc_lo
	v_add_co_u32 v48, vcc_lo, s12, v40
	v_add_co_ci_u32_e64 v49, null, s13, v41, vcc_lo
	s_clause 0x3
	global_load_dwordx4 v[32:35], v[42:43], off offset:16
	global_load_dwordx4 v[36:39], v[42:43], off
	global_load_dwordx4 v[40:43], v[28:29], off
	;; [unrolled: 1-line block ×3, first 2 shown]
	v_add_co_u32 v28, vcc_lo, s12, v52
	v_add_co_ci_u32_e64 v29, null, s13, v53, vcc_lo
	v_add_co_u32 v25, vcc_lo, s12, v25
	v_add_co_ci_u32_e64 v26, null, s13, v26, vcc_lo
	s_clause 0x2
	global_load_dwordx4 v[48:51], v[48:49], off
	global_load_dwordx4 v[52:55], v[28:29], off
	;; [unrolled: 1-line block ×3, first 2 shown]
	v_mov_b32_e32 v30, v27
	v_add_nc_u32_e32 v10, 32, v10
	s_waitcnt vmcnt(7)
	v_subrev_nc_u32_e32 v11, s2, v11
	v_mul_lo_u32 v29, v11, 6
	v_lshlrev_b64 v[60:61], 4, v[29:30]
	v_add_nc_u32_e32 v26, 2, v29
	v_lshlrev_b64 v[68:69], 4, v[26:27]
	v_add_co_u32 v64, vcc_lo, s14, v60
	v_add_co_ci_u32_e64 v65, null, s15, v61, vcc_lo
	v_add_nc_u32_e32 v26, -9, v24
	v_add_co_u32 v72, vcc_lo, s14, v68
	s_clause 0x1
	global_load_dwordx4 v[60:63], v[64:65], off
	global_load_dwordx4 v[64:67], v[64:65], off offset:16
	v_add_co_ci_u32_e64 v73, null, s15, v69, vcc_lo
	v_lshlrev_b64 v[76:77], 4, v[26:27]
	s_clause 0x1
	global_load_dwordx4 v[68:71], v[72:73], off
	global_load_dwordx4 v[72:75], v[72:73], off offset:16
	v_add_nc_u32_e32 v26, -3, v24
	v_add_co_u32 v76, vcc_lo, s12, v76
	v_add_co_ci_u32_e64 v77, null, s13, v77, vcc_lo
	v_lshlrev_b64 v[78:79], 4, v[26:27]
	v_add_nc_u32_e32 v26, -14, v24
	v_add_co_u32 v84, vcc_lo, s12, v78
	v_add_co_ci_u32_e64 v85, null, s13, v79, vcc_lo
	global_load_dwordx4 v[76:79], v[76:77], off
	v_lshlrev_b64 v[82:83], 4, v[26:27]
	v_add_nc_u32_e32 v26, -8, v24
	s_waitcnt vmcnt(4)
	v_fma_f64 v[22:23], v[36:37], v[60:61], v[22:23]
	v_fma_f64 v[16:17], v[38:39], v[60:61], v[16:17]
	;; [unrolled: 1-line block ×6, first 2 shown]
	v_fma_f64 v[86:87], -v[38:39], v[62:63], v[22:23]
	v_fma_f64 v[88:89], v[36:37], v[62:63], v[16:17]
	global_load_dwordx4 v[36:39], v[84:85], off
	v_lshlrev_b64 v[16:17], 4, v[26:27]
	v_add_nc_u32_e32 v26, -2, v24
	v_fma_f64 v[42:43], -v[42:43], v[62:63], v[18:19]
	v_add_co_u32 v22, vcc_lo, s12, v82
	v_add_co_ci_u32_e64 v23, null, s13, v83, vcc_lo
	v_lshlrev_b64 v[18:19], 4, v[26:27]
	v_add_nc_u32_e32 v26, -13, v24
	v_fma_f64 v[40:41], v[40:41], v[62:63], v[20:21]
	v_add_co_u32 v20, vcc_lo, s12, v16
	v_fma_f64 v[46:47], -v[46:47], v[62:63], v[11:12]
	v_fma_f64 v[44:45], v[44:45], v[62:63], v[13:14]
	v_add_co_ci_u32_e64 v21, null, s13, v17, vcc_lo
	v_add_co_u32 v28, vcc_lo, s12, v18
	v_lshlrev_b64 v[82:83], 4, v[26:27]
	v_add_nc_u32_e32 v26, 4, v29
	v_add_co_ci_u32_e64 v29, null, s13, v19, vcc_lo
	s_waitcnt vmcnt(4)
	v_fma_f64 v[84:85], v[34:35], v[64:65], v[88:89]
	s_clause 0x2
	global_load_dwordx4 v[16:19], v[22:23], off
	global_load_dwordx4 v[11:14], v[20:21], off
	;; [unrolled: 1-line block ×3, first 2 shown]
	v_add_co_u32 v28, vcc_lo, s12, v82
	v_add_co_ci_u32_e64 v29, null, s13, v83, vcc_lo
	v_fma_f64 v[82:83], v[32:33], v[64:65], v[86:87]
	v_fma_f64 v[42:43], v[48:49], v[64:65], v[42:43]
	;; [unrolled: 1-line block ×3, first 2 shown]
	v_lshlrev_b64 v[60:61], 4, v[26:27]
	v_fma_f64 v[46:47], v[52:53], v[64:65], v[46:47]
	v_fma_f64 v[44:45], v[54:55], v[64:65], v[44:45]
	v_add_nc_u32_e32 v26, -7, v24
	v_lshlrev_b64 v[62:63], 4, v[26:27]
	v_add_nc_u32_e32 v26, -1, v24
	v_fma_f64 v[84:85], v[32:33], v[66:67], v[84:85]
	v_fma_f64 v[82:83], -v[34:35], v[66:67], v[82:83]
	global_load_dwordx4 v[32:35], v[28:29], off
	v_add_co_u32 v28, vcc_lo, s14, v60
	v_add_co_ci_u32_e64 v29, null, s15, v61, vcc_lo
	v_lshlrev_b64 v[60:61], 4, v[26:27]
	v_fma_f64 v[86:87], -v[50:51], v[66:67], v[42:43]
	v_fma_f64 v[88:89], v[48:49], v[66:67], v[40:41]
	global_load_dwordx4 v[40:43], v[28:29], off offset:16
	v_fma_f64 v[90:91], -v[54:55], v[66:67], v[46:47]
	v_fma_f64 v[92:93], v[52:53], v[66:67], v[44:45]
	global_load_dwordx4 v[44:47], v[28:29], off
	v_add_co_u32 v28, vcc_lo, s12, v62
	v_add_co_ci_u32_e64 v29, null, s13, v63, vcc_lo
	v_add_co_u32 v52, vcc_lo, s12, v60
	v_add_co_ci_u32_e64 v53, null, s13, v61, vcc_lo
	s_waitcnt vmcnt(9)
	v_fma_f64 v[60:61], v[58:59], v[68:69], v[84:85]
	s_clause 0x1
	global_load_dwordx4 v[48:51], v[28:29], off
	global_load_dwordx4 v[52:55], v[52:53], off
	v_add_nc_u32_e32 v26, -12, v24
	v_fma_f64 v[28:29], v[56:57], v[68:69], v[82:83]
	v_lshlrev_b64 v[62:63], 4, v[26:27]
	s_waitcnt vmcnt(9)
	v_fma_f64 v[64:65], v[78:79], v[68:69], v[88:89]
	v_add_nc_u32_e32 v26, -6, v24
	v_add_nc_u32_e32 v24, 0x240, v24
	v_lshlrev_b64 v[25:26], 4, v[26:27]
	v_fma_f64 v[82:83], v[56:57], v[70:71], v[60:61]
	v_add_co_u32 v60, vcc_lo, s12, v62
	v_add_co_ci_u32_e64 v61, null, s13, v63, vcc_lo
	v_fma_f64 v[62:63], v[76:77], v[68:69], v[86:87]
	v_add_co_u32 v25, vcc_lo, s12, v25
	v_add_co_ci_u32_e64 v26, null, s13, v26, vcc_lo
	v_fma_f64 v[28:29], -v[58:59], v[70:71], v[28:29]
	global_load_dwordx4 v[56:59], v[80:81], off
	v_fma_f64 v[76:77], v[76:77], v[70:71], v[64:65]
	v_cmp_ge_i32_e32 vcc_lo, v10, v31
	s_or_b32 s0, vcc_lo, s0
	v_fma_f64 v[78:79], -v[78:79], v[70:71], v[62:63]
	s_clause 0x1
	global_load_dwordx4 v[60:63], v[60:61], off
	global_load_dwordx4 v[64:67], v[25:26], off
	s_waitcnt vmcnt(11)
	v_fma_f64 v[25:26], v[36:37], v[68:69], v[90:91]
	v_fma_f64 v[68:69], v[38:39], v[68:69], v[92:93]
	v_fma_f64 v[25:26], -v[38:39], v[70:71], v[25:26]
	v_fma_f64 v[36:37], v[36:37], v[70:71], v[68:69]
	s_waitcnt vmcnt(10)
	v_fma_f64 v[28:29], v[16:17], v[72:73], v[28:29]
	v_fma_f64 v[38:39], v[18:19], v[72:73], v[82:83]
	s_waitcnt vmcnt(9)
	v_fma_f64 v[68:69], v[11:12], v[72:73], v[78:79]
	;; [unrolled: 3-line block ×3, first 2 shown]
	v_fma_f64 v[36:37], v[22:23], v[72:73], v[36:37]
	v_fma_f64 v[18:19], -v[18:19], v[74:75], v[28:29]
	v_fma_f64 v[15:16], v[16:17], v[74:75], v[38:39]
	v_fma_f64 v[13:14], -v[13:14], v[74:75], v[68:69]
	;; [unrolled: 2-line block ×3, first 2 shown]
	v_fma_f64 v[20:21], v[20:21], v[74:75], v[36:37]
	s_waitcnt vmcnt(5)
	v_fma_f64 v[17:18], v[32:33], v[44:45], v[18:19]
	v_fma_f64 v[15:16], v[34:35], v[44:45], v[15:16]
	s_waitcnt vmcnt(4)
	v_fma_f64 v[13:14], v[48:49], v[44:45], v[13:14]
	;; [unrolled: 3-line block ×3, first 2 shown]
	v_fma_f64 v[19:20], v[54:55], v[44:45], v[20:21]
	v_fma_f64 v[17:18], -v[34:35], v[46:47], v[17:18]
	v_fma_f64 v[15:16], v[32:33], v[46:47], v[15:16]
	v_fma_f64 v[13:14], -v[50:51], v[46:47], v[13:14]
	;; [unrolled: 2-line block ×3, first 2 shown]
	v_fma_f64 v[19:20], v[52:53], v[46:47], v[19:20]
	s_waitcnt vmcnt(1)
	v_fma_f64 v[17:18], v[60:61], v[40:41], v[17:18]
	v_fma_f64 v[15:16], v[62:63], v[40:41], v[15:16]
	s_waitcnt vmcnt(0)
	v_fma_f64 v[13:14], v[64:65], v[40:41], v[13:14]
	v_fma_f64 v[11:12], v[66:67], v[40:41], v[11:12]
	;; [unrolled: 1-line block ×4, first 2 shown]
	v_fma_f64 v[22:23], -v[62:63], v[42:43], v[17:18]
	v_fma_f64 v[16:17], v[60:61], v[42:43], v[15:16]
	v_fma_f64 v[18:19], -v[66:67], v[42:43], v[13:14]
	v_fma_f64 v[20:21], v[64:65], v[42:43], v[11:12]
	;; [unrolled: 2-line block ×3, first 2 shown]
	s_andn2_b32 exec_lo, exec_lo, s0
	s_cbranch_execnz .LBB134_13
; %bb.14:
	s_or_b32 exec_lo, exec_lo, s0
.LBB134_15:
	s_or_b32 exec_lo, exec_lo, s1
.LBB134_16:
	v_mbcnt_lo_u32_b32 v36, -1, 0
	v_xor_b32_e32 v10, 16, v36
	v_xor_b32_e32 v34, 2, v36
	v_cmp_gt_i32_e32 vcc_lo, 32, v10
	v_cndmask_b32_e32 v10, v36, v10, vcc_lo
	v_lshlrev_b32_e32 v33, 2, v10
	ds_bpermute_b32 v10, v33, v22
	ds_bpermute_b32 v11, v33, v23
	;; [unrolled: 1-line block ×12, first 2 shown]
	s_waitcnt lgkmcnt(10)
	v_add_f64 v[10:11], v[22:23], v[10:11]
	v_xor_b32_e32 v22, 8, v36
	s_waitcnt lgkmcnt(8)
	v_add_f64 v[16:17], v[16:17], v[24:25]
	s_waitcnt lgkmcnt(6)
	v_add_f64 v[18:19], v[18:19], v[26:27]
	;; [unrolled: 2-line block ×3, first 2 shown]
	v_cmp_gt_i32_e32 vcc_lo, 32, v22
	s_waitcnt lgkmcnt(2)
	v_add_f64 v[12:13], v[12:13], v[30:31]
	s_waitcnt lgkmcnt(0)
	v_add_f64 v[14:15], v[14:15], v[32:33]
	v_cndmask_b32_e32 v22, v36, v22, vcc_lo
	v_lshlrev_b32_e32 v33, 2, v22
	ds_bpermute_b32 v22, v33, v10
	ds_bpermute_b32 v23, v33, v11
	;; [unrolled: 1-line block ×12, first 2 shown]
	s_waitcnt lgkmcnt(10)
	v_add_f64 v[10:11], v[10:11], v[22:23]
	v_xor_b32_e32 v22, 4, v36
	s_waitcnt lgkmcnt(8)
	v_add_f64 v[16:17], v[16:17], v[24:25]
	s_waitcnt lgkmcnt(6)
	v_add_f64 v[18:19], v[18:19], v[26:27]
	;; [unrolled: 2-line block ×3, first 2 shown]
	v_cmp_gt_i32_e32 vcc_lo, 32, v22
	s_waitcnt lgkmcnt(2)
	v_add_f64 v[12:13], v[12:13], v[30:31]
	s_waitcnt lgkmcnt(0)
	v_add_f64 v[14:15], v[14:15], v[32:33]
	v_cndmask_b32_e32 v22, v36, v22, vcc_lo
	v_cmp_gt_i32_e32 vcc_lo, 32, v34
	v_lshlrev_b32_e32 v33, 2, v22
	ds_bpermute_b32 v22, v33, v10
	ds_bpermute_b32 v23, v33, v11
	;; [unrolled: 1-line block ×12, first 2 shown]
	s_waitcnt lgkmcnt(10)
	v_add_f64 v[10:11], v[10:11], v[22:23]
	s_waitcnt lgkmcnt(8)
	v_add_f64 v[16:17], v[16:17], v[24:25]
	s_waitcnt lgkmcnt(6)
	v_add_f64 v[18:19], v[18:19], v[26:27]
	s_waitcnt lgkmcnt(4)
	v_add_f64 v[22:23], v[20:21], v[28:29]
	s_waitcnt lgkmcnt(2)
	v_add_f64 v[24:25], v[12:13], v[30:31]
	v_cndmask_b32_e32 v12, v36, v34, vcc_lo
	s_waitcnt lgkmcnt(0)
	v_add_f64 v[26:27], v[14:15], v[32:33]
	v_lshlrev_b32_e32 v20, 2, v12
	ds_bpermute_b32 v12, v20, v10
	ds_bpermute_b32 v13, v20, v11
	ds_bpermute_b32 v14, v20, v16
	ds_bpermute_b32 v15, v20, v17
	ds_bpermute_b32 v28, v20, v18
	ds_bpermute_b32 v29, v20, v19
	ds_bpermute_b32 v30, v20, v22
	ds_bpermute_b32 v31, v20, v23
	ds_bpermute_b32 v32, v20, v24
	ds_bpermute_b32 v33, v20, v25
	ds_bpermute_b32 v34, v20, v26
	ds_bpermute_b32 v35, v20, v27
	s_waitcnt lgkmcnt(10)
	v_add_f64 v[10:11], v[10:11], v[12:13]
	s_waitcnt lgkmcnt(8)
	v_add_f64 v[20:21], v[16:17], v[14:15]
	;; [unrolled: 2-line block ×3, first 2 shown]
	v_xor_b32_e32 v28, 1, v36
	s_waitcnt lgkmcnt(4)
	v_add_f64 v[18:19], v[22:23], v[30:31]
	s_waitcnt lgkmcnt(2)
	v_add_f64 v[14:15], v[24:25], v[32:33]
	;; [unrolled: 2-line block ×3, first 2 shown]
	v_cmp_gt_i32_e32 vcc_lo, 32, v28
	v_cndmask_b32_e32 v22, v36, v28, vcc_lo
	v_cmp_eq_u32_e32 vcc_lo, 31, v0
	v_lshlrev_b32_e32 v25, 2, v22
	ds_bpermute_b32 v32, v25, v10
	ds_bpermute_b32 v33, v25, v11
	;; [unrolled: 1-line block ×12, first 2 shown]
	s_and_b32 exec_lo, exec_lo, vcc_lo
	s_cbranch_execz .LBB134_21
; %bb.17:
	v_cmp_eq_f64_e32 vcc_lo, 0, v[5:6]
	v_cmp_eq_f64_e64 s0, 0, v[7:8]
	s_waitcnt lgkmcnt(10)
	v_add_f64 v[10:11], v[10:11], v[32:33]
	s_waitcnt lgkmcnt(8)
	v_add_f64 v[20:21], v[20:21], v[30:31]
	;; [unrolled: 2-line block ×6, first 2 shown]
	s_load_dwordx2 s[2:3], s[4:5], 0x48
	s_and_b32 s0, vcc_lo, s0
	s_and_saveexec_b32 s1, s0
	s_xor_b32 s0, exec_lo, s1
	s_cbranch_execz .LBB134_19
; %bb.18:
	v_mul_f64 v[5:6], v[20:21], -v[3:4]
	v_mul_f64 v[7:8], v[1:2], v[20:21]
	v_mul_f64 v[20:21], v[18:19], -v[3:4]
	v_mul_f64 v[18:19], v[1:2], v[18:19]
	;; [unrolled: 2-line block ×3, first 2 shown]
	v_lshl_add_u32 v24, v9, 1, v9
	v_ashrrev_i32_e32 v25, 31, v24
	v_fma_f64 v[5:6], v[1:2], v[10:11], v[5:6]
	v_fma_f64 v[7:8], v[3:4], v[10:11], v[7:8]
	;; [unrolled: 1-line block ×6, first 2 shown]
	v_lshlrev_b64 v[13:14], 4, v[24:25]
                                        ; implicit-def: $vgpr20_vgpr21
                                        ; implicit-def: $vgpr18_vgpr19
                                        ; implicit-def: $vgpr16_vgpr17
	s_waitcnt lgkmcnt(0)
	v_add_co_u32 v13, vcc_lo, s2, v13
	v_add_co_ci_u32_e64 v14, null, s3, v14, vcc_lo
	global_store_dwordx4 v[13:14], v[5:8], off
	global_store_dwordx4 v[13:14], v[9:12], off offset:16
	global_store_dwordx4 v[13:14], v[0:3], off offset:32
                                        ; implicit-def: $vgpr9
                                        ; implicit-def: $vgpr10_vgpr11
                                        ; implicit-def: $vgpr12_vgpr13
                                        ; implicit-def: $vgpr14_vgpr15
                                        ; implicit-def: $vgpr7_vgpr8
                                        ; implicit-def: $vgpr3_vgpr4
.LBB134_19:
	s_andn2_saveexec_b32 s0, s0
	s_cbranch_execz .LBB134_21
; %bb.20:
	v_lshl_add_u32 v22, v9, 1, v9
	v_mul_f64 v[36:37], v[20:21], -v[3:4]
	v_mul_f64 v[20:21], v[1:2], v[20:21]
	v_mul_f64 v[38:39], v[18:19], -v[3:4]
	v_mul_f64 v[18:19], v[1:2], v[18:19]
	v_ashrrev_i32_e32 v23, 31, v22
	v_mul_f64 v[40:41], v[16:17], -v[3:4]
	v_mul_f64 v[16:17], v[1:2], v[16:17]
	v_lshlrev_b64 v[22:23], 4, v[22:23]
	s_waitcnt lgkmcnt(0)
	v_add_co_u32 v34, vcc_lo, s2, v22
	v_add_co_ci_u32_e64 v35, null, s3, v23, vcc_lo
	s_clause 0x2
	global_load_dwordx4 v[22:25], v[34:35], off
	global_load_dwordx4 v[26:29], v[34:35], off offset:16
	global_load_dwordx4 v[30:33], v[34:35], off offset:32
	v_fma_f64 v[36:37], v[1:2], v[10:11], v[36:37]
	v_fma_f64 v[9:10], v[3:4], v[10:11], v[20:21]
	;; [unrolled: 1-line block ×6, first 2 shown]
	s_waitcnt vmcnt(2)
	v_fma_f64 v[13:14], v[5:6], v[22:23], v[36:37]
	v_fma_f64 v[9:10], v[7:8], v[22:23], v[9:10]
	s_waitcnt vmcnt(1)
	v_fma_f64 v[15:16], v[5:6], v[26:27], v[20:21]
	v_fma_f64 v[11:12], v[7:8], v[26:27], v[11:12]
	;; [unrolled: 3-line block ×3, first 2 shown]
	v_fma_f64 v[0:1], -v[7:8], v[24:25], v[13:14]
	v_fma_f64 v[2:3], v[5:6], v[24:25], v[9:10]
	v_fma_f64 v[9:10], -v[7:8], v[28:29], v[15:16]
	v_fma_f64 v[11:12], v[5:6], v[28:29], v[11:12]
	;; [unrolled: 2-line block ×3, first 2 shown]
	global_store_dwordx4 v[34:35], v[0:3], off
	global_store_dwordx4 v[34:35], v[9:12], off offset:16
	global_store_dwordx4 v[34:35], v[13:16], off offset:32
.LBB134_21:
	s_endpgm
	.section	.rodata,"a",@progbits
	.p2align	6, 0x0
	.amdhsa_kernel _ZN9rocsparseL19gebsrmvn_3xn_kernelILj128ELj6ELj32E21rocsparse_complex_numIdEEEvi20rocsparse_direction_NS_24const_host_device_scalarIT2_EEPKiS8_PKS5_SA_S6_PS5_21rocsparse_index_base_b
		.amdhsa_group_segment_fixed_size 0
		.amdhsa_private_segment_fixed_size 0
		.amdhsa_kernarg_size 88
		.amdhsa_user_sgpr_count 6
		.amdhsa_user_sgpr_private_segment_buffer 1
		.amdhsa_user_sgpr_dispatch_ptr 0
		.amdhsa_user_sgpr_queue_ptr 0
		.amdhsa_user_sgpr_kernarg_segment_ptr 1
		.amdhsa_user_sgpr_dispatch_id 0
		.amdhsa_user_sgpr_flat_scratch_init 0
		.amdhsa_user_sgpr_private_segment_size 0
		.amdhsa_wavefront_size32 1
		.amdhsa_uses_dynamic_stack 0
		.amdhsa_system_sgpr_private_segment_wavefront_offset 0
		.amdhsa_system_sgpr_workgroup_id_x 1
		.amdhsa_system_sgpr_workgroup_id_y 0
		.amdhsa_system_sgpr_workgroup_id_z 0
		.amdhsa_system_sgpr_workgroup_info 0
		.amdhsa_system_vgpr_workitem_id 0
		.amdhsa_next_free_vgpr 108
		.amdhsa_next_free_sgpr 16
		.amdhsa_reserve_vcc 1
		.amdhsa_reserve_flat_scratch 0
		.amdhsa_float_round_mode_32 0
		.amdhsa_float_round_mode_16_64 0
		.amdhsa_float_denorm_mode_32 3
		.amdhsa_float_denorm_mode_16_64 3
		.amdhsa_dx10_clamp 1
		.amdhsa_ieee_mode 1
		.amdhsa_fp16_overflow 0
		.amdhsa_workgroup_processor_mode 1
		.amdhsa_memory_ordered 1
		.amdhsa_forward_progress 1
		.amdhsa_shared_vgpr_count 0
		.amdhsa_exception_fp_ieee_invalid_op 0
		.amdhsa_exception_fp_denorm_src 0
		.amdhsa_exception_fp_ieee_div_zero 0
		.amdhsa_exception_fp_ieee_overflow 0
		.amdhsa_exception_fp_ieee_underflow 0
		.amdhsa_exception_fp_ieee_inexact 0
		.amdhsa_exception_int_div_zero 0
	.end_amdhsa_kernel
	.section	.text._ZN9rocsparseL19gebsrmvn_3xn_kernelILj128ELj6ELj32E21rocsparse_complex_numIdEEEvi20rocsparse_direction_NS_24const_host_device_scalarIT2_EEPKiS8_PKS5_SA_S6_PS5_21rocsparse_index_base_b,"axG",@progbits,_ZN9rocsparseL19gebsrmvn_3xn_kernelILj128ELj6ELj32E21rocsparse_complex_numIdEEEvi20rocsparse_direction_NS_24const_host_device_scalarIT2_EEPKiS8_PKS5_SA_S6_PS5_21rocsparse_index_base_b,comdat
.Lfunc_end134:
	.size	_ZN9rocsparseL19gebsrmvn_3xn_kernelILj128ELj6ELj32E21rocsparse_complex_numIdEEEvi20rocsparse_direction_NS_24const_host_device_scalarIT2_EEPKiS8_PKS5_SA_S6_PS5_21rocsparse_index_base_b, .Lfunc_end134-_ZN9rocsparseL19gebsrmvn_3xn_kernelILj128ELj6ELj32E21rocsparse_complex_numIdEEEvi20rocsparse_direction_NS_24const_host_device_scalarIT2_EEPKiS8_PKS5_SA_S6_PS5_21rocsparse_index_base_b
                                        ; -- End function
	.set _ZN9rocsparseL19gebsrmvn_3xn_kernelILj128ELj6ELj32E21rocsparse_complex_numIdEEEvi20rocsparse_direction_NS_24const_host_device_scalarIT2_EEPKiS8_PKS5_SA_S6_PS5_21rocsparse_index_base_b.num_vgpr, 108
	.set _ZN9rocsparseL19gebsrmvn_3xn_kernelILj128ELj6ELj32E21rocsparse_complex_numIdEEEvi20rocsparse_direction_NS_24const_host_device_scalarIT2_EEPKiS8_PKS5_SA_S6_PS5_21rocsparse_index_base_b.num_agpr, 0
	.set _ZN9rocsparseL19gebsrmvn_3xn_kernelILj128ELj6ELj32E21rocsparse_complex_numIdEEEvi20rocsparse_direction_NS_24const_host_device_scalarIT2_EEPKiS8_PKS5_SA_S6_PS5_21rocsparse_index_base_b.numbered_sgpr, 16
	.set _ZN9rocsparseL19gebsrmvn_3xn_kernelILj128ELj6ELj32E21rocsparse_complex_numIdEEEvi20rocsparse_direction_NS_24const_host_device_scalarIT2_EEPKiS8_PKS5_SA_S6_PS5_21rocsparse_index_base_b.num_named_barrier, 0
	.set _ZN9rocsparseL19gebsrmvn_3xn_kernelILj128ELj6ELj32E21rocsparse_complex_numIdEEEvi20rocsparse_direction_NS_24const_host_device_scalarIT2_EEPKiS8_PKS5_SA_S6_PS5_21rocsparse_index_base_b.private_seg_size, 0
	.set _ZN9rocsparseL19gebsrmvn_3xn_kernelILj128ELj6ELj32E21rocsparse_complex_numIdEEEvi20rocsparse_direction_NS_24const_host_device_scalarIT2_EEPKiS8_PKS5_SA_S6_PS5_21rocsparse_index_base_b.uses_vcc, 1
	.set _ZN9rocsparseL19gebsrmvn_3xn_kernelILj128ELj6ELj32E21rocsparse_complex_numIdEEEvi20rocsparse_direction_NS_24const_host_device_scalarIT2_EEPKiS8_PKS5_SA_S6_PS5_21rocsparse_index_base_b.uses_flat_scratch, 0
	.set _ZN9rocsparseL19gebsrmvn_3xn_kernelILj128ELj6ELj32E21rocsparse_complex_numIdEEEvi20rocsparse_direction_NS_24const_host_device_scalarIT2_EEPKiS8_PKS5_SA_S6_PS5_21rocsparse_index_base_b.has_dyn_sized_stack, 0
	.set _ZN9rocsparseL19gebsrmvn_3xn_kernelILj128ELj6ELj32E21rocsparse_complex_numIdEEEvi20rocsparse_direction_NS_24const_host_device_scalarIT2_EEPKiS8_PKS5_SA_S6_PS5_21rocsparse_index_base_b.has_recursion, 0
	.set _ZN9rocsparseL19gebsrmvn_3xn_kernelILj128ELj6ELj32E21rocsparse_complex_numIdEEEvi20rocsparse_direction_NS_24const_host_device_scalarIT2_EEPKiS8_PKS5_SA_S6_PS5_21rocsparse_index_base_b.has_indirect_call, 0
	.section	.AMDGPU.csdata,"",@progbits
; Kernel info:
; codeLenInByte = 4980
; TotalNumSgprs: 18
; NumVgprs: 108
; ScratchSize: 0
; MemoryBound: 0
; FloatMode: 240
; IeeeMode: 1
; LDSByteSize: 0 bytes/workgroup (compile time only)
; SGPRBlocks: 0
; VGPRBlocks: 13
; NumSGPRsForWavesPerEU: 18
; NumVGPRsForWavesPerEU: 108
; Occupancy: 9
; WaveLimiterHint : 1
; COMPUTE_PGM_RSRC2:SCRATCH_EN: 0
; COMPUTE_PGM_RSRC2:USER_SGPR: 6
; COMPUTE_PGM_RSRC2:TRAP_HANDLER: 0
; COMPUTE_PGM_RSRC2:TGID_X_EN: 1
; COMPUTE_PGM_RSRC2:TGID_Y_EN: 0
; COMPUTE_PGM_RSRC2:TGID_Z_EN: 0
; COMPUTE_PGM_RSRC2:TIDIG_COMP_CNT: 0
	.section	.text._ZN9rocsparseL19gebsrmvn_3xn_kernelILj128ELj6ELj64E21rocsparse_complex_numIdEEEvi20rocsparse_direction_NS_24const_host_device_scalarIT2_EEPKiS8_PKS5_SA_S6_PS5_21rocsparse_index_base_b,"axG",@progbits,_ZN9rocsparseL19gebsrmvn_3xn_kernelILj128ELj6ELj64E21rocsparse_complex_numIdEEEvi20rocsparse_direction_NS_24const_host_device_scalarIT2_EEPKiS8_PKS5_SA_S6_PS5_21rocsparse_index_base_b,comdat
	.globl	_ZN9rocsparseL19gebsrmvn_3xn_kernelILj128ELj6ELj64E21rocsparse_complex_numIdEEEvi20rocsparse_direction_NS_24const_host_device_scalarIT2_EEPKiS8_PKS5_SA_S6_PS5_21rocsparse_index_base_b ; -- Begin function _ZN9rocsparseL19gebsrmvn_3xn_kernelILj128ELj6ELj64E21rocsparse_complex_numIdEEEvi20rocsparse_direction_NS_24const_host_device_scalarIT2_EEPKiS8_PKS5_SA_S6_PS5_21rocsparse_index_base_b
	.p2align	8
	.type	_ZN9rocsparseL19gebsrmvn_3xn_kernelILj128ELj6ELj64E21rocsparse_complex_numIdEEEvi20rocsparse_direction_NS_24const_host_device_scalarIT2_EEPKiS8_PKS5_SA_S6_PS5_21rocsparse_index_base_b,@function
_ZN9rocsparseL19gebsrmvn_3xn_kernelILj128ELj6ELj64E21rocsparse_complex_numIdEEEvi20rocsparse_direction_NS_24const_host_device_scalarIT2_EEPKiS8_PKS5_SA_S6_PS5_21rocsparse_index_base_b: ; @_ZN9rocsparseL19gebsrmvn_3xn_kernelILj128ELj6ELj64E21rocsparse_complex_numIdEEEvi20rocsparse_direction_NS_24const_host_device_scalarIT2_EEPKiS8_PKS5_SA_S6_PS5_21rocsparse_index_base_b
; %bb.0:
	s_clause 0x1
	s_load_dwordx2 s[2:3], s[4:5], 0x50
	s_load_dwordx2 s[0:1], s[4:5], 0x8
	s_add_u32 s7, s4, 8
	s_addc_u32 s10, s5, 0
	s_add_u32 s11, s4, 56
	s_addc_u32 s12, s5, 0
	s_load_dwordx2 s[8:9], s[4:5], 0x38
	s_waitcnt lgkmcnt(0)
	s_bitcmp1_b32 s3, 0
	s_cselect_b32 s0, s7, s0
	s_cselect_b32 s1, s10, s1
	v_mov_b32_e32 v1, s0
	v_mov_b32_e32 v2, s1
	s_cselect_b32 s0, s11, s8
	s_cselect_b32 s1, s12, s9
	v_mov_b32_e32 v5, s0
	v_mov_b32_e32 v6, s1
	flat_load_dwordx4 v[1:4], v[1:2]
	flat_load_dwordx4 v[5:8], v[5:6]
	s_waitcnt vmcnt(1) lgkmcnt(1)
	v_cmp_eq_f64_e32 vcc_lo, 0, v[1:2]
	v_cmp_eq_f64_e64 s0, 0, v[3:4]
	s_and_b32 s3, vcc_lo, s0
	s_mov_b32 s0, -1
	s_and_saveexec_b32 s1, s3
	s_cbranch_execz .LBB135_2
; %bb.1:
	s_waitcnt vmcnt(0) lgkmcnt(0)
	v_cmp_neq_f64_e32 vcc_lo, 1.0, v[5:6]
	v_cmp_neq_f64_e64 s0, 0, v[7:8]
	s_or_b32 s0, vcc_lo, s0
	s_orn2_b32 s0, s0, exec_lo
.LBB135_2:
	s_or_b32 exec_lo, exec_lo, s1
	s_and_saveexec_b32 s1, s0
	s_cbranch_execz .LBB135_21
; %bb.3:
	s_load_dwordx2 s[0:1], s[4:5], 0x0
	v_lshrrev_b32_e32 v9, 6, v0
	v_lshl_or_b32 v9, s6, 1, v9
	s_waitcnt lgkmcnt(0)
	v_cmp_gt_i32_e32 vcc_lo, s0, v9
	s_and_b32 exec_lo, exec_lo, vcc_lo
	s_cbranch_execz .LBB135_21
; %bb.4:
	s_load_dwordx8 s[8:15], s[4:5], 0x18
	v_ashrrev_i32_e32 v10, 31, v9
	v_and_b32_e32 v0, 63, v0
	s_cmp_lg_u32 s1, 0
	v_lshlrev_b64 v[10:11], 2, v[9:10]
	s_waitcnt lgkmcnt(0)
	v_add_co_u32 v10, vcc_lo, s8, v10
	v_add_co_ci_u32_e64 v11, null, s9, v11, vcc_lo
	global_load_dwordx2 v[10:11], v[10:11], off
	s_waitcnt vmcnt(0)
	v_subrev_nc_u32_e32 v10, s2, v10
	v_subrev_nc_u32_e32 v31, s2, v11
	v_add_nc_u32_e32 v10, v10, v0
	v_cmp_lt_i32_e64 s0, v10, v31
	s_cbranch_scc0 .LBB135_10
; %bb.5:
	v_mov_b32_e32 v16, 0
	v_mov_b32_e32 v22, 0
	;; [unrolled: 1-line block ×12, first 2 shown]
	s_and_saveexec_b32 s1, s0
	s_cbranch_execz .LBB135_9
; %bb.6:
	v_mad_u64_u32 v[24:25], null, v10, 18, 17
	v_mov_b32_e32 v16, 0
	v_mov_b32_e32 v22, 0
	;; [unrolled: 1-line block ×14, first 2 shown]
	s_mov_b32 s3, 0
.LBB135_7:                              ; =>This Inner Loop Header: Depth=1
	v_ashrrev_i32_e32 v29, 31, v28
	v_subrev_nc_u32_e32 v26, 17, v24
	v_mov_b32_e32 v25, v27
	v_mov_b32_e32 v30, v27
	v_lshlrev_b64 v[32:33], 2, v[28:29]
	v_lshlrev_b64 v[34:35], 4, v[26:27]
	v_add_nc_u32_e32 v26, -15, v24
	v_add_nc_u32_e32 v28, 64, v28
	v_add_co_u32 v32, vcc_lo, s10, v32
	v_add_co_ci_u32_e64 v33, null, s11, v33, vcc_lo
	v_lshlrev_b64 v[36:37], 4, v[26:27]
	v_add_nc_u32_e32 v26, -14, v24
	v_add_co_u32 v38, vcc_lo, s12, v34
	global_load_dword v11, v[32:33], off
	v_lshlrev_b64 v[32:33], 4, v[24:25]
	v_lshlrev_b64 v[48:49], 4, v[26:27]
	v_add_nc_u32_e32 v26, -13, v24
	v_add_co_ci_u32_e64 v39, null, s13, v35, vcc_lo
	v_add_co_u32 v40, vcc_lo, s12, v32
	v_lshlrev_b64 v[50:51], 4, v[26:27]
	v_add_nc_u32_e32 v26, -12, v24
	v_add_co_ci_u32_e64 v41, null, s13, v33, vcc_lo
	v_add_co_u32 v44, vcc_lo, s12, v36
	;; [unrolled: 4-line block ×3, first 2 shown]
	v_lshlrev_b64 v[25:26], 4, v[26:27]
	v_add_co_ci_u32_e64 v49, null, s13, v49, vcc_lo
	v_add_co_u32 v52, vcc_lo, s12, v50
	v_add_co_ci_u32_e64 v53, null, s13, v51, vcc_lo
	v_add_co_u32 v56, vcc_lo, s12, v56
	v_add_co_ci_u32_e64 v57, null, s13, v57, vcc_lo
	v_add_co_u32 v25, vcc_lo, s12, v25
	v_add_co_ci_u32_e64 v26, null, s13, v26, vcc_lo
	s_clause 0x7
	global_load_dwordx4 v[32:35], v[38:39], off offset:16
	global_load_dwordx4 v[36:39], v[38:39], off
	global_load_dwordx4 v[40:43], v[40:41], off
	;; [unrolled: 1-line block ×7, first 2 shown]
	s_waitcnt vmcnt(8)
	v_subrev_nc_u32_e32 v11, s2, v11
	v_mul_lo_u32 v29, v11, 6
	v_lshlrev_b64 v[64:65], 4, v[29:30]
	v_add_nc_u32_e32 v26, 2, v29
	v_lshlrev_b64 v[72:73], 4, v[26:27]
	v_add_co_u32 v68, vcc_lo, s14, v64
	v_add_co_ci_u32_e64 v69, null, s15, v65, vcc_lo
	v_add_nc_u32_e32 v26, -10, v24
	s_clause 0x1
	global_load_dwordx4 v[64:67], v[68:69], off
	global_load_dwordx4 v[68:71], v[68:69], off offset:16
	v_add_co_u32 v76, vcc_lo, s14, v72
	v_lshlrev_b64 v[74:75], 4, v[26:27]
	v_add_nc_u32_e32 v26, -9, v24
	v_add_co_ci_u32_e64 v77, null, s15, v73, vcc_lo
	v_lshlrev_b64 v[80:81], 4, v[26:27]
	v_add_co_u32 v82, vcc_lo, s12, v74
	v_add_co_ci_u32_e64 v83, null, s13, v75, vcc_lo
	s_clause 0x1
	global_load_dwordx4 v[72:75], v[76:77], off
	global_load_dwordx4 v[76:79], v[76:77], off offset:16
	v_add_co_u32 v84, vcc_lo, s12, v80
	v_add_co_ci_u32_e64 v85, null, s13, v81, vcc_lo
	global_load_dwordx4 v[80:83], v[82:83], off
	v_add_nc_u32_e32 v26, -8, v24
	global_load_dwordx4 v[84:87], v[84:85], off
	v_lshlrev_b64 v[88:89], 4, v[26:27]
	v_add_nc_u32_e32 v26, -7, v24
	v_lshlrev_b64 v[90:91], 4, v[26:27]
	v_add_nc_u32_e32 v26, -6, v24
	v_add_co_u32 v88, vcc_lo, s12, v88
	v_add_co_ci_u32_e64 v89, null, s13, v89, vcc_lo
	v_lshlrev_b64 v[92:93], 4, v[26:27]
	v_add_nc_u32_e32 v26, -5, v24
	v_add_co_u32 v94, vcc_lo, s12, v90
	v_add_co_ci_u32_e64 v95, null, s13, v91, vcc_lo
	v_lshlrev_b64 v[96:97], 4, v[26:27]
	v_add_nc_u32_e32 v26, 4, v29
	v_add_co_u32 v29, vcc_lo, s12, v92
	v_add_co_ci_u32_e64 v30, null, s13, v93, vcc_lo
	v_add_co_u32 v102, vcc_lo, s12, v96
	s_clause 0x1
	global_load_dwordx4 v[88:91], v[88:89], off
	global_load_dwordx4 v[92:95], v[94:95], off
	v_add_co_ci_u32_e64 v103, null, s13, v97, vcc_lo
	global_load_dwordx4 v[96:99], v[29:30], off
	v_lshlrev_b64 v[100:101], 4, v[26:27]
	v_add_nc_u32_e32 v26, -4, v24
	v_add_co_u32 v100, vcc_lo, s14, v100
	v_add_co_ci_u32_e64 v101, null, s15, v101, vcc_lo
	s_waitcnt vmcnt(8)
	v_fma_f64 v[16:17], v[38:39], v[64:65], v[16:17]
	v_fma_f64 v[22:23], v[36:37], v[64:65], v[22:23]
	;; [unrolled: 1-line block ×7, first 2 shown]
	v_lshlrev_b64 v[16:17], 4, v[26:27]
	v_add_nc_u32_e32 v26, -3, v24
	v_fma_f64 v[29:30], -v[38:39], v[66:67], v[22:23]
	global_load_dwordx4 v[36:39], v[102:103], off
	v_fma_f64 v[102:103], -v[34:35], v[66:67], v[18:19]
	v_fma_f64 v[106:107], v[32:33], v[66:67], v[20:21]
	v_lshlrev_b64 v[18:19], 4, v[26:27]
	v_add_co_u32 v16, vcc_lo, s12, v16
	v_add_co_ci_u32_e64 v17, null, s13, v17, vcc_lo
	v_fma_f64 v[64:65], -v[46:47], v[66:67], v[11:12]
	v_add_co_u32 v20, vcc_lo, s12, v18
	v_add_co_ci_u32_e64 v21, null, s13, v19, vcc_lo
	v_fma_f64 v[66:67], v[44:45], v[66:67], v[13:14]
	global_load_dwordx4 v[11:14], v[100:101], off
	s_clause 0x1
	global_load_dwordx4 v[15:18], v[16:17], off
	global_load_dwordx4 v[19:22], v[20:21], off
	v_add_nc_u32_e32 v26, -2, v24
	s_waitcnt vmcnt(11)
	v_fma_f64 v[34:35], v[50:51], v[68:69], v[104:105]
	v_fma_f64 v[29:30], v[48:49], v[68:69], v[29:30]
	v_lshlrev_b64 v[32:33], 4, v[26:27]
	v_fma_f64 v[46:47], v[52:53], v[68:69], v[102:103]
	v_add_nc_u32_e32 v26, -1, v24
	v_add_nc_u32_e32 v24, 0x480, v24
	v_add_co_u32 v44, vcc_lo, s12, v32
	v_lshlrev_b64 v[25:26], 4, v[26:27]
	v_add_co_ci_u32_e64 v45, null, s13, v33, vcc_lo
	v_add_co_u32 v25, vcc_lo, s12, v25
	v_add_co_ci_u32_e64 v26, null, s13, v26, vcc_lo
	v_fma_f64 v[104:105], v[48:49], v[70:71], v[34:35]
	v_fma_f64 v[48:49], v[54:55], v[68:69], v[106:107]
	global_load_dwordx4 v[32:35], v[100:101], off offset:16
	v_fma_f64 v[29:30], -v[50:51], v[70:71], v[29:30]
	v_cmp_ge_i32_e32 vcc_lo, v28, v31
	v_fma_f64 v[54:55], -v[54:55], v[70:71], v[46:47]
	s_or_b32 s3, vcc_lo, s3
	v_fma_f64 v[52:53], v[52:53], v[70:71], v[48:49]
	s_clause 0x1
	global_load_dwordx4 v[44:47], v[44:45], off
	global_load_dwordx4 v[48:51], v[25:26], off
	v_fma_f64 v[25:26], v[56:57], v[68:69], v[64:65]
	v_fma_f64 v[64:65], v[58:59], v[68:69], v[66:67]
	s_waitcnt vmcnt(13)
	v_fma_f64 v[29:30], v[60:61], v[72:73], v[29:30]
	s_waitcnt vmcnt(11)
	v_fma_f64 v[54:55], v[80:81], v[72:73], v[54:55]
	v_fma_f64 v[52:53], v[82:83], v[72:73], v[52:53]
	v_fma_f64 v[25:26], -v[58:59], v[70:71], v[25:26]
	v_fma_f64 v[56:57], v[56:57], v[70:71], v[64:65]
	v_fma_f64 v[58:59], v[62:63], v[72:73], v[104:105]
	v_fma_f64 v[29:30], -v[62:63], v[74:75], v[29:30]
	v_fma_f64 v[54:55], -v[82:83], v[74:75], v[54:55]
	v_fma_f64 v[52:53], v[80:81], v[74:75], v[52:53]
	s_waitcnt vmcnt(10)
	v_fma_f64 v[25:26], v[84:85], v[72:73], v[25:26]
	v_fma_f64 v[56:57], v[86:87], v[72:73], v[56:57]
	;; [unrolled: 1-line block ×3, first 2 shown]
	s_waitcnt vmcnt(9)
	v_fma_f64 v[29:30], v[88:89], v[76:77], v[29:30]
	s_waitcnt vmcnt(8)
	v_fma_f64 v[54:55], v[92:93], v[76:77], v[54:55]
	v_fma_f64 v[52:53], v[94:95], v[76:77], v[52:53]
	v_fma_f64 v[25:26], -v[86:87], v[74:75], v[25:26]
	v_fma_f64 v[56:57], v[84:85], v[74:75], v[56:57]
	v_fma_f64 v[58:59], v[90:91], v[76:77], v[58:59]
	v_fma_f64 v[29:30], -v[90:91], v[78:79], v[29:30]
	v_fma_f64 v[54:55], -v[94:95], v[78:79], v[54:55]
	v_fma_f64 v[52:53], v[92:93], v[78:79], v[52:53]
	s_waitcnt vmcnt(7)
	v_fma_f64 v[25:26], v[96:97], v[76:77], v[25:26]
	v_fma_f64 v[56:57], v[98:99], v[76:77], v[56:57]
	v_fma_f64 v[58:59], v[88:89], v[78:79], v[58:59]
	v_fma_f64 v[25:26], -v[98:99], v[78:79], v[25:26]
	v_fma_f64 v[56:57], v[96:97], v[78:79], v[56:57]
	s_waitcnt vmcnt(5)
	v_fma_f64 v[29:30], v[36:37], v[11:12], v[29:30]
	v_fma_f64 v[58:59], v[38:39], v[11:12], v[58:59]
	s_waitcnt vmcnt(4)
	v_fma_f64 v[54:55], v[15:16], v[11:12], v[54:55]
	;; [unrolled: 3-line block ×3, first 2 shown]
	v_fma_f64 v[11:12], v[21:22], v[11:12], v[56:57]
	v_fma_f64 v[29:30], -v[38:39], v[13:14], v[29:30]
	v_fma_f64 v[36:37], v[36:37], v[13:14], v[58:59]
	v_fma_f64 v[17:18], -v[17:18], v[13:14], v[54:55]
	v_fma_f64 v[15:16], v[15:16], v[13:14], v[52:53]
	v_fma_f64 v[21:22], -v[21:22], v[13:14], v[25:26]
	v_fma_f64 v[11:12], v[19:20], v[13:14], v[11:12]
	s_waitcnt vmcnt(1)
	v_fma_f64 v[13:14], v[44:45], v[32:33], v[29:30]
	v_fma_f64 v[19:20], v[46:47], v[32:33], v[36:37]
	s_waitcnt vmcnt(0)
	v_fma_f64 v[25:26], v[48:49], v[32:33], v[17:18]
	v_fma_f64 v[29:30], v[50:51], v[32:33], v[15:16]
	;; [unrolled: 1-line block ×4, first 2 shown]
	v_fma_f64 v[22:23], -v[46:47], v[34:35], v[13:14]
	v_fma_f64 v[16:17], v[44:45], v[34:35], v[19:20]
	v_fma_f64 v[18:19], -v[50:51], v[34:35], v[25:26]
	v_fma_f64 v[20:21], v[48:49], v[34:35], v[29:30]
	;; [unrolled: 2-line block ×3, first 2 shown]
	s_andn2_b32 exec_lo, exec_lo, s3
	s_cbranch_execnz .LBB135_7
; %bb.8:
	s_or_b32 exec_lo, exec_lo, s3
.LBB135_9:
	s_or_b32 exec_lo, exec_lo, s1
	s_cbranch_execz .LBB135_11
	s_branch .LBB135_16
.LBB135_10:
                                        ; implicit-def: $vgpr16_vgpr17
                                        ; implicit-def: $vgpr22_vgpr23
                                        ; implicit-def: $vgpr12_vgpr13
                                        ; implicit-def: $vgpr14_vgpr15
                                        ; implicit-def: $vgpr18_vgpr19
                                        ; implicit-def: $vgpr20_vgpr21
.LBB135_11:
	v_mov_b32_e32 v16, 0
	v_mov_b32_e32 v22, 0
	;; [unrolled: 1-line block ×12, first 2 shown]
	s_and_saveexec_b32 s1, s0
	s_cbranch_execz .LBB135_15
; %bb.12:
	v_mad_u64_u32 v[24:25], null, v10, 18, 17
	v_mov_b32_e32 v16, 0
	v_mov_b32_e32 v22, 0
	;; [unrolled: 1-line block ×13, first 2 shown]
	s_mov_b32 s0, 0
.LBB135_13:                             ; =>This Inner Loop Header: Depth=1
	v_ashrrev_i32_e32 v11, 31, v10
	v_subrev_nc_u32_e32 v26, 17, v24
	v_add_nc_u32_e32 v28, -11, v24
	v_mov_b32_e32 v29, v27
	v_add_nc_u32_e32 v32, -5, v24
	v_lshlrev_b64 v[36:37], 2, v[10:11]
	v_lshlrev_b64 v[34:35], 4, v[26:27]
	v_add_nc_u32_e32 v26, -10, v24
	v_mov_b32_e32 v33, v27
	v_mov_b32_e32 v25, v27
	v_lshlrev_b64 v[28:29], 4, v[28:29]
	v_add_co_u32 v36, vcc_lo, s10, v36
	v_add_co_ci_u32_e64 v37, null, s11, v37, vcc_lo
	v_lshlrev_b64 v[40:41], 4, v[26:27]
	v_add_nc_u32_e32 v26, -4, v24
	v_lshlrev_b64 v[32:33], 4, v[32:33]
	global_load_dword v11, v[36:37], off
	v_lshlrev_b64 v[38:39], 4, v[24:25]
	v_add_co_u32 v42, vcc_lo, s12, v34
	v_lshlrev_b64 v[52:53], 4, v[26:27]
	v_add_nc_u32_e32 v26, -15, v24
	v_add_co_ci_u32_e64 v43, null, s13, v35, vcc_lo
	v_add_co_u32 v28, vcc_lo, s12, v28
	v_add_co_ci_u32_e64 v29, null, s13, v29, vcc_lo
	v_add_co_u32 v44, vcc_lo, s12, v32
	;; [unrolled: 2-line block ×3, first 2 shown]
	v_lshlrev_b64 v[25:26], 4, v[26:27]
	v_add_co_ci_u32_e64 v81, null, s13, v39, vcc_lo
	v_add_co_u32 v48, vcc_lo, s12, v40
	v_add_co_ci_u32_e64 v49, null, s13, v41, vcc_lo
	s_clause 0x3
	global_load_dwordx4 v[32:35], v[42:43], off offset:16
	global_load_dwordx4 v[36:39], v[42:43], off
	global_load_dwordx4 v[40:43], v[28:29], off
	;; [unrolled: 1-line block ×3, first 2 shown]
	v_add_co_u32 v28, vcc_lo, s12, v52
	v_add_co_ci_u32_e64 v29, null, s13, v53, vcc_lo
	v_add_co_u32 v25, vcc_lo, s12, v25
	v_add_co_ci_u32_e64 v26, null, s13, v26, vcc_lo
	s_clause 0x2
	global_load_dwordx4 v[48:51], v[48:49], off
	global_load_dwordx4 v[52:55], v[28:29], off
	;; [unrolled: 1-line block ×3, first 2 shown]
	v_mov_b32_e32 v30, v27
	v_add_nc_u32_e32 v10, 64, v10
	s_waitcnt vmcnt(7)
	v_subrev_nc_u32_e32 v11, s2, v11
	v_mul_lo_u32 v29, v11, 6
	v_lshlrev_b64 v[60:61], 4, v[29:30]
	v_add_nc_u32_e32 v26, 2, v29
	v_lshlrev_b64 v[68:69], 4, v[26:27]
	v_add_co_u32 v64, vcc_lo, s14, v60
	v_add_co_ci_u32_e64 v65, null, s15, v61, vcc_lo
	v_add_nc_u32_e32 v26, -9, v24
	v_add_co_u32 v72, vcc_lo, s14, v68
	s_clause 0x1
	global_load_dwordx4 v[60:63], v[64:65], off
	global_load_dwordx4 v[64:67], v[64:65], off offset:16
	v_add_co_ci_u32_e64 v73, null, s15, v69, vcc_lo
	v_lshlrev_b64 v[76:77], 4, v[26:27]
	s_clause 0x1
	global_load_dwordx4 v[68:71], v[72:73], off
	global_load_dwordx4 v[72:75], v[72:73], off offset:16
	v_add_nc_u32_e32 v26, -3, v24
	v_add_co_u32 v76, vcc_lo, s12, v76
	v_add_co_ci_u32_e64 v77, null, s13, v77, vcc_lo
	v_lshlrev_b64 v[78:79], 4, v[26:27]
	v_add_nc_u32_e32 v26, -14, v24
	v_add_co_u32 v84, vcc_lo, s12, v78
	v_add_co_ci_u32_e64 v85, null, s13, v79, vcc_lo
	global_load_dwordx4 v[76:79], v[76:77], off
	v_lshlrev_b64 v[82:83], 4, v[26:27]
	v_add_nc_u32_e32 v26, -8, v24
	s_waitcnt vmcnt(4)
	v_fma_f64 v[22:23], v[36:37], v[60:61], v[22:23]
	v_fma_f64 v[16:17], v[38:39], v[60:61], v[16:17]
	;; [unrolled: 1-line block ×6, first 2 shown]
	v_fma_f64 v[86:87], -v[38:39], v[62:63], v[22:23]
	v_fma_f64 v[88:89], v[36:37], v[62:63], v[16:17]
	global_load_dwordx4 v[36:39], v[84:85], off
	v_lshlrev_b64 v[16:17], 4, v[26:27]
	v_add_nc_u32_e32 v26, -2, v24
	v_fma_f64 v[42:43], -v[42:43], v[62:63], v[18:19]
	v_add_co_u32 v22, vcc_lo, s12, v82
	v_add_co_ci_u32_e64 v23, null, s13, v83, vcc_lo
	v_lshlrev_b64 v[18:19], 4, v[26:27]
	v_add_nc_u32_e32 v26, -13, v24
	v_fma_f64 v[40:41], v[40:41], v[62:63], v[20:21]
	v_add_co_u32 v20, vcc_lo, s12, v16
	v_fma_f64 v[46:47], -v[46:47], v[62:63], v[11:12]
	v_fma_f64 v[44:45], v[44:45], v[62:63], v[13:14]
	v_add_co_ci_u32_e64 v21, null, s13, v17, vcc_lo
	v_add_co_u32 v28, vcc_lo, s12, v18
	v_lshlrev_b64 v[82:83], 4, v[26:27]
	v_add_nc_u32_e32 v26, 4, v29
	v_add_co_ci_u32_e64 v29, null, s13, v19, vcc_lo
	s_waitcnt vmcnt(4)
	v_fma_f64 v[84:85], v[34:35], v[64:65], v[88:89]
	s_clause 0x2
	global_load_dwordx4 v[16:19], v[22:23], off
	global_load_dwordx4 v[11:14], v[20:21], off
	;; [unrolled: 1-line block ×3, first 2 shown]
	v_add_co_u32 v28, vcc_lo, s12, v82
	v_add_co_ci_u32_e64 v29, null, s13, v83, vcc_lo
	v_fma_f64 v[82:83], v[32:33], v[64:65], v[86:87]
	v_fma_f64 v[42:43], v[48:49], v[64:65], v[42:43]
	;; [unrolled: 1-line block ×3, first 2 shown]
	v_lshlrev_b64 v[60:61], 4, v[26:27]
	v_fma_f64 v[46:47], v[52:53], v[64:65], v[46:47]
	v_fma_f64 v[44:45], v[54:55], v[64:65], v[44:45]
	v_add_nc_u32_e32 v26, -7, v24
	v_lshlrev_b64 v[62:63], 4, v[26:27]
	v_add_nc_u32_e32 v26, -1, v24
	v_fma_f64 v[84:85], v[32:33], v[66:67], v[84:85]
	v_fma_f64 v[82:83], -v[34:35], v[66:67], v[82:83]
	global_load_dwordx4 v[32:35], v[28:29], off
	v_add_co_u32 v28, vcc_lo, s14, v60
	v_add_co_ci_u32_e64 v29, null, s15, v61, vcc_lo
	v_lshlrev_b64 v[60:61], 4, v[26:27]
	v_fma_f64 v[86:87], -v[50:51], v[66:67], v[42:43]
	v_fma_f64 v[88:89], v[48:49], v[66:67], v[40:41]
	global_load_dwordx4 v[40:43], v[28:29], off offset:16
	v_fma_f64 v[90:91], -v[54:55], v[66:67], v[46:47]
	v_fma_f64 v[92:93], v[52:53], v[66:67], v[44:45]
	global_load_dwordx4 v[44:47], v[28:29], off
	v_add_co_u32 v28, vcc_lo, s12, v62
	v_add_co_ci_u32_e64 v29, null, s13, v63, vcc_lo
	v_add_co_u32 v52, vcc_lo, s12, v60
	v_add_co_ci_u32_e64 v53, null, s13, v61, vcc_lo
	s_waitcnt vmcnt(9)
	v_fma_f64 v[60:61], v[58:59], v[68:69], v[84:85]
	s_clause 0x1
	global_load_dwordx4 v[48:51], v[28:29], off
	global_load_dwordx4 v[52:55], v[52:53], off
	v_add_nc_u32_e32 v26, -12, v24
	v_fma_f64 v[28:29], v[56:57], v[68:69], v[82:83]
	v_lshlrev_b64 v[62:63], 4, v[26:27]
	s_waitcnt vmcnt(9)
	v_fma_f64 v[64:65], v[78:79], v[68:69], v[88:89]
	v_add_nc_u32_e32 v26, -6, v24
	v_add_nc_u32_e32 v24, 0x480, v24
	v_lshlrev_b64 v[25:26], 4, v[26:27]
	v_fma_f64 v[82:83], v[56:57], v[70:71], v[60:61]
	v_add_co_u32 v60, vcc_lo, s12, v62
	v_add_co_ci_u32_e64 v61, null, s13, v63, vcc_lo
	v_fma_f64 v[62:63], v[76:77], v[68:69], v[86:87]
	v_add_co_u32 v25, vcc_lo, s12, v25
	v_add_co_ci_u32_e64 v26, null, s13, v26, vcc_lo
	v_fma_f64 v[28:29], -v[58:59], v[70:71], v[28:29]
	global_load_dwordx4 v[56:59], v[80:81], off
	v_fma_f64 v[76:77], v[76:77], v[70:71], v[64:65]
	v_cmp_ge_i32_e32 vcc_lo, v10, v31
	s_or_b32 s0, vcc_lo, s0
	v_fma_f64 v[78:79], -v[78:79], v[70:71], v[62:63]
	s_clause 0x1
	global_load_dwordx4 v[60:63], v[60:61], off
	global_load_dwordx4 v[64:67], v[25:26], off
	s_waitcnt vmcnt(11)
	v_fma_f64 v[25:26], v[36:37], v[68:69], v[90:91]
	v_fma_f64 v[68:69], v[38:39], v[68:69], v[92:93]
	v_fma_f64 v[25:26], -v[38:39], v[70:71], v[25:26]
	v_fma_f64 v[36:37], v[36:37], v[70:71], v[68:69]
	s_waitcnt vmcnt(10)
	v_fma_f64 v[28:29], v[16:17], v[72:73], v[28:29]
	v_fma_f64 v[38:39], v[18:19], v[72:73], v[82:83]
	s_waitcnt vmcnt(9)
	v_fma_f64 v[68:69], v[11:12], v[72:73], v[78:79]
	;; [unrolled: 3-line block ×3, first 2 shown]
	v_fma_f64 v[36:37], v[22:23], v[72:73], v[36:37]
	v_fma_f64 v[18:19], -v[18:19], v[74:75], v[28:29]
	v_fma_f64 v[15:16], v[16:17], v[74:75], v[38:39]
	v_fma_f64 v[13:14], -v[13:14], v[74:75], v[68:69]
	;; [unrolled: 2-line block ×3, first 2 shown]
	v_fma_f64 v[20:21], v[20:21], v[74:75], v[36:37]
	s_waitcnt vmcnt(5)
	v_fma_f64 v[17:18], v[32:33], v[44:45], v[18:19]
	v_fma_f64 v[15:16], v[34:35], v[44:45], v[15:16]
	s_waitcnt vmcnt(4)
	v_fma_f64 v[13:14], v[48:49], v[44:45], v[13:14]
	;; [unrolled: 3-line block ×3, first 2 shown]
	v_fma_f64 v[19:20], v[54:55], v[44:45], v[20:21]
	v_fma_f64 v[17:18], -v[34:35], v[46:47], v[17:18]
	v_fma_f64 v[15:16], v[32:33], v[46:47], v[15:16]
	v_fma_f64 v[13:14], -v[50:51], v[46:47], v[13:14]
	;; [unrolled: 2-line block ×3, first 2 shown]
	v_fma_f64 v[19:20], v[52:53], v[46:47], v[19:20]
	s_waitcnt vmcnt(1)
	v_fma_f64 v[17:18], v[60:61], v[40:41], v[17:18]
	v_fma_f64 v[15:16], v[62:63], v[40:41], v[15:16]
	s_waitcnt vmcnt(0)
	v_fma_f64 v[13:14], v[64:65], v[40:41], v[13:14]
	v_fma_f64 v[11:12], v[66:67], v[40:41], v[11:12]
	v_fma_f64 v[25:26], v[56:57], v[40:41], v[21:22]
	v_fma_f64 v[28:29], v[58:59], v[40:41], v[19:20]
	v_fma_f64 v[22:23], -v[62:63], v[42:43], v[17:18]
	v_fma_f64 v[16:17], v[60:61], v[42:43], v[15:16]
	v_fma_f64 v[18:19], -v[66:67], v[42:43], v[13:14]
	v_fma_f64 v[20:21], v[64:65], v[42:43], v[11:12]
	;; [unrolled: 2-line block ×3, first 2 shown]
	s_andn2_b32 exec_lo, exec_lo, s0
	s_cbranch_execnz .LBB135_13
; %bb.14:
	s_or_b32 exec_lo, exec_lo, s0
.LBB135_15:
	s_or_b32 exec_lo, exec_lo, s1
.LBB135_16:
	v_mbcnt_lo_u32_b32 v36, -1, 0
	v_or_b32_e32 v10, 32, v36
	v_xor_b32_e32 v34, 2, v36
	v_cmp_gt_i32_e32 vcc_lo, 32, v10
	v_cndmask_b32_e32 v10, v36, v10, vcc_lo
	v_lshlrev_b32_e32 v33, 2, v10
	ds_bpermute_b32 v10, v33, v22
	ds_bpermute_b32 v11, v33, v23
	ds_bpermute_b32 v24, v33, v16
	ds_bpermute_b32 v25, v33, v17
	ds_bpermute_b32 v26, v33, v18
	ds_bpermute_b32 v27, v33, v19
	ds_bpermute_b32 v28, v33, v20
	ds_bpermute_b32 v29, v33, v21
	ds_bpermute_b32 v30, v33, v12
	ds_bpermute_b32 v31, v33, v13
	ds_bpermute_b32 v32, v33, v14
	ds_bpermute_b32 v33, v33, v15
	s_waitcnt lgkmcnt(10)
	v_add_f64 v[10:11], v[22:23], v[10:11]
	v_xor_b32_e32 v22, 16, v36
	s_waitcnt lgkmcnt(8)
	v_add_f64 v[16:17], v[16:17], v[24:25]
	s_waitcnt lgkmcnt(6)
	v_add_f64 v[18:19], v[18:19], v[26:27]
	s_waitcnt lgkmcnt(4)
	v_add_f64 v[20:21], v[20:21], v[28:29]
	v_cmp_gt_i32_e32 vcc_lo, 32, v22
	s_waitcnt lgkmcnt(2)
	v_add_f64 v[12:13], v[12:13], v[30:31]
	s_waitcnt lgkmcnt(0)
	v_add_f64 v[14:15], v[14:15], v[32:33]
	v_cndmask_b32_e32 v22, v36, v22, vcc_lo
	v_lshlrev_b32_e32 v33, 2, v22
	ds_bpermute_b32 v22, v33, v10
	ds_bpermute_b32 v23, v33, v11
	ds_bpermute_b32 v24, v33, v16
	ds_bpermute_b32 v25, v33, v17
	ds_bpermute_b32 v26, v33, v18
	ds_bpermute_b32 v27, v33, v19
	ds_bpermute_b32 v28, v33, v20
	ds_bpermute_b32 v29, v33, v21
	ds_bpermute_b32 v30, v33, v12
	ds_bpermute_b32 v31, v33, v13
	ds_bpermute_b32 v32, v33, v14
	ds_bpermute_b32 v33, v33, v15
	s_waitcnt lgkmcnt(10)
	v_add_f64 v[10:11], v[10:11], v[22:23]
	v_xor_b32_e32 v22, 8, v36
	s_waitcnt lgkmcnt(8)
	v_add_f64 v[16:17], v[16:17], v[24:25]
	s_waitcnt lgkmcnt(6)
	v_add_f64 v[18:19], v[18:19], v[26:27]
	s_waitcnt lgkmcnt(4)
	v_add_f64 v[20:21], v[20:21], v[28:29]
	v_cmp_gt_i32_e32 vcc_lo, 32, v22
	s_waitcnt lgkmcnt(2)
	v_add_f64 v[12:13], v[12:13], v[30:31]
	s_waitcnt lgkmcnt(0)
	v_add_f64 v[14:15], v[14:15], v[32:33]
	;; [unrolled: 28-line block ×3, first 2 shown]
	v_cndmask_b32_e32 v22, v36, v22, vcc_lo
	v_cmp_gt_i32_e32 vcc_lo, 32, v34
	v_lshlrev_b32_e32 v33, 2, v22
	ds_bpermute_b32 v22, v33, v10
	ds_bpermute_b32 v23, v33, v11
	;; [unrolled: 1-line block ×12, first 2 shown]
	s_waitcnt lgkmcnt(10)
	v_add_f64 v[10:11], v[10:11], v[22:23]
	s_waitcnt lgkmcnt(8)
	v_add_f64 v[16:17], v[16:17], v[24:25]
	;; [unrolled: 2-line block ×5, first 2 shown]
	v_cndmask_b32_e32 v12, v36, v34, vcc_lo
	s_waitcnt lgkmcnt(0)
	v_add_f64 v[26:27], v[14:15], v[32:33]
	v_lshlrev_b32_e32 v20, 2, v12
	ds_bpermute_b32 v12, v20, v10
	ds_bpermute_b32 v13, v20, v11
	ds_bpermute_b32 v14, v20, v16
	ds_bpermute_b32 v15, v20, v17
	ds_bpermute_b32 v28, v20, v18
	ds_bpermute_b32 v29, v20, v19
	ds_bpermute_b32 v30, v20, v22
	ds_bpermute_b32 v31, v20, v23
	ds_bpermute_b32 v32, v20, v24
	ds_bpermute_b32 v33, v20, v25
	ds_bpermute_b32 v34, v20, v26
	ds_bpermute_b32 v35, v20, v27
	s_waitcnt lgkmcnt(10)
	v_add_f64 v[10:11], v[10:11], v[12:13]
	s_waitcnt lgkmcnt(8)
	v_add_f64 v[20:21], v[16:17], v[14:15]
	;; [unrolled: 2-line block ×3, first 2 shown]
	v_xor_b32_e32 v28, 1, v36
	s_waitcnt lgkmcnt(4)
	v_add_f64 v[18:19], v[22:23], v[30:31]
	s_waitcnt lgkmcnt(2)
	v_add_f64 v[14:15], v[24:25], v[32:33]
	;; [unrolled: 2-line block ×3, first 2 shown]
	v_cmp_gt_i32_e32 vcc_lo, 32, v28
	v_cndmask_b32_e32 v22, v36, v28, vcc_lo
	v_cmp_eq_u32_e32 vcc_lo, 63, v0
	v_lshlrev_b32_e32 v25, 2, v22
	ds_bpermute_b32 v32, v25, v10
	ds_bpermute_b32 v33, v25, v11
	;; [unrolled: 1-line block ×12, first 2 shown]
	s_and_b32 exec_lo, exec_lo, vcc_lo
	s_cbranch_execz .LBB135_21
; %bb.17:
	v_cmp_eq_f64_e32 vcc_lo, 0, v[5:6]
	v_cmp_eq_f64_e64 s0, 0, v[7:8]
	s_waitcnt lgkmcnt(10)
	v_add_f64 v[10:11], v[10:11], v[32:33]
	s_waitcnt lgkmcnt(8)
	v_add_f64 v[20:21], v[20:21], v[30:31]
	;; [unrolled: 2-line block ×6, first 2 shown]
	s_load_dwordx2 s[2:3], s[4:5], 0x48
	s_and_b32 s0, vcc_lo, s0
	s_and_saveexec_b32 s1, s0
	s_xor_b32 s0, exec_lo, s1
	s_cbranch_execz .LBB135_19
; %bb.18:
	v_mul_f64 v[5:6], v[20:21], -v[3:4]
	v_mul_f64 v[7:8], v[1:2], v[20:21]
	v_mul_f64 v[20:21], v[18:19], -v[3:4]
	v_mul_f64 v[18:19], v[1:2], v[18:19]
	;; [unrolled: 2-line block ×3, first 2 shown]
	v_lshl_add_u32 v24, v9, 1, v9
	v_ashrrev_i32_e32 v25, 31, v24
	v_fma_f64 v[5:6], v[1:2], v[10:11], v[5:6]
	v_fma_f64 v[7:8], v[3:4], v[10:11], v[7:8]
	;; [unrolled: 1-line block ×6, first 2 shown]
	v_lshlrev_b64 v[13:14], 4, v[24:25]
                                        ; implicit-def: $vgpr20_vgpr21
                                        ; implicit-def: $vgpr18_vgpr19
                                        ; implicit-def: $vgpr16_vgpr17
	s_waitcnt lgkmcnt(0)
	v_add_co_u32 v13, vcc_lo, s2, v13
	v_add_co_ci_u32_e64 v14, null, s3, v14, vcc_lo
	global_store_dwordx4 v[13:14], v[5:8], off
	global_store_dwordx4 v[13:14], v[9:12], off offset:16
	global_store_dwordx4 v[13:14], v[0:3], off offset:32
                                        ; implicit-def: $vgpr9
                                        ; implicit-def: $vgpr10_vgpr11
                                        ; implicit-def: $vgpr12_vgpr13
                                        ; implicit-def: $vgpr14_vgpr15
                                        ; implicit-def: $vgpr7_vgpr8
                                        ; implicit-def: $vgpr3_vgpr4
.LBB135_19:
	s_andn2_saveexec_b32 s0, s0
	s_cbranch_execz .LBB135_21
; %bb.20:
	v_lshl_add_u32 v22, v9, 1, v9
	v_mul_f64 v[36:37], v[20:21], -v[3:4]
	v_mul_f64 v[20:21], v[1:2], v[20:21]
	v_mul_f64 v[38:39], v[18:19], -v[3:4]
	v_mul_f64 v[18:19], v[1:2], v[18:19]
	v_ashrrev_i32_e32 v23, 31, v22
	v_mul_f64 v[40:41], v[16:17], -v[3:4]
	v_mul_f64 v[16:17], v[1:2], v[16:17]
	v_lshlrev_b64 v[22:23], 4, v[22:23]
	s_waitcnt lgkmcnt(0)
	v_add_co_u32 v34, vcc_lo, s2, v22
	v_add_co_ci_u32_e64 v35, null, s3, v23, vcc_lo
	s_clause 0x2
	global_load_dwordx4 v[22:25], v[34:35], off
	global_load_dwordx4 v[26:29], v[34:35], off offset:16
	global_load_dwordx4 v[30:33], v[34:35], off offset:32
	v_fma_f64 v[36:37], v[1:2], v[10:11], v[36:37]
	v_fma_f64 v[9:10], v[3:4], v[10:11], v[20:21]
	;; [unrolled: 1-line block ×6, first 2 shown]
	s_waitcnt vmcnt(2)
	v_fma_f64 v[13:14], v[5:6], v[22:23], v[36:37]
	v_fma_f64 v[9:10], v[7:8], v[22:23], v[9:10]
	s_waitcnt vmcnt(1)
	v_fma_f64 v[15:16], v[5:6], v[26:27], v[20:21]
	v_fma_f64 v[11:12], v[7:8], v[26:27], v[11:12]
	;; [unrolled: 3-line block ×3, first 2 shown]
	v_fma_f64 v[0:1], -v[7:8], v[24:25], v[13:14]
	v_fma_f64 v[2:3], v[5:6], v[24:25], v[9:10]
	v_fma_f64 v[9:10], -v[7:8], v[28:29], v[15:16]
	v_fma_f64 v[11:12], v[5:6], v[28:29], v[11:12]
	;; [unrolled: 2-line block ×3, first 2 shown]
	global_store_dwordx4 v[34:35], v[0:3], off
	global_store_dwordx4 v[34:35], v[9:12], off offset:16
	global_store_dwordx4 v[34:35], v[13:16], off offset:32
.LBB135_21:
	s_endpgm
	.section	.rodata,"a",@progbits
	.p2align	6, 0x0
	.amdhsa_kernel _ZN9rocsparseL19gebsrmvn_3xn_kernelILj128ELj6ELj64E21rocsparse_complex_numIdEEEvi20rocsparse_direction_NS_24const_host_device_scalarIT2_EEPKiS8_PKS5_SA_S6_PS5_21rocsparse_index_base_b
		.amdhsa_group_segment_fixed_size 0
		.amdhsa_private_segment_fixed_size 0
		.amdhsa_kernarg_size 88
		.amdhsa_user_sgpr_count 6
		.amdhsa_user_sgpr_private_segment_buffer 1
		.amdhsa_user_sgpr_dispatch_ptr 0
		.amdhsa_user_sgpr_queue_ptr 0
		.amdhsa_user_sgpr_kernarg_segment_ptr 1
		.amdhsa_user_sgpr_dispatch_id 0
		.amdhsa_user_sgpr_flat_scratch_init 0
		.amdhsa_user_sgpr_private_segment_size 0
		.amdhsa_wavefront_size32 1
		.amdhsa_uses_dynamic_stack 0
		.amdhsa_system_sgpr_private_segment_wavefront_offset 0
		.amdhsa_system_sgpr_workgroup_id_x 1
		.amdhsa_system_sgpr_workgroup_id_y 0
		.amdhsa_system_sgpr_workgroup_id_z 0
		.amdhsa_system_sgpr_workgroup_info 0
		.amdhsa_system_vgpr_workitem_id 0
		.amdhsa_next_free_vgpr 108
		.amdhsa_next_free_sgpr 16
		.amdhsa_reserve_vcc 1
		.amdhsa_reserve_flat_scratch 0
		.amdhsa_float_round_mode_32 0
		.amdhsa_float_round_mode_16_64 0
		.amdhsa_float_denorm_mode_32 3
		.amdhsa_float_denorm_mode_16_64 3
		.amdhsa_dx10_clamp 1
		.amdhsa_ieee_mode 1
		.amdhsa_fp16_overflow 0
		.amdhsa_workgroup_processor_mode 1
		.amdhsa_memory_ordered 1
		.amdhsa_forward_progress 1
		.amdhsa_shared_vgpr_count 0
		.amdhsa_exception_fp_ieee_invalid_op 0
		.amdhsa_exception_fp_denorm_src 0
		.amdhsa_exception_fp_ieee_div_zero 0
		.amdhsa_exception_fp_ieee_overflow 0
		.amdhsa_exception_fp_ieee_underflow 0
		.amdhsa_exception_fp_ieee_inexact 0
		.amdhsa_exception_int_div_zero 0
	.end_amdhsa_kernel
	.section	.text._ZN9rocsparseL19gebsrmvn_3xn_kernelILj128ELj6ELj64E21rocsparse_complex_numIdEEEvi20rocsparse_direction_NS_24const_host_device_scalarIT2_EEPKiS8_PKS5_SA_S6_PS5_21rocsparse_index_base_b,"axG",@progbits,_ZN9rocsparseL19gebsrmvn_3xn_kernelILj128ELj6ELj64E21rocsparse_complex_numIdEEEvi20rocsparse_direction_NS_24const_host_device_scalarIT2_EEPKiS8_PKS5_SA_S6_PS5_21rocsparse_index_base_b,comdat
.Lfunc_end135:
	.size	_ZN9rocsparseL19gebsrmvn_3xn_kernelILj128ELj6ELj64E21rocsparse_complex_numIdEEEvi20rocsparse_direction_NS_24const_host_device_scalarIT2_EEPKiS8_PKS5_SA_S6_PS5_21rocsparse_index_base_b, .Lfunc_end135-_ZN9rocsparseL19gebsrmvn_3xn_kernelILj128ELj6ELj64E21rocsparse_complex_numIdEEEvi20rocsparse_direction_NS_24const_host_device_scalarIT2_EEPKiS8_PKS5_SA_S6_PS5_21rocsparse_index_base_b
                                        ; -- End function
	.set _ZN9rocsparseL19gebsrmvn_3xn_kernelILj128ELj6ELj64E21rocsparse_complex_numIdEEEvi20rocsparse_direction_NS_24const_host_device_scalarIT2_EEPKiS8_PKS5_SA_S6_PS5_21rocsparse_index_base_b.num_vgpr, 108
	.set _ZN9rocsparseL19gebsrmvn_3xn_kernelILj128ELj6ELj64E21rocsparse_complex_numIdEEEvi20rocsparse_direction_NS_24const_host_device_scalarIT2_EEPKiS8_PKS5_SA_S6_PS5_21rocsparse_index_base_b.num_agpr, 0
	.set _ZN9rocsparseL19gebsrmvn_3xn_kernelILj128ELj6ELj64E21rocsparse_complex_numIdEEEvi20rocsparse_direction_NS_24const_host_device_scalarIT2_EEPKiS8_PKS5_SA_S6_PS5_21rocsparse_index_base_b.numbered_sgpr, 16
	.set _ZN9rocsparseL19gebsrmvn_3xn_kernelILj128ELj6ELj64E21rocsparse_complex_numIdEEEvi20rocsparse_direction_NS_24const_host_device_scalarIT2_EEPKiS8_PKS5_SA_S6_PS5_21rocsparse_index_base_b.num_named_barrier, 0
	.set _ZN9rocsparseL19gebsrmvn_3xn_kernelILj128ELj6ELj64E21rocsparse_complex_numIdEEEvi20rocsparse_direction_NS_24const_host_device_scalarIT2_EEPKiS8_PKS5_SA_S6_PS5_21rocsparse_index_base_b.private_seg_size, 0
	.set _ZN9rocsparseL19gebsrmvn_3xn_kernelILj128ELj6ELj64E21rocsparse_complex_numIdEEEvi20rocsparse_direction_NS_24const_host_device_scalarIT2_EEPKiS8_PKS5_SA_S6_PS5_21rocsparse_index_base_b.uses_vcc, 1
	.set _ZN9rocsparseL19gebsrmvn_3xn_kernelILj128ELj6ELj64E21rocsparse_complex_numIdEEEvi20rocsparse_direction_NS_24const_host_device_scalarIT2_EEPKiS8_PKS5_SA_S6_PS5_21rocsparse_index_base_b.uses_flat_scratch, 0
	.set _ZN9rocsparseL19gebsrmvn_3xn_kernelILj128ELj6ELj64E21rocsparse_complex_numIdEEEvi20rocsparse_direction_NS_24const_host_device_scalarIT2_EEPKiS8_PKS5_SA_S6_PS5_21rocsparse_index_base_b.has_dyn_sized_stack, 0
	.set _ZN9rocsparseL19gebsrmvn_3xn_kernelILj128ELj6ELj64E21rocsparse_complex_numIdEEEvi20rocsparse_direction_NS_24const_host_device_scalarIT2_EEPKiS8_PKS5_SA_S6_PS5_21rocsparse_index_base_b.has_recursion, 0
	.set _ZN9rocsparseL19gebsrmvn_3xn_kernelILj128ELj6ELj64E21rocsparse_complex_numIdEEEvi20rocsparse_direction_NS_24const_host_device_scalarIT2_EEPKiS8_PKS5_SA_S6_PS5_21rocsparse_index_base_b.has_indirect_call, 0
	.section	.AMDGPU.csdata,"",@progbits
; Kernel info:
; codeLenInByte = 5164
; TotalNumSgprs: 18
; NumVgprs: 108
; ScratchSize: 0
; MemoryBound: 0
; FloatMode: 240
; IeeeMode: 1
; LDSByteSize: 0 bytes/workgroup (compile time only)
; SGPRBlocks: 0
; VGPRBlocks: 13
; NumSGPRsForWavesPerEU: 18
; NumVGPRsForWavesPerEU: 108
; Occupancy: 9
; WaveLimiterHint : 1
; COMPUTE_PGM_RSRC2:SCRATCH_EN: 0
; COMPUTE_PGM_RSRC2:USER_SGPR: 6
; COMPUTE_PGM_RSRC2:TRAP_HANDLER: 0
; COMPUTE_PGM_RSRC2:TGID_X_EN: 1
; COMPUTE_PGM_RSRC2:TGID_Y_EN: 0
; COMPUTE_PGM_RSRC2:TGID_Z_EN: 0
; COMPUTE_PGM_RSRC2:TIDIG_COMP_CNT: 0
	.section	.text._ZN9rocsparseL19gebsrmvn_3xn_kernelILj128ELj7ELj4E21rocsparse_complex_numIdEEEvi20rocsparse_direction_NS_24const_host_device_scalarIT2_EEPKiS8_PKS5_SA_S6_PS5_21rocsparse_index_base_b,"axG",@progbits,_ZN9rocsparseL19gebsrmvn_3xn_kernelILj128ELj7ELj4E21rocsparse_complex_numIdEEEvi20rocsparse_direction_NS_24const_host_device_scalarIT2_EEPKiS8_PKS5_SA_S6_PS5_21rocsparse_index_base_b,comdat
	.globl	_ZN9rocsparseL19gebsrmvn_3xn_kernelILj128ELj7ELj4E21rocsparse_complex_numIdEEEvi20rocsparse_direction_NS_24const_host_device_scalarIT2_EEPKiS8_PKS5_SA_S6_PS5_21rocsparse_index_base_b ; -- Begin function _ZN9rocsparseL19gebsrmvn_3xn_kernelILj128ELj7ELj4E21rocsparse_complex_numIdEEEvi20rocsparse_direction_NS_24const_host_device_scalarIT2_EEPKiS8_PKS5_SA_S6_PS5_21rocsparse_index_base_b
	.p2align	8
	.type	_ZN9rocsparseL19gebsrmvn_3xn_kernelILj128ELj7ELj4E21rocsparse_complex_numIdEEEvi20rocsparse_direction_NS_24const_host_device_scalarIT2_EEPKiS8_PKS5_SA_S6_PS5_21rocsparse_index_base_b,@function
_ZN9rocsparseL19gebsrmvn_3xn_kernelILj128ELj7ELj4E21rocsparse_complex_numIdEEEvi20rocsparse_direction_NS_24const_host_device_scalarIT2_EEPKiS8_PKS5_SA_S6_PS5_21rocsparse_index_base_b: ; @_ZN9rocsparseL19gebsrmvn_3xn_kernelILj128ELj7ELj4E21rocsparse_complex_numIdEEEvi20rocsparse_direction_NS_24const_host_device_scalarIT2_EEPKiS8_PKS5_SA_S6_PS5_21rocsparse_index_base_b
; %bb.0:
	s_clause 0x1
	s_load_dwordx2 s[2:3], s[4:5], 0x50
	s_load_dwordx2 s[0:1], s[4:5], 0x8
	s_add_u32 s7, s4, 8
	s_addc_u32 s10, s5, 0
	s_add_u32 s11, s4, 56
	s_addc_u32 s12, s5, 0
	s_load_dwordx2 s[8:9], s[4:5], 0x38
	s_waitcnt lgkmcnt(0)
	s_bitcmp1_b32 s3, 0
	s_cselect_b32 s0, s7, s0
	s_cselect_b32 s1, s10, s1
	v_mov_b32_e32 v1, s0
	v_mov_b32_e32 v2, s1
	s_cselect_b32 s0, s11, s8
	s_cselect_b32 s1, s12, s9
	v_mov_b32_e32 v5, s0
	v_mov_b32_e32 v6, s1
	flat_load_dwordx4 v[1:4], v[1:2]
	flat_load_dwordx4 v[5:8], v[5:6]
	s_waitcnt vmcnt(1) lgkmcnt(1)
	v_cmp_eq_f64_e32 vcc_lo, 0, v[1:2]
	v_cmp_eq_f64_e64 s0, 0, v[3:4]
	s_and_b32 s3, vcc_lo, s0
	s_mov_b32 s0, -1
	s_and_saveexec_b32 s1, s3
	s_cbranch_execz .LBB136_2
; %bb.1:
	s_waitcnt vmcnt(0) lgkmcnt(0)
	v_cmp_neq_f64_e32 vcc_lo, 1.0, v[5:6]
	v_cmp_neq_f64_e64 s0, 0, v[7:8]
	s_or_b32 s0, vcc_lo, s0
	s_orn2_b32 s0, s0, exec_lo
.LBB136_2:
	s_or_b32 exec_lo, exec_lo, s1
	s_and_saveexec_b32 s1, s0
	s_cbranch_execz .LBB136_25
; %bb.3:
	s_load_dwordx2 s[0:1], s[4:5], 0x0
	v_lshrrev_b32_e32 v9, 2, v0
	v_lshl_or_b32 v9, s6, 5, v9
	s_waitcnt lgkmcnt(0)
	v_cmp_gt_i32_e32 vcc_lo, s0, v9
	s_and_b32 exec_lo, exec_lo, vcc_lo
	s_cbranch_execz .LBB136_25
; %bb.4:
	s_load_dwordx8 s[8:15], s[4:5], 0x18
	v_ashrrev_i32_e32 v10, 31, v9
	v_and_b32_e32 v0, 3, v0
	s_cmp_lg_u32 s1, 0
	v_lshlrev_b64 v[10:11], 2, v[9:10]
	s_waitcnt lgkmcnt(0)
	v_add_co_u32 v10, vcc_lo, s8, v10
	v_add_co_ci_u32_e64 v11, null, s9, v11, vcc_lo
	global_load_dwordx2 v[11:12], v[10:11], off
	s_waitcnt vmcnt(0)
	v_subrev_nc_u32_e32 v10, s2, v11
	v_subrev_nc_u32_e32 v39, s2, v12
	v_add_nc_u32_e32 v10, v10, v0
	v_cmp_lt_i32_e64 s0, v10, v39
	s_cbranch_scc0 .LBB136_12
; %bb.5:
	v_mov_b32_e32 v12, 0
	v_mov_b32_e32 v20, 0
	;; [unrolled: 1-line block ×12, first 2 shown]
	s_and_saveexec_b32 s1, s0
	s_cbranch_execz .LBB136_14
; %bb.6:
	v_mul_lo_u32 v11, v11, 21
	v_mul_lo_u32 v40, v10, 21
	s_mul_i32 s3, s2, 21
	v_mov_b32_e32 v12, 0
	v_mov_b32_e32 v20, 0
	;; [unrolled: 1-line block ×5, first 2 shown]
	v_mad_u32_u24 v11, v0, 21, v11
	v_mov_b32_e32 v22, 0
	v_mov_b32_e32 v13, 0
	v_mov_b32_e32 v25, 0
	v_mov_b32_e32 v21, 0
	v_mov_b32_e32 v15, 0
	v_mov_b32_e32 v17, 0
	v_mov_b32_e32 v19, 0
	v_mov_b32_e32 v23, 0
	v_subrev_nc_u32_e32 v41, s3, v11
	v_mov_b32_e32 v26, v10
	s_mov_b32 s3, 0
	s_branch .LBB136_8
.LBB136_7:                              ;   in Loop: Header=BB136_8 Depth=1
	v_add_nc_u32_e32 v26, 4, v26
	v_add_nc_u32_e32 v40, 0x54, v40
	;; [unrolled: 1-line block ×3, first 2 shown]
	v_cmp_ge_i32_e32 vcc_lo, v26, v39
	s_or_b32 s3, vcc_lo, s3
	s_andn2_b32 exec_lo, exec_lo, s3
	s_cbranch_execz .LBB136_13
.LBB136_8:                              ; =>This Loop Header: Depth=1
                                        ;     Child Loop BB136_10 Depth 2
	v_ashrrev_i32_e32 v27, 31, v26
	v_mov_b32_e32 v32, v13
	v_mov_b32_e32 v34, v21
	;; [unrolled: 1-line block ×4, first 2 shown]
	v_lshlrev_b64 v[27:28], 2, v[26:27]
	v_mov_b32_e32 v38, v23
	v_mov_b32_e32 v31, v12
	v_mov_b32_e32 v33, v20
	v_mov_b32_e32 v29, v14
	v_mov_b32_e32 v35, v18
	v_add_co_u32 v27, vcc_lo, s10, v27
	v_add_co_ci_u32_e64 v28, null, s11, v28, vcc_lo
	v_mov_b32_e32 v37, v22
	s_mov_b32 s6, 0
	global_load_dword v11, v[27:28], off
	v_mov_b32_e32 v28, v17
	v_mov_b32_e32 v27, v16
	s_waitcnt vmcnt(0)
	v_subrev_nc_u32_e32 v11, s2, v11
	v_mul_lo_u32 v11, v11, 7
	s_branch .LBB136_10
.LBB136_9:                              ;   in Loop: Header=BB136_8 Depth=1
                                        ; implicit-def: $vgpr37_vgpr38
                                        ; implicit-def: $vgpr35_vgpr36
                                        ; implicit-def: $vgpr27_vgpr28
                                        ; implicit-def: $vgpr29_vgpr30
                                        ; implicit-def: $vgpr33_vgpr34
                                        ; implicit-def: $vgpr31_vgpr32
                                        ; implicit-def: $sgpr6
                                        ; implicit-def: $vgpr11
	s_branch .LBB136_7
.LBB136_10:                             ;   Parent Loop BB136_8 Depth=1
                                        ; =>  This Inner Loop Header: Depth=2
	v_add_nc_u32_e32 v24, s6, v41
	v_add_nc_u32_e32 v42, s6, v40
	v_mov_b32_e32 v12, v25
	s_cmp_eq_u32 s6, 18
	v_lshlrev_b64 v[13:14], 4, v[24:25]
	v_add_nc_u32_e32 v24, 1, v42
	v_lshlrev_b64 v[15:16], 4, v[11:12]
	v_lshlrev_b64 v[17:18], 4, v[24:25]
	v_add_nc_u32_e32 v24, 2, v42
	v_add_co_u32 v12, vcc_lo, s12, v13
	v_add_co_ci_u32_e64 v13, null, s13, v14, vcc_lo
	v_lshlrev_b64 v[21:22], 4, v[24:25]
	v_add_co_u32 v19, vcc_lo, s14, v15
	v_add_co_ci_u32_e64 v20, null, s15, v16, vcc_lo
	v_add_co_u32 v16, vcc_lo, s12, v17
	v_add_co_ci_u32_e64 v17, null, s13, v18, vcc_lo
	;; [unrolled: 2-line block ×3, first 2 shown]
	global_load_dwordx4 v[12:15], v[12:13], off
	global_load_dwordx4 v[43:46], v[19:20], off
	s_clause 0x1
	global_load_dwordx4 v[16:19], v[16:17], off
	global_load_dwordx4 v[47:50], v[21:22], off
	s_waitcnt vmcnt(2)
	v_fma_f64 v[20:21], v[12:13], v[43:44], v[33:34]
	v_fma_f64 v[22:23], v[14:15], v[43:44], v[31:32]
	s_waitcnt vmcnt(1)
	v_fma_f64 v[31:32], v[16:17], v[43:44], v[35:36]
	v_fma_f64 v[33:34], v[18:19], v[43:44], v[37:38]
	;; [unrolled: 3-line block ×3, first 2 shown]
	v_fma_f64 v[20:21], -v[14:15], v[45:46], v[20:21]
	v_fma_f64 v[12:13], v[12:13], v[45:46], v[22:23]
	v_fma_f64 v[18:19], -v[18:19], v[45:46], v[31:32]
	v_fma_f64 v[22:23], v[16:17], v[45:46], v[33:34]
	;; [unrolled: 2-line block ×3, first 2 shown]
	s_cbranch_scc1 .LBB136_9
; %bb.11:                               ;   in Loop: Header=BB136_10 Depth=2
	v_add_nc_u32_e32 v24, 3, v42
	s_add_i32 s6, s6, 6
	v_lshlrev_b64 v[27:28], 4, v[24:25]
	v_add_nc_u32_e32 v24, 1, v11
	v_add_nc_u32_e32 v11, 2, v11
	v_lshlrev_b64 v[31:32], 4, v[24:25]
	v_add_nc_u32_e32 v24, 4, v42
	v_add_co_u32 v27, vcc_lo, s12, v27
	v_add_co_ci_u32_e64 v28, null, s13, v28, vcc_lo
	v_lshlrev_b64 v[33:34], 4, v[24:25]
	v_add_nc_u32_e32 v24, 5, v42
	v_add_co_u32 v31, vcc_lo, s14, v31
	v_add_co_ci_u32_e64 v32, null, s15, v32, vcc_lo
	v_lshlrev_b64 v[35:36], 4, v[24:25]
	v_add_co_u32 v33, vcc_lo, s12, v33
	v_add_co_ci_u32_e64 v34, null, s13, v34, vcc_lo
	global_load_dwordx4 v[27:30], v[27:28], off
	v_add_co_u32 v35, vcc_lo, s12, v35
	v_add_co_ci_u32_e64 v36, null, s13, v36, vcc_lo
	global_load_dwordx4 v[42:45], v[31:32], off
	s_clause 0x1
	global_load_dwordx4 v[46:49], v[33:34], off
	global_load_dwordx4 v[50:53], v[35:36], off
	s_waitcnt vmcnt(2)
	v_fma_f64 v[31:32], v[27:28], v[42:43], v[20:21]
	v_fma_f64 v[35:36], v[29:30], v[42:43], v[12:13]
	s_waitcnt vmcnt(1)
	v_fma_f64 v[37:38], v[46:47], v[42:43], v[18:19]
	v_fma_f64 v[54:55], v[48:49], v[42:43], v[22:23]
	;; [unrolled: 3-line block ×3, first 2 shown]
	v_fma_f64 v[33:34], -v[29:30], v[44:45], v[31:32]
	v_fma_f64 v[31:32], v[27:28], v[44:45], v[35:36]
	v_fma_f64 v[35:36], -v[48:49], v[44:45], v[37:38]
	v_fma_f64 v[37:38], v[46:47], v[44:45], v[54:55]
	;; [unrolled: 2-line block ×3, first 2 shown]
	s_cbranch_execnz .LBB136_10
	s_branch .LBB136_7
.LBB136_12:
                                        ; implicit-def: $vgpr12_vgpr13
                                        ; implicit-def: $vgpr20_vgpr21
                                        ; implicit-def: $vgpr14_vgpr15
                                        ; implicit-def: $vgpr16_vgpr17
                                        ; implicit-def: $vgpr18_vgpr19
                                        ; implicit-def: $vgpr22_vgpr23
	s_branch .LBB136_15
.LBB136_13:
	s_or_b32 exec_lo, exec_lo, s3
.LBB136_14:
	s_or_b32 exec_lo, exec_lo, s1
	s_cbranch_execnz .LBB136_20
.LBB136_15:
	v_mov_b32_e32 v12, 0
	v_mov_b32_e32 v20, 0
	v_mov_b32_e32 v14, 0
	v_mov_b32_e32 v16, 0
	v_mov_b32_e32 v18, 0
	v_mov_b32_e32 v22, 0
	v_mov_b32_e32 v13, 0
	v_mov_b32_e32 v21, 0
	v_mov_b32_e32 v15, 0
	v_mov_b32_e32 v17, 0
	v_mov_b32_e32 v19, 0
	v_mov_b32_e32 v23, 0
	s_and_saveexec_b32 s1, s0
	s_cbranch_execz .LBB136_19
; %bb.16:
	v_mad_u64_u32 v[24:25], null, v10, 21, 20
	v_mov_b32_e32 v12, 0
	v_mov_b32_e32 v20, 0
	;; [unrolled: 1-line block ×13, first 2 shown]
	s_mov_b32 s0, 0
.LBB136_17:                             ; =>This Inner Loop Header: Depth=1
	v_ashrrev_i32_e32 v11, 31, v10
	v_subrev_nc_u32_e32 v26, 20, v24
	v_add_nc_u32_e32 v30, -13, v24
	v_mov_b32_e32 v31, v27
	v_add_nc_u32_e32 v32, -6, v24
	v_lshlrev_b64 v[36:37], 2, v[10:11]
	v_mov_b32_e32 v33, v27
	v_lshlrev_b64 v[34:35], 4, v[26:27]
	v_mov_b32_e32 v25, v27
	v_lshlrev_b64 v[30:31], 4, v[30:31]
	v_subrev_nc_u32_e32 v26, 19, v24
	v_add_co_u32 v36, vcc_lo, s10, v36
	v_add_co_ci_u32_e64 v37, null, s11, v37, vcc_lo
	v_lshlrev_b64 v[32:33], 4, v[32:33]
	v_mov_b32_e32 v29, v27
	v_lshlrev_b64 v[40:41], 4, v[24:25]
	global_load_dword v11, v[36:37], off
	v_add_co_u32 v34, vcc_lo, s12, v34
	v_lshlrev_b64 v[25:26], 4, v[26:27]
	v_add_co_ci_u32_e64 v35, null, s13, v35, vcc_lo
	v_add_co_u32 v42, vcc_lo, s12, v30
	v_add_co_ci_u32_e64 v43, null, s13, v31, vcc_lo
	v_add_co_u32 v44, vcc_lo, s12, v32
	;; [unrolled: 2-line block ×4, first 2 shown]
	v_add_co_ci_u32_e64 v26, null, s13, v26, vcc_lo
	s_clause 0x4
	global_load_dwordx4 v[30:33], v[34:35], off
	global_load_dwordx4 v[34:37], v[42:43], off
	;; [unrolled: 1-line block ×5, first 2 shown]
	v_add_nc_u32_e32 v10, 4, v10
	s_waitcnt vmcnt(5)
	v_subrev_nc_u32_e32 v11, s2, v11
	v_mul_lo_u32 v28, v11, 7
	v_lshlrev_b64 v[52:53], 4, v[28:29]
	v_add_nc_u32_e32 v26, 1, v28
	v_lshlrev_b64 v[56:57], 4, v[26:27]
	v_add_co_u32 v52, vcc_lo, s14, v52
	v_add_co_ci_u32_e64 v53, null, s15, v53, vcc_lo
	v_add_nc_u32_e32 v26, -12, v24
	v_add_co_u32 v56, vcc_lo, s14, v56
	global_load_dwordx4 v[52:55], v[52:53], off
	v_add_co_ci_u32_e64 v57, null, s15, v57, vcc_lo
	v_lshlrev_b64 v[60:61], 4, v[26:27]
	v_add_nc_u32_e32 v26, -5, v24
	global_load_dwordx4 v[56:59], v[56:57], off
	v_lshlrev_b64 v[62:63], 4, v[26:27]
	v_add_co_u32 v60, vcc_lo, s12, v60
	v_add_co_ci_u32_e64 v61, null, s13, v61, vcc_lo
	v_subrev_nc_u32_e32 v26, 18, v24
	v_add_co_u32 v66, vcc_lo, s12, v62
	v_add_co_ci_u32_e64 v67, null, s13, v63, vcc_lo
	global_load_dwordx4 v[60:63], v[60:61], off
	v_lshlrev_b64 v[64:65], 4, v[26:27]
	v_add_nc_u32_e32 v26, 2, v28
	v_lshlrev_b64 v[68:69], 4, v[26:27]
	v_add_co_u32 v64, vcc_lo, s12, v64
	v_add_co_ci_u32_e64 v65, null, s13, v65, vcc_lo
	v_add_nc_u32_e32 v26, -11, v24
	s_waitcnt vmcnt(2)
	v_fma_f64 v[20:21], v[30:31], v[52:53], v[20:21]
	v_fma_f64 v[11:12], v[32:33], v[52:53], v[12:13]
	;; [unrolled: 1-line block ×5, first 2 shown]
	v_fma_f64 v[70:71], -v[32:33], v[54:55], v[20:21]
	v_fma_f64 v[72:73], v[30:31], v[54:55], v[11:12]
	global_load_dwordx4 v[29:32], v[66:67], off
	v_fma_f64 v[20:21], v[36:37], v[52:53], v[22:23]
	v_add_co_u32 v11, vcc_lo, s14, v68
	v_add_co_ci_u32_e64 v12, null, s15, v69, vcc_lo
	v_fma_f64 v[22:23], -v[36:37], v[54:55], v[18:19]
	v_fma_f64 v[52:53], -v[42:43], v[54:55], v[13:14]
	v_lshlrev_b64 v[66:67], 4, v[26:27]
	global_load_dwordx4 v[11:14], v[11:12], off
	v_add_nc_u32_e32 v26, -4, v24
	v_fma_f64 v[15:16], v[40:41], v[54:55], v[15:16]
	s_waitcnt vmcnt(3)
	v_fma_f64 v[42:43], v[48:49], v[56:57], v[70:71]
	v_fma_f64 v[37:38], v[34:35], v[54:55], v[20:21]
	global_load_dwordx4 v[18:21], v[64:65], off
	v_lshlrev_b64 v[33:34], 4, v[26:27]
	v_add_co_u32 v35, vcc_lo, s12, v66
	v_add_co_ci_u32_e64 v36, null, s13, v67, vcc_lo
	v_fma_f64 v[66:67], v[50:51], v[56:57], v[72:73]
	v_add_co_u32 v40, vcc_lo, s12, v33
	v_add_co_ci_u32_e64 v41, null, s13, v34, vcc_lo
	global_load_dwordx4 v[33:36], v[35:36], off
	v_subrev_nc_u32_e32 v26, 17, v24
	s_waitcnt vmcnt(4)
	v_fma_f64 v[22:23], v[60:61], v[56:57], v[22:23]
	v_lshlrev_b64 v[54:55], 4, v[26:27]
	v_fma_f64 v[68:69], -v[50:51], v[58:59], v[42:43]
	global_load_dwordx4 v[40:43], v[40:41], off
	v_add_nc_u32_e32 v26, 3, v28
	v_fma_f64 v[37:38], v[62:63], v[56:57], v[37:38]
	v_lshlrev_b64 v[64:65], 4, v[26:27]
	v_add_nc_u32_e32 v26, -10, v24
	v_fma_f64 v[66:67], v[48:49], v[58:59], v[66:67]
	v_add_co_u32 v48, vcc_lo, s12, v54
	v_add_co_ci_u32_e64 v49, null, s13, v55, vcc_lo
	v_add_co_u32 v54, vcc_lo, s14, v64
	v_add_co_ci_u32_e64 v55, null, s15, v65, vcc_lo
	v_lshlrev_b64 v[64:65], 4, v[26:27]
	v_fma_f64 v[22:23], -v[62:63], v[58:59], v[22:23]
	global_load_dwordx4 v[48:51], v[48:49], off
	v_add_nc_u32_e32 v26, -3, v24
	v_fma_f64 v[37:38], v[60:61], v[58:59], v[37:38]
	v_lshlrev_b64 v[60:61], 4, v[26:27]
	v_add_nc_u32_e32 v26, -16, v24
	v_lshlrev_b64 v[62:63], 4, v[26:27]
	v_add_nc_u32_e32 v26, 4, v28
	s_waitcnt vmcnt(5)
	v_fma_f64 v[52:53], v[29:30], v[56:57], v[52:53]
	v_fma_f64 v[15:16], v[31:32], v[56:57], v[15:16]
	v_fma_f64 v[56:57], -v[31:32], v[58:59], v[52:53]
	v_fma_f64 v[58:59], v[29:30], v[58:59], v[15:16]
	v_add_co_u32 v15, vcc_lo, s12, v64
	v_add_co_ci_u32_e64 v16, null, s13, v65, vcc_lo
	global_load_dwordx4 v[29:32], v[54:55], off
	s_waitcnt vmcnt(4)
	v_fma_f64 v[66:67], v[20:21], v[11:12], v[66:67]
	v_add_co_u32 v60, vcc_lo, s12, v60
	global_load_dwordx4 v[52:55], v[15:16], off
	v_fma_f64 v[15:16], v[18:19], v[11:12], v[68:69]
	v_add_co_ci_u32_e64 v61, null, s13, v61, vcc_lo
	v_add_co_u32 v62, vcc_lo, s12, v62
	v_lshlrev_b64 v[64:65], 4, v[26:27]
	v_add_co_ci_u32_e64 v63, null, s13, v63, vcc_lo
	v_add_nc_u32_e32 v26, -9, v24
	v_fma_f64 v[66:67], v[18:19], v[13:14], v[66:67]
	v_fma_f64 v[68:69], -v[20:21], v[13:14], v[15:16]
	s_waitcnt vmcnt(4)
	v_fma_f64 v[19:20], v[33:34], v[11:12], v[22:23]
	v_fma_f64 v[21:22], v[35:36], v[11:12], v[37:38]
	global_load_dwordx4 v[15:18], v[60:61], off
	v_fma_f64 v[37:38], -v[35:36], v[13:14], v[19:20]
	v_fma_f64 v[70:71], v[33:34], v[13:14], v[21:22]
	s_waitcnt vmcnt(4)
	v_fma_f64 v[33:34], v[40:41], v[11:12], v[56:57]
	v_fma_f64 v[11:12], v[42:43], v[11:12], v[58:59]
	global_load_dwordx4 v[19:22], v[62:63], off
	v_add_co_u32 v60, vcc_lo, s14, v64
	v_add_co_ci_u32_e64 v61, null, s15, v65, vcc_lo
	v_lshlrev_b64 v[64:65], 4, v[26:27]
	v_add_nc_u32_e32 v26, -2, v24
	v_lshlrev_b64 v[62:63], 4, v[26:27]
	v_add_nc_u32_e32 v26, -15, v24
	v_fma_f64 v[56:57], -v[42:43], v[13:14], v[33:34]
	v_fma_f64 v[58:59], v[40:41], v[13:14], v[11:12]
	global_load_dwordx4 v[11:14], v[60:61], off
	v_add_co_u32 v33, vcc_lo, s12, v64
	v_add_co_ci_u32_e64 v34, null, s13, v65, vcc_lo
	v_lshlrev_b64 v[40:41], 4, v[26:27]
	v_add_co_u32 v42, vcc_lo, s12, v62
	global_load_dwordx4 v[33:36], v[33:34], off
	v_add_co_ci_u32_e64 v43, null, s13, v63, vcc_lo
	v_add_co_u32 v60, vcc_lo, s12, v40
	v_add_co_ci_u32_e64 v61, null, s13, v41, vcc_lo
	v_add_nc_u32_e32 v26, 5, v28
	v_lshlrev_b64 v[62:63], 4, v[26:27]
	v_add_nc_u32_e32 v26, -8, v24
	v_add_co_u32 v62, vcc_lo, s14, v62
	v_add_co_ci_u32_e64 v63, null, s15, v63, vcc_lo
	s_waitcnt vmcnt(5)
	v_fma_f64 v[40:41], v[48:49], v[29:30], v[68:69]
	v_fma_f64 v[64:65], v[50:51], v[29:30], v[66:67]
	v_lshlrev_b64 v[68:69], 4, v[26:27]
	v_add_nc_u32_e32 v26, -1, v24
	s_waitcnt vmcnt(4)
	v_fma_f64 v[37:38], v[52:53], v[29:30], v[37:38]
	v_fma_f64 v[66:67], -v[50:51], v[31:32], v[40:41]
	v_fma_f64 v[64:65], v[48:49], v[31:32], v[64:65]
	v_fma_f64 v[48:49], v[54:55], v[29:30], v[70:71]
	global_load_dwordx4 v[40:43], v[42:43], off
	v_fma_f64 v[37:38], -v[54:55], v[31:32], v[37:38]
	v_lshlrev_b64 v[54:55], 4, v[26:27]
	v_add_nc_u32_e32 v26, -14, v24
	s_waitcnt vmcnt(4)
	v_fma_f64 v[56:57], v[15:16], v[29:30], v[56:57]
	v_fma_f64 v[29:30], v[17:18], v[29:30], v[58:59]
	;; [unrolled: 1-line block ×3, first 2 shown]
	global_load_dwordx4 v[48:51], v[60:61], off
	v_add_co_u32 v52, vcc_lo, s12, v68
	v_add_co_ci_u32_e64 v53, null, s13, v69, vcc_lo
	v_fma_f64 v[68:69], -v[17:18], v[31:32], v[56:57]
	v_lshlrev_b64 v[56:57], 4, v[26:27]
	v_add_nc_u32_e32 v26, 6, v28
	v_add_co_u32 v54, vcc_lo, s12, v54
	v_add_co_ci_u32_e64 v55, null, s13, v55, vcc_lo
	v_lshlrev_b64 v[58:59], 4, v[26:27]
	v_add_co_u32 v56, vcc_lo, s12, v56
	v_add_co_ci_u32_e64 v57, null, s13, v57, vcc_lo
	v_fma_f64 v[72:73], v[15:16], v[31:32], v[29:30]
	global_load_dwordx4 v[15:18], v[62:63], off
	global_load_dwordx4 v[28:31], v[52:53], off
	v_add_nc_u32_e32 v26, -7, v24
	v_add_nc_u32_e32 v24, 0x54, v24
	v_lshlrev_b64 v[25:26], 4, v[26:27]
	s_waitcnt vmcnt(5)
	v_fma_f64 v[60:61], v[19:20], v[11:12], v[66:67]
	v_fma_f64 v[62:63], v[21:22], v[11:12], v[64:65]
	s_waitcnt vmcnt(4)
	v_fma_f64 v[37:38], v[33:34], v[11:12], v[37:38]
	v_fma_f64 v[21:22], -v[21:22], v[13:14], v[60:61]
	v_add_co_u32 v60, vcc_lo, s14, v58
	v_add_co_ci_u32_e64 v61, null, s15, v59, vcc_lo
	s_clause 0x1
	global_load_dwordx4 v[56:59], v[56:57], off
	global_load_dwordx4 v[52:55], v[54:55], off
	v_fma_f64 v[19:20], v[19:20], v[13:14], v[62:63]
	v_fma_f64 v[62:63], v[35:36], v[11:12], v[70:71]
	v_add_co_u32 v25, vcc_lo, s12, v25
	v_add_co_ci_u32_e64 v26, null, s13, v26, vcc_lo
	v_fma_f64 v[36:37], -v[35:36], v[13:14], v[37:38]
	v_cmp_ge_i32_e32 vcc_lo, v10, v39
	s_or_b32 s0, vcc_lo, s0
	v_fma_f64 v[64:65], v[33:34], v[13:14], v[62:63]
	global_load_dwordx4 v[32:35], v[60:61], off
	global_load_dwordx4 v[60:63], v[25:26], off
	s_waitcnt vmcnt(7)
	v_fma_f64 v[25:26], v[40:41], v[11:12], v[68:69]
	v_fma_f64 v[11:12], v[42:43], v[11:12], v[72:73]
	v_fma_f64 v[25:26], -v[42:43], v[13:14], v[25:26]
	v_fma_f64 v[11:12], v[40:41], v[13:14], v[11:12]
	s_waitcnt vmcnt(5)
	v_fma_f64 v[13:14], v[48:49], v[15:16], v[21:22]
	v_fma_f64 v[19:20], v[50:51], v[15:16], v[19:20]
	s_waitcnt vmcnt(4)
	v_fma_f64 v[21:22], v[28:29], v[15:16], v[36:37]
	v_fma_f64 v[36:37], v[30:31], v[15:16], v[64:65]
	v_fma_f64 v[13:14], -v[50:51], v[17:18], v[13:14]
	s_waitcnt vmcnt(2)
	v_fma_f64 v[25:26], v[52:53], v[15:16], v[25:26]
	v_fma_f64 v[11:12], v[54:55], v[15:16], v[11:12]
	;; [unrolled: 1-line block ×3, first 2 shown]
	v_fma_f64 v[19:20], -v[30:31], v[17:18], v[21:22]
	v_fma_f64 v[21:22], v[28:29], v[17:18], v[36:37]
	v_fma_f64 v[25:26], -v[54:55], v[17:18], v[25:26]
	v_fma_f64 v[11:12], v[52:53], v[17:18], v[11:12]
	s_waitcnt vmcnt(1)
	v_fma_f64 v[13:14], v[56:57], v[32:33], v[13:14]
	v_fma_f64 v[15:16], v[58:59], v[32:33], v[15:16]
	s_waitcnt vmcnt(0)
	v_fma_f64 v[17:18], v[60:61], v[32:33], v[19:20]
	v_fma_f64 v[22:23], v[62:63], v[32:33], v[21:22]
	;; [unrolled: 1-line block ×4, first 2 shown]
	v_fma_f64 v[20:21], -v[58:59], v[34:35], v[13:14]
	v_fma_f64 v[12:13], v[56:57], v[34:35], v[15:16]
	v_fma_f64 v[18:19], -v[62:63], v[34:35], v[17:18]
	v_fma_f64 v[22:23], v[60:61], v[34:35], v[22:23]
	v_fma_f64 v[14:15], -v[46:47], v[34:35], v[25:26]
	v_fma_f64 v[16:17], v[44:45], v[34:35], v[28:29]
	s_andn2_b32 exec_lo, exec_lo, s0
	s_cbranch_execnz .LBB136_17
; %bb.18:
	s_or_b32 exec_lo, exec_lo, s0
.LBB136_19:
	s_or_b32 exec_lo, exec_lo, s1
.LBB136_20:
	v_mbcnt_lo_u32_b32 v34, -1, 0
	v_xor_b32_e32 v10, 2, v34
	v_cmp_gt_i32_e32 vcc_lo, 32, v10
	v_cndmask_b32_e32 v10, v34, v10, vcc_lo
	v_lshlrev_b32_e32 v33, 2, v10
	ds_bpermute_b32 v10, v33, v20
	ds_bpermute_b32 v11, v33, v21
	;; [unrolled: 1-line block ×12, first 2 shown]
	s_waitcnt lgkmcnt(10)
	v_add_f64 v[10:11], v[20:21], v[10:11]
	s_waitcnt lgkmcnt(8)
	v_add_f64 v[20:21], v[12:13], v[24:25]
	v_xor_b32_e32 v24, 1, v34
	s_waitcnt lgkmcnt(6)
	v_add_f64 v[12:13], v[18:19], v[26:27]
	s_waitcnt lgkmcnt(4)
	v_add_f64 v[18:19], v[22:23], v[28:29]
	s_waitcnt lgkmcnt(2)
	v_add_f64 v[14:15], v[14:15], v[30:31]
	v_cmp_gt_i32_e32 vcc_lo, 32, v24
	s_waitcnt lgkmcnt(0)
	v_add_f64 v[16:17], v[16:17], v[32:33]
	v_cndmask_b32_e32 v22, v34, v24, vcc_lo
	v_cmp_eq_u32_e32 vcc_lo, 3, v0
	v_lshlrev_b32_e32 v25, 2, v22
	ds_bpermute_b32 v32, v25, v10
	ds_bpermute_b32 v33, v25, v11
	;; [unrolled: 1-line block ×12, first 2 shown]
	s_and_b32 exec_lo, exec_lo, vcc_lo
	s_cbranch_execz .LBB136_25
; %bb.21:
	v_cmp_eq_f64_e32 vcc_lo, 0, v[5:6]
	v_cmp_eq_f64_e64 s0, 0, v[7:8]
	s_waitcnt lgkmcnt(10)
	v_add_f64 v[10:11], v[10:11], v[32:33]
	s_waitcnt lgkmcnt(8)
	v_add_f64 v[20:21], v[20:21], v[30:31]
	;; [unrolled: 2-line block ×6, first 2 shown]
	s_load_dwordx2 s[2:3], s[4:5], 0x48
	s_and_b32 s0, vcc_lo, s0
	s_and_saveexec_b32 s1, s0
	s_xor_b32 s0, exec_lo, s1
	s_cbranch_execz .LBB136_23
; %bb.22:
	v_mul_f64 v[5:6], v[20:21], -v[3:4]
	v_mul_f64 v[7:8], v[1:2], v[20:21]
	v_mul_f64 v[20:21], v[18:19], -v[3:4]
	v_mul_f64 v[18:19], v[1:2], v[18:19]
	;; [unrolled: 2-line block ×3, first 2 shown]
	v_lshl_add_u32 v24, v9, 1, v9
	v_ashrrev_i32_e32 v25, 31, v24
	v_fma_f64 v[5:6], v[1:2], v[10:11], v[5:6]
	v_fma_f64 v[7:8], v[3:4], v[10:11], v[7:8]
	v_fma_f64 v[9:10], v[1:2], v[12:13], v[20:21]
	v_fma_f64 v[11:12], v[3:4], v[12:13], v[18:19]
	v_fma_f64 v[0:1], v[1:2], v[14:15], v[22:23]
	v_fma_f64 v[2:3], v[3:4], v[14:15], v[16:17]
	v_lshlrev_b64 v[13:14], 4, v[24:25]
                                        ; implicit-def: $vgpr20_vgpr21
                                        ; implicit-def: $vgpr18_vgpr19
                                        ; implicit-def: $vgpr16_vgpr17
	s_waitcnt lgkmcnt(0)
	v_add_co_u32 v13, vcc_lo, s2, v13
	v_add_co_ci_u32_e64 v14, null, s3, v14, vcc_lo
	global_store_dwordx4 v[13:14], v[5:8], off
	global_store_dwordx4 v[13:14], v[9:12], off offset:16
	global_store_dwordx4 v[13:14], v[0:3], off offset:32
                                        ; implicit-def: $vgpr9
                                        ; implicit-def: $vgpr10_vgpr11
                                        ; implicit-def: $vgpr12_vgpr13
                                        ; implicit-def: $vgpr14_vgpr15
                                        ; implicit-def: $vgpr7_vgpr8
                                        ; implicit-def: $vgpr3_vgpr4
.LBB136_23:
	s_andn2_saveexec_b32 s0, s0
	s_cbranch_execz .LBB136_25
; %bb.24:
	v_lshl_add_u32 v22, v9, 1, v9
	v_mul_f64 v[36:37], v[20:21], -v[3:4]
	v_mul_f64 v[20:21], v[1:2], v[20:21]
	v_mul_f64 v[38:39], v[18:19], -v[3:4]
	v_mul_f64 v[18:19], v[1:2], v[18:19]
	v_ashrrev_i32_e32 v23, 31, v22
	v_mul_f64 v[40:41], v[16:17], -v[3:4]
	v_mul_f64 v[16:17], v[1:2], v[16:17]
	v_lshlrev_b64 v[22:23], 4, v[22:23]
	s_waitcnt lgkmcnt(0)
	v_add_co_u32 v34, vcc_lo, s2, v22
	v_add_co_ci_u32_e64 v35, null, s3, v23, vcc_lo
	s_clause 0x2
	global_load_dwordx4 v[22:25], v[34:35], off
	global_load_dwordx4 v[26:29], v[34:35], off offset:16
	global_load_dwordx4 v[30:33], v[34:35], off offset:32
	v_fma_f64 v[36:37], v[1:2], v[10:11], v[36:37]
	v_fma_f64 v[9:10], v[3:4], v[10:11], v[20:21]
	;; [unrolled: 1-line block ×6, first 2 shown]
	s_waitcnt vmcnt(2)
	v_fma_f64 v[13:14], v[5:6], v[22:23], v[36:37]
	v_fma_f64 v[9:10], v[7:8], v[22:23], v[9:10]
	s_waitcnt vmcnt(1)
	v_fma_f64 v[15:16], v[5:6], v[26:27], v[20:21]
	v_fma_f64 v[11:12], v[7:8], v[26:27], v[11:12]
	;; [unrolled: 3-line block ×3, first 2 shown]
	v_fma_f64 v[0:1], -v[7:8], v[24:25], v[13:14]
	v_fma_f64 v[2:3], v[5:6], v[24:25], v[9:10]
	v_fma_f64 v[9:10], -v[7:8], v[28:29], v[15:16]
	v_fma_f64 v[11:12], v[5:6], v[28:29], v[11:12]
	;; [unrolled: 2-line block ×3, first 2 shown]
	global_store_dwordx4 v[34:35], v[0:3], off
	global_store_dwordx4 v[34:35], v[9:12], off offset:16
	global_store_dwordx4 v[34:35], v[13:16], off offset:32
.LBB136_25:
	s_endpgm
	.section	.rodata,"a",@progbits
	.p2align	6, 0x0
	.amdhsa_kernel _ZN9rocsparseL19gebsrmvn_3xn_kernelILj128ELj7ELj4E21rocsparse_complex_numIdEEEvi20rocsparse_direction_NS_24const_host_device_scalarIT2_EEPKiS8_PKS5_SA_S6_PS5_21rocsparse_index_base_b
		.amdhsa_group_segment_fixed_size 0
		.amdhsa_private_segment_fixed_size 0
		.amdhsa_kernarg_size 88
		.amdhsa_user_sgpr_count 6
		.amdhsa_user_sgpr_private_segment_buffer 1
		.amdhsa_user_sgpr_dispatch_ptr 0
		.amdhsa_user_sgpr_queue_ptr 0
		.amdhsa_user_sgpr_kernarg_segment_ptr 1
		.amdhsa_user_sgpr_dispatch_id 0
		.amdhsa_user_sgpr_flat_scratch_init 0
		.amdhsa_user_sgpr_private_segment_size 0
		.amdhsa_wavefront_size32 1
		.amdhsa_uses_dynamic_stack 0
		.amdhsa_system_sgpr_private_segment_wavefront_offset 0
		.amdhsa_system_sgpr_workgroup_id_x 1
		.amdhsa_system_sgpr_workgroup_id_y 0
		.amdhsa_system_sgpr_workgroup_id_z 0
		.amdhsa_system_sgpr_workgroup_info 0
		.amdhsa_system_vgpr_workitem_id 0
		.amdhsa_next_free_vgpr 74
		.amdhsa_next_free_sgpr 16
		.amdhsa_reserve_vcc 1
		.amdhsa_reserve_flat_scratch 0
		.amdhsa_float_round_mode_32 0
		.amdhsa_float_round_mode_16_64 0
		.amdhsa_float_denorm_mode_32 3
		.amdhsa_float_denorm_mode_16_64 3
		.amdhsa_dx10_clamp 1
		.amdhsa_ieee_mode 1
		.amdhsa_fp16_overflow 0
		.amdhsa_workgroup_processor_mode 1
		.amdhsa_memory_ordered 1
		.amdhsa_forward_progress 1
		.amdhsa_shared_vgpr_count 0
		.amdhsa_exception_fp_ieee_invalid_op 0
		.amdhsa_exception_fp_denorm_src 0
		.amdhsa_exception_fp_ieee_div_zero 0
		.amdhsa_exception_fp_ieee_overflow 0
		.amdhsa_exception_fp_ieee_underflow 0
		.amdhsa_exception_fp_ieee_inexact 0
		.amdhsa_exception_int_div_zero 0
	.end_amdhsa_kernel
	.section	.text._ZN9rocsparseL19gebsrmvn_3xn_kernelILj128ELj7ELj4E21rocsparse_complex_numIdEEEvi20rocsparse_direction_NS_24const_host_device_scalarIT2_EEPKiS8_PKS5_SA_S6_PS5_21rocsparse_index_base_b,"axG",@progbits,_ZN9rocsparseL19gebsrmvn_3xn_kernelILj128ELj7ELj4E21rocsparse_complex_numIdEEEvi20rocsparse_direction_NS_24const_host_device_scalarIT2_EEPKiS8_PKS5_SA_S6_PS5_21rocsparse_index_base_b,comdat
.Lfunc_end136:
	.size	_ZN9rocsparseL19gebsrmvn_3xn_kernelILj128ELj7ELj4E21rocsparse_complex_numIdEEEvi20rocsparse_direction_NS_24const_host_device_scalarIT2_EEPKiS8_PKS5_SA_S6_PS5_21rocsparse_index_base_b, .Lfunc_end136-_ZN9rocsparseL19gebsrmvn_3xn_kernelILj128ELj7ELj4E21rocsparse_complex_numIdEEEvi20rocsparse_direction_NS_24const_host_device_scalarIT2_EEPKiS8_PKS5_SA_S6_PS5_21rocsparse_index_base_b
                                        ; -- End function
	.set _ZN9rocsparseL19gebsrmvn_3xn_kernelILj128ELj7ELj4E21rocsparse_complex_numIdEEEvi20rocsparse_direction_NS_24const_host_device_scalarIT2_EEPKiS8_PKS5_SA_S6_PS5_21rocsparse_index_base_b.num_vgpr, 74
	.set _ZN9rocsparseL19gebsrmvn_3xn_kernelILj128ELj7ELj4E21rocsparse_complex_numIdEEEvi20rocsparse_direction_NS_24const_host_device_scalarIT2_EEPKiS8_PKS5_SA_S6_PS5_21rocsparse_index_base_b.num_agpr, 0
	.set _ZN9rocsparseL19gebsrmvn_3xn_kernelILj128ELj7ELj4E21rocsparse_complex_numIdEEEvi20rocsparse_direction_NS_24const_host_device_scalarIT2_EEPKiS8_PKS5_SA_S6_PS5_21rocsparse_index_base_b.numbered_sgpr, 16
	.set _ZN9rocsparseL19gebsrmvn_3xn_kernelILj128ELj7ELj4E21rocsparse_complex_numIdEEEvi20rocsparse_direction_NS_24const_host_device_scalarIT2_EEPKiS8_PKS5_SA_S6_PS5_21rocsparse_index_base_b.num_named_barrier, 0
	.set _ZN9rocsparseL19gebsrmvn_3xn_kernelILj128ELj7ELj4E21rocsparse_complex_numIdEEEvi20rocsparse_direction_NS_24const_host_device_scalarIT2_EEPKiS8_PKS5_SA_S6_PS5_21rocsparse_index_base_b.private_seg_size, 0
	.set _ZN9rocsparseL19gebsrmvn_3xn_kernelILj128ELj7ELj4E21rocsparse_complex_numIdEEEvi20rocsparse_direction_NS_24const_host_device_scalarIT2_EEPKiS8_PKS5_SA_S6_PS5_21rocsparse_index_base_b.uses_vcc, 1
	.set _ZN9rocsparseL19gebsrmvn_3xn_kernelILj128ELj7ELj4E21rocsparse_complex_numIdEEEvi20rocsparse_direction_NS_24const_host_device_scalarIT2_EEPKiS8_PKS5_SA_S6_PS5_21rocsparse_index_base_b.uses_flat_scratch, 0
	.set _ZN9rocsparseL19gebsrmvn_3xn_kernelILj128ELj7ELj4E21rocsparse_complex_numIdEEEvi20rocsparse_direction_NS_24const_host_device_scalarIT2_EEPKiS8_PKS5_SA_S6_PS5_21rocsparse_index_base_b.has_dyn_sized_stack, 0
	.set _ZN9rocsparseL19gebsrmvn_3xn_kernelILj128ELj7ELj4E21rocsparse_complex_numIdEEEvi20rocsparse_direction_NS_24const_host_device_scalarIT2_EEPKiS8_PKS5_SA_S6_PS5_21rocsparse_index_base_b.has_recursion, 0
	.set _ZN9rocsparseL19gebsrmvn_3xn_kernelILj128ELj7ELj4E21rocsparse_complex_numIdEEEvi20rocsparse_direction_NS_24const_host_device_scalarIT2_EEPKiS8_PKS5_SA_S6_PS5_21rocsparse_index_base_b.has_indirect_call, 0
	.section	.AMDGPU.csdata,"",@progbits
; Kernel info:
; codeLenInByte = 4012
; TotalNumSgprs: 18
; NumVgprs: 74
; ScratchSize: 0
; MemoryBound: 0
; FloatMode: 240
; IeeeMode: 1
; LDSByteSize: 0 bytes/workgroup (compile time only)
; SGPRBlocks: 0
; VGPRBlocks: 9
; NumSGPRsForWavesPerEU: 18
; NumVGPRsForWavesPerEU: 74
; Occupancy: 12
; WaveLimiterHint : 1
; COMPUTE_PGM_RSRC2:SCRATCH_EN: 0
; COMPUTE_PGM_RSRC2:USER_SGPR: 6
; COMPUTE_PGM_RSRC2:TRAP_HANDLER: 0
; COMPUTE_PGM_RSRC2:TGID_X_EN: 1
; COMPUTE_PGM_RSRC2:TGID_Y_EN: 0
; COMPUTE_PGM_RSRC2:TGID_Z_EN: 0
; COMPUTE_PGM_RSRC2:TIDIG_COMP_CNT: 0
	.section	.text._ZN9rocsparseL19gebsrmvn_3xn_kernelILj128ELj7ELj8E21rocsparse_complex_numIdEEEvi20rocsparse_direction_NS_24const_host_device_scalarIT2_EEPKiS8_PKS5_SA_S6_PS5_21rocsparse_index_base_b,"axG",@progbits,_ZN9rocsparseL19gebsrmvn_3xn_kernelILj128ELj7ELj8E21rocsparse_complex_numIdEEEvi20rocsparse_direction_NS_24const_host_device_scalarIT2_EEPKiS8_PKS5_SA_S6_PS5_21rocsparse_index_base_b,comdat
	.globl	_ZN9rocsparseL19gebsrmvn_3xn_kernelILj128ELj7ELj8E21rocsparse_complex_numIdEEEvi20rocsparse_direction_NS_24const_host_device_scalarIT2_EEPKiS8_PKS5_SA_S6_PS5_21rocsparse_index_base_b ; -- Begin function _ZN9rocsparseL19gebsrmvn_3xn_kernelILj128ELj7ELj8E21rocsparse_complex_numIdEEEvi20rocsparse_direction_NS_24const_host_device_scalarIT2_EEPKiS8_PKS5_SA_S6_PS5_21rocsparse_index_base_b
	.p2align	8
	.type	_ZN9rocsparseL19gebsrmvn_3xn_kernelILj128ELj7ELj8E21rocsparse_complex_numIdEEEvi20rocsparse_direction_NS_24const_host_device_scalarIT2_EEPKiS8_PKS5_SA_S6_PS5_21rocsparse_index_base_b,@function
_ZN9rocsparseL19gebsrmvn_3xn_kernelILj128ELj7ELj8E21rocsparse_complex_numIdEEEvi20rocsparse_direction_NS_24const_host_device_scalarIT2_EEPKiS8_PKS5_SA_S6_PS5_21rocsparse_index_base_b: ; @_ZN9rocsparseL19gebsrmvn_3xn_kernelILj128ELj7ELj8E21rocsparse_complex_numIdEEEvi20rocsparse_direction_NS_24const_host_device_scalarIT2_EEPKiS8_PKS5_SA_S6_PS5_21rocsparse_index_base_b
; %bb.0:
	s_clause 0x1
	s_load_dwordx2 s[2:3], s[4:5], 0x50
	s_load_dwordx2 s[0:1], s[4:5], 0x8
	s_add_u32 s7, s4, 8
	s_addc_u32 s10, s5, 0
	s_add_u32 s11, s4, 56
	s_addc_u32 s12, s5, 0
	s_load_dwordx2 s[8:9], s[4:5], 0x38
	s_waitcnt lgkmcnt(0)
	s_bitcmp1_b32 s3, 0
	s_cselect_b32 s0, s7, s0
	s_cselect_b32 s1, s10, s1
	v_mov_b32_e32 v1, s0
	v_mov_b32_e32 v2, s1
	s_cselect_b32 s0, s11, s8
	s_cselect_b32 s1, s12, s9
	v_mov_b32_e32 v5, s0
	v_mov_b32_e32 v6, s1
	flat_load_dwordx4 v[1:4], v[1:2]
	flat_load_dwordx4 v[5:8], v[5:6]
	s_waitcnt vmcnt(1) lgkmcnt(1)
	v_cmp_eq_f64_e32 vcc_lo, 0, v[1:2]
	v_cmp_eq_f64_e64 s0, 0, v[3:4]
	s_and_b32 s3, vcc_lo, s0
	s_mov_b32 s0, -1
	s_and_saveexec_b32 s1, s3
	s_cbranch_execz .LBB137_2
; %bb.1:
	s_waitcnt vmcnt(0) lgkmcnt(0)
	v_cmp_neq_f64_e32 vcc_lo, 1.0, v[5:6]
	v_cmp_neq_f64_e64 s0, 0, v[7:8]
	s_or_b32 s0, vcc_lo, s0
	s_orn2_b32 s0, s0, exec_lo
.LBB137_2:
	s_or_b32 exec_lo, exec_lo, s1
	s_and_saveexec_b32 s1, s0
	s_cbranch_execz .LBB137_25
; %bb.3:
	s_load_dwordx2 s[0:1], s[4:5], 0x0
	v_lshrrev_b32_e32 v9, 3, v0
	v_lshl_or_b32 v9, s6, 4, v9
	s_waitcnt lgkmcnt(0)
	v_cmp_gt_i32_e32 vcc_lo, s0, v9
	s_and_b32 exec_lo, exec_lo, vcc_lo
	s_cbranch_execz .LBB137_25
; %bb.4:
	s_load_dwordx8 s[8:15], s[4:5], 0x18
	v_ashrrev_i32_e32 v10, 31, v9
	v_and_b32_e32 v0, 7, v0
	s_cmp_lg_u32 s1, 0
	v_lshlrev_b64 v[10:11], 2, v[9:10]
	s_waitcnt lgkmcnt(0)
	v_add_co_u32 v10, vcc_lo, s8, v10
	v_add_co_ci_u32_e64 v11, null, s9, v11, vcc_lo
	global_load_dwordx2 v[11:12], v[10:11], off
	s_waitcnt vmcnt(0)
	v_subrev_nc_u32_e32 v10, s2, v11
	v_subrev_nc_u32_e32 v39, s2, v12
	v_add_nc_u32_e32 v10, v10, v0
	v_cmp_lt_i32_e64 s0, v10, v39
	s_cbranch_scc0 .LBB137_12
; %bb.5:
	v_mov_b32_e32 v12, 0
	v_mov_b32_e32 v20, 0
	;; [unrolled: 1-line block ×12, first 2 shown]
	s_and_saveexec_b32 s1, s0
	s_cbranch_execz .LBB137_14
; %bb.6:
	v_mul_lo_u32 v11, v11, 21
	v_mul_lo_u32 v40, v10, 21
	s_mul_i32 s3, s2, 21
	v_mov_b32_e32 v12, 0
	v_mov_b32_e32 v20, 0
	;; [unrolled: 1-line block ×5, first 2 shown]
	v_mad_u32_u24 v11, v0, 21, v11
	v_mov_b32_e32 v22, 0
	v_mov_b32_e32 v13, 0
	;; [unrolled: 1-line block ×8, first 2 shown]
	v_subrev_nc_u32_e32 v41, s3, v11
	v_mov_b32_e32 v26, v10
	s_mov_b32 s3, 0
	s_branch .LBB137_8
.LBB137_7:                              ;   in Loop: Header=BB137_8 Depth=1
	v_add_nc_u32_e32 v26, 8, v26
	v_add_nc_u32_e32 v40, 0xa8, v40
	;; [unrolled: 1-line block ×3, first 2 shown]
	v_cmp_ge_i32_e32 vcc_lo, v26, v39
	s_or_b32 s3, vcc_lo, s3
	s_andn2_b32 exec_lo, exec_lo, s3
	s_cbranch_execz .LBB137_13
.LBB137_8:                              ; =>This Loop Header: Depth=1
                                        ;     Child Loop BB137_10 Depth 2
	v_ashrrev_i32_e32 v27, 31, v26
	v_mov_b32_e32 v32, v13
	v_mov_b32_e32 v34, v21
	;; [unrolled: 1-line block ×4, first 2 shown]
	v_lshlrev_b64 v[27:28], 2, v[26:27]
	v_mov_b32_e32 v38, v23
	v_mov_b32_e32 v31, v12
	;; [unrolled: 1-line block ×5, first 2 shown]
	v_add_co_u32 v27, vcc_lo, s10, v27
	v_add_co_ci_u32_e64 v28, null, s11, v28, vcc_lo
	v_mov_b32_e32 v37, v22
	s_mov_b32 s6, 0
	global_load_dword v11, v[27:28], off
	v_mov_b32_e32 v28, v17
	v_mov_b32_e32 v27, v16
	s_waitcnt vmcnt(0)
	v_subrev_nc_u32_e32 v11, s2, v11
	v_mul_lo_u32 v11, v11, 7
	s_branch .LBB137_10
.LBB137_9:                              ;   in Loop: Header=BB137_8 Depth=1
                                        ; implicit-def: $vgpr37_vgpr38
                                        ; implicit-def: $vgpr35_vgpr36
                                        ; implicit-def: $vgpr27_vgpr28
                                        ; implicit-def: $vgpr29_vgpr30
                                        ; implicit-def: $vgpr33_vgpr34
                                        ; implicit-def: $vgpr31_vgpr32
                                        ; implicit-def: $sgpr6
                                        ; implicit-def: $vgpr11
	s_branch .LBB137_7
.LBB137_10:                             ;   Parent Loop BB137_8 Depth=1
                                        ; =>  This Inner Loop Header: Depth=2
	v_add_nc_u32_e32 v24, s6, v41
	v_add_nc_u32_e32 v42, s6, v40
	v_mov_b32_e32 v12, v25
	s_cmp_eq_u32 s6, 18
	v_lshlrev_b64 v[13:14], 4, v[24:25]
	v_add_nc_u32_e32 v24, 1, v42
	v_lshlrev_b64 v[15:16], 4, v[11:12]
	v_lshlrev_b64 v[17:18], 4, v[24:25]
	v_add_nc_u32_e32 v24, 2, v42
	v_add_co_u32 v12, vcc_lo, s12, v13
	v_add_co_ci_u32_e64 v13, null, s13, v14, vcc_lo
	v_lshlrev_b64 v[21:22], 4, v[24:25]
	v_add_co_u32 v19, vcc_lo, s14, v15
	v_add_co_ci_u32_e64 v20, null, s15, v16, vcc_lo
	v_add_co_u32 v16, vcc_lo, s12, v17
	v_add_co_ci_u32_e64 v17, null, s13, v18, vcc_lo
	;; [unrolled: 2-line block ×3, first 2 shown]
	global_load_dwordx4 v[12:15], v[12:13], off
	global_load_dwordx4 v[43:46], v[19:20], off
	s_clause 0x1
	global_load_dwordx4 v[16:19], v[16:17], off
	global_load_dwordx4 v[47:50], v[21:22], off
	s_waitcnt vmcnt(2)
	v_fma_f64 v[20:21], v[12:13], v[43:44], v[33:34]
	v_fma_f64 v[22:23], v[14:15], v[43:44], v[31:32]
	s_waitcnt vmcnt(1)
	v_fma_f64 v[31:32], v[16:17], v[43:44], v[35:36]
	v_fma_f64 v[33:34], v[18:19], v[43:44], v[37:38]
	s_waitcnt vmcnt(0)
	v_fma_f64 v[29:30], v[47:48], v[43:44], v[29:30]
	v_fma_f64 v[27:28], v[49:50], v[43:44], v[27:28]
	v_fma_f64 v[20:21], -v[14:15], v[45:46], v[20:21]
	v_fma_f64 v[12:13], v[12:13], v[45:46], v[22:23]
	v_fma_f64 v[18:19], -v[18:19], v[45:46], v[31:32]
	v_fma_f64 v[22:23], v[16:17], v[45:46], v[33:34]
	;; [unrolled: 2-line block ×3, first 2 shown]
	s_cbranch_scc1 .LBB137_9
; %bb.11:                               ;   in Loop: Header=BB137_10 Depth=2
	v_add_nc_u32_e32 v24, 3, v42
	s_add_i32 s6, s6, 6
	v_lshlrev_b64 v[27:28], 4, v[24:25]
	v_add_nc_u32_e32 v24, 1, v11
	v_add_nc_u32_e32 v11, 2, v11
	v_lshlrev_b64 v[31:32], 4, v[24:25]
	v_add_nc_u32_e32 v24, 4, v42
	v_add_co_u32 v27, vcc_lo, s12, v27
	v_add_co_ci_u32_e64 v28, null, s13, v28, vcc_lo
	v_lshlrev_b64 v[33:34], 4, v[24:25]
	v_add_nc_u32_e32 v24, 5, v42
	v_add_co_u32 v31, vcc_lo, s14, v31
	v_add_co_ci_u32_e64 v32, null, s15, v32, vcc_lo
	v_lshlrev_b64 v[35:36], 4, v[24:25]
	v_add_co_u32 v33, vcc_lo, s12, v33
	v_add_co_ci_u32_e64 v34, null, s13, v34, vcc_lo
	global_load_dwordx4 v[27:30], v[27:28], off
	v_add_co_u32 v35, vcc_lo, s12, v35
	v_add_co_ci_u32_e64 v36, null, s13, v36, vcc_lo
	global_load_dwordx4 v[42:45], v[31:32], off
	s_clause 0x1
	global_load_dwordx4 v[46:49], v[33:34], off
	global_load_dwordx4 v[50:53], v[35:36], off
	s_waitcnt vmcnt(2)
	v_fma_f64 v[31:32], v[27:28], v[42:43], v[20:21]
	v_fma_f64 v[35:36], v[29:30], v[42:43], v[12:13]
	s_waitcnt vmcnt(1)
	v_fma_f64 v[37:38], v[46:47], v[42:43], v[18:19]
	v_fma_f64 v[54:55], v[48:49], v[42:43], v[22:23]
	;; [unrolled: 3-line block ×3, first 2 shown]
	v_fma_f64 v[33:34], -v[29:30], v[44:45], v[31:32]
	v_fma_f64 v[31:32], v[27:28], v[44:45], v[35:36]
	v_fma_f64 v[35:36], -v[48:49], v[44:45], v[37:38]
	v_fma_f64 v[37:38], v[46:47], v[44:45], v[54:55]
	;; [unrolled: 2-line block ×3, first 2 shown]
	s_cbranch_execnz .LBB137_10
	s_branch .LBB137_7
.LBB137_12:
                                        ; implicit-def: $vgpr12_vgpr13
                                        ; implicit-def: $vgpr20_vgpr21
                                        ; implicit-def: $vgpr14_vgpr15
                                        ; implicit-def: $vgpr16_vgpr17
                                        ; implicit-def: $vgpr18_vgpr19
                                        ; implicit-def: $vgpr22_vgpr23
	s_branch .LBB137_15
.LBB137_13:
	s_or_b32 exec_lo, exec_lo, s3
.LBB137_14:
	s_or_b32 exec_lo, exec_lo, s1
	s_cbranch_execnz .LBB137_20
.LBB137_15:
	v_mov_b32_e32 v12, 0
	v_mov_b32_e32 v20, 0
	v_mov_b32_e32 v14, 0
	v_mov_b32_e32 v16, 0
	v_mov_b32_e32 v18, 0
	v_mov_b32_e32 v22, 0
	v_mov_b32_e32 v13, 0
	v_mov_b32_e32 v21, 0
	v_mov_b32_e32 v15, 0
	v_mov_b32_e32 v17, 0
	v_mov_b32_e32 v19, 0
	v_mov_b32_e32 v23, 0
	s_and_saveexec_b32 s1, s0
	s_cbranch_execz .LBB137_19
; %bb.16:
	v_mad_u64_u32 v[24:25], null, v10, 21, 20
	v_mov_b32_e32 v12, 0
	v_mov_b32_e32 v20, 0
	;; [unrolled: 1-line block ×13, first 2 shown]
	s_mov_b32 s0, 0
.LBB137_17:                             ; =>This Inner Loop Header: Depth=1
	v_ashrrev_i32_e32 v11, 31, v10
	v_subrev_nc_u32_e32 v26, 20, v24
	v_add_nc_u32_e32 v30, -13, v24
	v_mov_b32_e32 v31, v27
	v_add_nc_u32_e32 v32, -6, v24
	v_lshlrev_b64 v[36:37], 2, v[10:11]
	v_mov_b32_e32 v33, v27
	v_lshlrev_b64 v[34:35], 4, v[26:27]
	v_mov_b32_e32 v25, v27
	v_lshlrev_b64 v[30:31], 4, v[30:31]
	v_subrev_nc_u32_e32 v26, 19, v24
	v_add_co_u32 v36, vcc_lo, s10, v36
	v_add_co_ci_u32_e64 v37, null, s11, v37, vcc_lo
	v_lshlrev_b64 v[32:33], 4, v[32:33]
	v_mov_b32_e32 v29, v27
	v_lshlrev_b64 v[40:41], 4, v[24:25]
	global_load_dword v11, v[36:37], off
	v_add_co_u32 v34, vcc_lo, s12, v34
	v_lshlrev_b64 v[25:26], 4, v[26:27]
	v_add_co_ci_u32_e64 v35, null, s13, v35, vcc_lo
	v_add_co_u32 v42, vcc_lo, s12, v30
	v_add_co_ci_u32_e64 v43, null, s13, v31, vcc_lo
	v_add_co_u32 v44, vcc_lo, s12, v32
	;; [unrolled: 2-line block ×4, first 2 shown]
	v_add_co_ci_u32_e64 v26, null, s13, v26, vcc_lo
	s_clause 0x4
	global_load_dwordx4 v[30:33], v[34:35], off
	global_load_dwordx4 v[34:37], v[42:43], off
	;; [unrolled: 1-line block ×5, first 2 shown]
	v_add_nc_u32_e32 v10, 8, v10
	s_waitcnt vmcnt(5)
	v_subrev_nc_u32_e32 v11, s2, v11
	v_mul_lo_u32 v28, v11, 7
	v_lshlrev_b64 v[52:53], 4, v[28:29]
	v_add_nc_u32_e32 v26, 1, v28
	v_lshlrev_b64 v[56:57], 4, v[26:27]
	v_add_co_u32 v52, vcc_lo, s14, v52
	v_add_co_ci_u32_e64 v53, null, s15, v53, vcc_lo
	v_add_nc_u32_e32 v26, -12, v24
	v_add_co_u32 v56, vcc_lo, s14, v56
	global_load_dwordx4 v[52:55], v[52:53], off
	v_add_co_ci_u32_e64 v57, null, s15, v57, vcc_lo
	v_lshlrev_b64 v[60:61], 4, v[26:27]
	v_add_nc_u32_e32 v26, -5, v24
	global_load_dwordx4 v[56:59], v[56:57], off
	v_lshlrev_b64 v[62:63], 4, v[26:27]
	v_add_co_u32 v60, vcc_lo, s12, v60
	v_add_co_ci_u32_e64 v61, null, s13, v61, vcc_lo
	v_subrev_nc_u32_e32 v26, 18, v24
	v_add_co_u32 v66, vcc_lo, s12, v62
	v_add_co_ci_u32_e64 v67, null, s13, v63, vcc_lo
	global_load_dwordx4 v[60:63], v[60:61], off
	v_lshlrev_b64 v[64:65], 4, v[26:27]
	v_add_nc_u32_e32 v26, 2, v28
	v_lshlrev_b64 v[68:69], 4, v[26:27]
	v_add_co_u32 v64, vcc_lo, s12, v64
	v_add_co_ci_u32_e64 v65, null, s13, v65, vcc_lo
	v_add_nc_u32_e32 v26, -11, v24
	s_waitcnt vmcnt(2)
	v_fma_f64 v[20:21], v[30:31], v[52:53], v[20:21]
	v_fma_f64 v[11:12], v[32:33], v[52:53], v[12:13]
	;; [unrolled: 1-line block ×5, first 2 shown]
	v_fma_f64 v[70:71], -v[32:33], v[54:55], v[20:21]
	v_fma_f64 v[72:73], v[30:31], v[54:55], v[11:12]
	global_load_dwordx4 v[29:32], v[66:67], off
	v_fma_f64 v[20:21], v[36:37], v[52:53], v[22:23]
	v_add_co_u32 v11, vcc_lo, s14, v68
	v_add_co_ci_u32_e64 v12, null, s15, v69, vcc_lo
	v_fma_f64 v[22:23], -v[36:37], v[54:55], v[18:19]
	v_fma_f64 v[52:53], -v[42:43], v[54:55], v[13:14]
	v_lshlrev_b64 v[66:67], 4, v[26:27]
	global_load_dwordx4 v[11:14], v[11:12], off
	v_add_nc_u32_e32 v26, -4, v24
	v_fma_f64 v[15:16], v[40:41], v[54:55], v[15:16]
	s_waitcnt vmcnt(3)
	v_fma_f64 v[42:43], v[48:49], v[56:57], v[70:71]
	v_fma_f64 v[37:38], v[34:35], v[54:55], v[20:21]
	global_load_dwordx4 v[18:21], v[64:65], off
	v_lshlrev_b64 v[33:34], 4, v[26:27]
	v_add_co_u32 v35, vcc_lo, s12, v66
	v_add_co_ci_u32_e64 v36, null, s13, v67, vcc_lo
	v_fma_f64 v[66:67], v[50:51], v[56:57], v[72:73]
	v_add_co_u32 v40, vcc_lo, s12, v33
	v_add_co_ci_u32_e64 v41, null, s13, v34, vcc_lo
	global_load_dwordx4 v[33:36], v[35:36], off
	v_subrev_nc_u32_e32 v26, 17, v24
	s_waitcnt vmcnt(4)
	v_fma_f64 v[22:23], v[60:61], v[56:57], v[22:23]
	v_lshlrev_b64 v[54:55], 4, v[26:27]
	v_fma_f64 v[68:69], -v[50:51], v[58:59], v[42:43]
	global_load_dwordx4 v[40:43], v[40:41], off
	v_add_nc_u32_e32 v26, 3, v28
	v_fma_f64 v[37:38], v[62:63], v[56:57], v[37:38]
	v_lshlrev_b64 v[64:65], 4, v[26:27]
	v_add_nc_u32_e32 v26, -10, v24
	v_fma_f64 v[66:67], v[48:49], v[58:59], v[66:67]
	v_add_co_u32 v48, vcc_lo, s12, v54
	v_add_co_ci_u32_e64 v49, null, s13, v55, vcc_lo
	v_add_co_u32 v54, vcc_lo, s14, v64
	v_add_co_ci_u32_e64 v55, null, s15, v65, vcc_lo
	v_lshlrev_b64 v[64:65], 4, v[26:27]
	v_fma_f64 v[22:23], -v[62:63], v[58:59], v[22:23]
	global_load_dwordx4 v[48:51], v[48:49], off
	v_add_nc_u32_e32 v26, -3, v24
	v_fma_f64 v[37:38], v[60:61], v[58:59], v[37:38]
	v_lshlrev_b64 v[60:61], 4, v[26:27]
	v_add_nc_u32_e32 v26, -16, v24
	v_lshlrev_b64 v[62:63], 4, v[26:27]
	v_add_nc_u32_e32 v26, 4, v28
	s_waitcnt vmcnt(5)
	v_fma_f64 v[52:53], v[29:30], v[56:57], v[52:53]
	v_fma_f64 v[15:16], v[31:32], v[56:57], v[15:16]
	v_fma_f64 v[56:57], -v[31:32], v[58:59], v[52:53]
	v_fma_f64 v[58:59], v[29:30], v[58:59], v[15:16]
	v_add_co_u32 v15, vcc_lo, s12, v64
	v_add_co_ci_u32_e64 v16, null, s13, v65, vcc_lo
	global_load_dwordx4 v[29:32], v[54:55], off
	s_waitcnt vmcnt(4)
	v_fma_f64 v[66:67], v[20:21], v[11:12], v[66:67]
	v_add_co_u32 v60, vcc_lo, s12, v60
	global_load_dwordx4 v[52:55], v[15:16], off
	v_fma_f64 v[15:16], v[18:19], v[11:12], v[68:69]
	v_add_co_ci_u32_e64 v61, null, s13, v61, vcc_lo
	v_add_co_u32 v62, vcc_lo, s12, v62
	v_lshlrev_b64 v[64:65], 4, v[26:27]
	v_add_co_ci_u32_e64 v63, null, s13, v63, vcc_lo
	v_add_nc_u32_e32 v26, -9, v24
	v_fma_f64 v[66:67], v[18:19], v[13:14], v[66:67]
	v_fma_f64 v[68:69], -v[20:21], v[13:14], v[15:16]
	s_waitcnt vmcnt(4)
	v_fma_f64 v[19:20], v[33:34], v[11:12], v[22:23]
	v_fma_f64 v[21:22], v[35:36], v[11:12], v[37:38]
	global_load_dwordx4 v[15:18], v[60:61], off
	v_fma_f64 v[37:38], -v[35:36], v[13:14], v[19:20]
	v_fma_f64 v[70:71], v[33:34], v[13:14], v[21:22]
	s_waitcnt vmcnt(4)
	v_fma_f64 v[33:34], v[40:41], v[11:12], v[56:57]
	v_fma_f64 v[11:12], v[42:43], v[11:12], v[58:59]
	global_load_dwordx4 v[19:22], v[62:63], off
	v_add_co_u32 v60, vcc_lo, s14, v64
	v_add_co_ci_u32_e64 v61, null, s15, v65, vcc_lo
	v_lshlrev_b64 v[64:65], 4, v[26:27]
	v_add_nc_u32_e32 v26, -2, v24
	v_lshlrev_b64 v[62:63], 4, v[26:27]
	v_add_nc_u32_e32 v26, -15, v24
	v_fma_f64 v[56:57], -v[42:43], v[13:14], v[33:34]
	v_fma_f64 v[58:59], v[40:41], v[13:14], v[11:12]
	global_load_dwordx4 v[11:14], v[60:61], off
	v_add_co_u32 v33, vcc_lo, s12, v64
	v_add_co_ci_u32_e64 v34, null, s13, v65, vcc_lo
	v_lshlrev_b64 v[40:41], 4, v[26:27]
	v_add_co_u32 v42, vcc_lo, s12, v62
	global_load_dwordx4 v[33:36], v[33:34], off
	v_add_co_ci_u32_e64 v43, null, s13, v63, vcc_lo
	v_add_co_u32 v60, vcc_lo, s12, v40
	v_add_co_ci_u32_e64 v61, null, s13, v41, vcc_lo
	v_add_nc_u32_e32 v26, 5, v28
	v_lshlrev_b64 v[62:63], 4, v[26:27]
	v_add_nc_u32_e32 v26, -8, v24
	v_add_co_u32 v62, vcc_lo, s14, v62
	v_add_co_ci_u32_e64 v63, null, s15, v63, vcc_lo
	s_waitcnt vmcnt(5)
	v_fma_f64 v[40:41], v[48:49], v[29:30], v[68:69]
	v_fma_f64 v[64:65], v[50:51], v[29:30], v[66:67]
	v_lshlrev_b64 v[68:69], 4, v[26:27]
	v_add_nc_u32_e32 v26, -1, v24
	s_waitcnt vmcnt(4)
	v_fma_f64 v[37:38], v[52:53], v[29:30], v[37:38]
	v_fma_f64 v[66:67], -v[50:51], v[31:32], v[40:41]
	v_fma_f64 v[64:65], v[48:49], v[31:32], v[64:65]
	v_fma_f64 v[48:49], v[54:55], v[29:30], v[70:71]
	global_load_dwordx4 v[40:43], v[42:43], off
	v_fma_f64 v[37:38], -v[54:55], v[31:32], v[37:38]
	v_lshlrev_b64 v[54:55], 4, v[26:27]
	v_add_nc_u32_e32 v26, -14, v24
	s_waitcnt vmcnt(4)
	v_fma_f64 v[56:57], v[15:16], v[29:30], v[56:57]
	v_fma_f64 v[29:30], v[17:18], v[29:30], v[58:59]
	;; [unrolled: 1-line block ×3, first 2 shown]
	global_load_dwordx4 v[48:51], v[60:61], off
	v_add_co_u32 v52, vcc_lo, s12, v68
	v_add_co_ci_u32_e64 v53, null, s13, v69, vcc_lo
	v_fma_f64 v[68:69], -v[17:18], v[31:32], v[56:57]
	v_lshlrev_b64 v[56:57], 4, v[26:27]
	v_add_nc_u32_e32 v26, 6, v28
	v_add_co_u32 v54, vcc_lo, s12, v54
	v_add_co_ci_u32_e64 v55, null, s13, v55, vcc_lo
	v_lshlrev_b64 v[58:59], 4, v[26:27]
	v_add_co_u32 v56, vcc_lo, s12, v56
	v_add_co_ci_u32_e64 v57, null, s13, v57, vcc_lo
	v_fma_f64 v[72:73], v[15:16], v[31:32], v[29:30]
	global_load_dwordx4 v[15:18], v[62:63], off
	global_load_dwordx4 v[28:31], v[52:53], off
	v_add_nc_u32_e32 v26, -7, v24
	v_add_nc_u32_e32 v24, 0xa8, v24
	v_lshlrev_b64 v[25:26], 4, v[26:27]
	s_waitcnt vmcnt(5)
	v_fma_f64 v[60:61], v[19:20], v[11:12], v[66:67]
	v_fma_f64 v[62:63], v[21:22], v[11:12], v[64:65]
	s_waitcnt vmcnt(4)
	v_fma_f64 v[37:38], v[33:34], v[11:12], v[37:38]
	v_fma_f64 v[21:22], -v[21:22], v[13:14], v[60:61]
	v_add_co_u32 v60, vcc_lo, s14, v58
	v_add_co_ci_u32_e64 v61, null, s15, v59, vcc_lo
	s_clause 0x1
	global_load_dwordx4 v[56:59], v[56:57], off
	global_load_dwordx4 v[52:55], v[54:55], off
	v_fma_f64 v[19:20], v[19:20], v[13:14], v[62:63]
	v_fma_f64 v[62:63], v[35:36], v[11:12], v[70:71]
	v_add_co_u32 v25, vcc_lo, s12, v25
	v_add_co_ci_u32_e64 v26, null, s13, v26, vcc_lo
	v_fma_f64 v[36:37], -v[35:36], v[13:14], v[37:38]
	v_cmp_ge_i32_e32 vcc_lo, v10, v39
	s_or_b32 s0, vcc_lo, s0
	v_fma_f64 v[64:65], v[33:34], v[13:14], v[62:63]
	global_load_dwordx4 v[32:35], v[60:61], off
	global_load_dwordx4 v[60:63], v[25:26], off
	s_waitcnt vmcnt(7)
	v_fma_f64 v[25:26], v[40:41], v[11:12], v[68:69]
	v_fma_f64 v[11:12], v[42:43], v[11:12], v[72:73]
	v_fma_f64 v[25:26], -v[42:43], v[13:14], v[25:26]
	v_fma_f64 v[11:12], v[40:41], v[13:14], v[11:12]
	s_waitcnt vmcnt(5)
	v_fma_f64 v[13:14], v[48:49], v[15:16], v[21:22]
	v_fma_f64 v[19:20], v[50:51], v[15:16], v[19:20]
	s_waitcnt vmcnt(4)
	v_fma_f64 v[21:22], v[28:29], v[15:16], v[36:37]
	v_fma_f64 v[36:37], v[30:31], v[15:16], v[64:65]
	v_fma_f64 v[13:14], -v[50:51], v[17:18], v[13:14]
	s_waitcnt vmcnt(2)
	v_fma_f64 v[25:26], v[52:53], v[15:16], v[25:26]
	v_fma_f64 v[11:12], v[54:55], v[15:16], v[11:12]
	v_fma_f64 v[15:16], v[48:49], v[17:18], v[19:20]
	v_fma_f64 v[19:20], -v[30:31], v[17:18], v[21:22]
	v_fma_f64 v[21:22], v[28:29], v[17:18], v[36:37]
	v_fma_f64 v[25:26], -v[54:55], v[17:18], v[25:26]
	v_fma_f64 v[11:12], v[52:53], v[17:18], v[11:12]
	s_waitcnt vmcnt(1)
	v_fma_f64 v[13:14], v[56:57], v[32:33], v[13:14]
	v_fma_f64 v[15:16], v[58:59], v[32:33], v[15:16]
	s_waitcnt vmcnt(0)
	v_fma_f64 v[17:18], v[60:61], v[32:33], v[19:20]
	v_fma_f64 v[22:23], v[62:63], v[32:33], v[21:22]
	;; [unrolled: 1-line block ×4, first 2 shown]
	v_fma_f64 v[20:21], -v[58:59], v[34:35], v[13:14]
	v_fma_f64 v[12:13], v[56:57], v[34:35], v[15:16]
	v_fma_f64 v[18:19], -v[62:63], v[34:35], v[17:18]
	v_fma_f64 v[22:23], v[60:61], v[34:35], v[22:23]
	;; [unrolled: 2-line block ×3, first 2 shown]
	s_andn2_b32 exec_lo, exec_lo, s0
	s_cbranch_execnz .LBB137_17
; %bb.18:
	s_or_b32 exec_lo, exec_lo, s0
.LBB137_19:
	s_or_b32 exec_lo, exec_lo, s1
.LBB137_20:
	v_mbcnt_lo_u32_b32 v34, -1, 0
	v_xor_b32_e32 v10, 4, v34
	v_cmp_gt_i32_e32 vcc_lo, 32, v10
	v_cndmask_b32_e32 v10, v34, v10, vcc_lo
	v_lshlrev_b32_e32 v33, 2, v10
	ds_bpermute_b32 v10, v33, v20
	ds_bpermute_b32 v11, v33, v21
	ds_bpermute_b32 v24, v33, v12
	ds_bpermute_b32 v25, v33, v13
	ds_bpermute_b32 v26, v33, v18
	ds_bpermute_b32 v27, v33, v19
	ds_bpermute_b32 v28, v33, v22
	ds_bpermute_b32 v29, v33, v23
	ds_bpermute_b32 v30, v33, v14
	ds_bpermute_b32 v31, v33, v15
	ds_bpermute_b32 v32, v33, v16
	ds_bpermute_b32 v33, v33, v17
	s_waitcnt lgkmcnt(10)
	v_add_f64 v[10:11], v[20:21], v[10:11]
	v_xor_b32_e32 v20, 2, v34
	s_waitcnt lgkmcnt(8)
	v_add_f64 v[12:13], v[12:13], v[24:25]
	s_waitcnt lgkmcnt(6)
	v_add_f64 v[18:19], v[18:19], v[26:27]
	;; [unrolled: 2-line block ×3, first 2 shown]
	v_cmp_gt_i32_e32 vcc_lo, 32, v20
	s_waitcnt lgkmcnt(2)
	v_add_f64 v[14:15], v[14:15], v[30:31]
	s_waitcnt lgkmcnt(0)
	v_add_f64 v[16:17], v[16:17], v[32:33]
	v_cndmask_b32_e32 v20, v34, v20, vcc_lo
	v_lshlrev_b32_e32 v33, 2, v20
	ds_bpermute_b32 v20, v33, v10
	ds_bpermute_b32 v21, v33, v11
	;; [unrolled: 1-line block ×12, first 2 shown]
	s_waitcnt lgkmcnt(10)
	v_add_f64 v[10:11], v[10:11], v[20:21]
	s_waitcnt lgkmcnt(8)
	v_add_f64 v[20:21], v[12:13], v[24:25]
	v_xor_b32_e32 v24, 1, v34
	s_waitcnt lgkmcnt(6)
	v_add_f64 v[12:13], v[18:19], v[26:27]
	s_waitcnt lgkmcnt(4)
	v_add_f64 v[18:19], v[22:23], v[28:29]
	;; [unrolled: 2-line block ×3, first 2 shown]
	v_cmp_gt_i32_e32 vcc_lo, 32, v24
	s_waitcnt lgkmcnt(0)
	v_add_f64 v[16:17], v[16:17], v[32:33]
	v_cndmask_b32_e32 v22, v34, v24, vcc_lo
	v_cmp_eq_u32_e32 vcc_lo, 7, v0
	v_lshlrev_b32_e32 v25, 2, v22
	ds_bpermute_b32 v32, v25, v10
	ds_bpermute_b32 v33, v25, v11
	;; [unrolled: 1-line block ×12, first 2 shown]
	s_and_b32 exec_lo, exec_lo, vcc_lo
	s_cbranch_execz .LBB137_25
; %bb.21:
	v_cmp_eq_f64_e32 vcc_lo, 0, v[5:6]
	v_cmp_eq_f64_e64 s0, 0, v[7:8]
	s_waitcnt lgkmcnt(10)
	v_add_f64 v[10:11], v[10:11], v[32:33]
	s_waitcnt lgkmcnt(8)
	v_add_f64 v[20:21], v[20:21], v[30:31]
	;; [unrolled: 2-line block ×6, first 2 shown]
	s_load_dwordx2 s[2:3], s[4:5], 0x48
	s_and_b32 s0, vcc_lo, s0
	s_and_saveexec_b32 s1, s0
	s_xor_b32 s0, exec_lo, s1
	s_cbranch_execz .LBB137_23
; %bb.22:
	v_mul_f64 v[5:6], v[20:21], -v[3:4]
	v_mul_f64 v[7:8], v[1:2], v[20:21]
	v_mul_f64 v[20:21], v[18:19], -v[3:4]
	v_mul_f64 v[18:19], v[1:2], v[18:19]
	v_mul_f64 v[22:23], v[16:17], -v[3:4]
	v_mul_f64 v[16:17], v[1:2], v[16:17]
	v_lshl_add_u32 v24, v9, 1, v9
	v_ashrrev_i32_e32 v25, 31, v24
	v_fma_f64 v[5:6], v[1:2], v[10:11], v[5:6]
	v_fma_f64 v[7:8], v[3:4], v[10:11], v[7:8]
	;; [unrolled: 1-line block ×6, first 2 shown]
	v_lshlrev_b64 v[13:14], 4, v[24:25]
                                        ; implicit-def: $vgpr20_vgpr21
                                        ; implicit-def: $vgpr18_vgpr19
                                        ; implicit-def: $vgpr16_vgpr17
	s_waitcnt lgkmcnt(0)
	v_add_co_u32 v13, vcc_lo, s2, v13
	v_add_co_ci_u32_e64 v14, null, s3, v14, vcc_lo
	global_store_dwordx4 v[13:14], v[5:8], off
	global_store_dwordx4 v[13:14], v[9:12], off offset:16
	global_store_dwordx4 v[13:14], v[0:3], off offset:32
                                        ; implicit-def: $vgpr9
                                        ; implicit-def: $vgpr10_vgpr11
                                        ; implicit-def: $vgpr12_vgpr13
                                        ; implicit-def: $vgpr14_vgpr15
                                        ; implicit-def: $vgpr7_vgpr8
                                        ; implicit-def: $vgpr3_vgpr4
.LBB137_23:
	s_andn2_saveexec_b32 s0, s0
	s_cbranch_execz .LBB137_25
; %bb.24:
	v_lshl_add_u32 v22, v9, 1, v9
	v_mul_f64 v[36:37], v[20:21], -v[3:4]
	v_mul_f64 v[20:21], v[1:2], v[20:21]
	v_mul_f64 v[38:39], v[18:19], -v[3:4]
	v_mul_f64 v[18:19], v[1:2], v[18:19]
	v_ashrrev_i32_e32 v23, 31, v22
	v_mul_f64 v[40:41], v[16:17], -v[3:4]
	v_mul_f64 v[16:17], v[1:2], v[16:17]
	v_lshlrev_b64 v[22:23], 4, v[22:23]
	s_waitcnt lgkmcnt(0)
	v_add_co_u32 v34, vcc_lo, s2, v22
	v_add_co_ci_u32_e64 v35, null, s3, v23, vcc_lo
	s_clause 0x2
	global_load_dwordx4 v[22:25], v[34:35], off
	global_load_dwordx4 v[26:29], v[34:35], off offset:16
	global_load_dwordx4 v[30:33], v[34:35], off offset:32
	v_fma_f64 v[36:37], v[1:2], v[10:11], v[36:37]
	v_fma_f64 v[9:10], v[3:4], v[10:11], v[20:21]
	;; [unrolled: 1-line block ×6, first 2 shown]
	s_waitcnt vmcnt(2)
	v_fma_f64 v[13:14], v[5:6], v[22:23], v[36:37]
	v_fma_f64 v[9:10], v[7:8], v[22:23], v[9:10]
	s_waitcnt vmcnt(1)
	v_fma_f64 v[15:16], v[5:6], v[26:27], v[20:21]
	v_fma_f64 v[11:12], v[7:8], v[26:27], v[11:12]
	;; [unrolled: 3-line block ×3, first 2 shown]
	v_fma_f64 v[0:1], -v[7:8], v[24:25], v[13:14]
	v_fma_f64 v[2:3], v[5:6], v[24:25], v[9:10]
	v_fma_f64 v[9:10], -v[7:8], v[28:29], v[15:16]
	v_fma_f64 v[11:12], v[5:6], v[28:29], v[11:12]
	;; [unrolled: 2-line block ×3, first 2 shown]
	global_store_dwordx4 v[34:35], v[0:3], off
	global_store_dwordx4 v[34:35], v[9:12], off offset:16
	global_store_dwordx4 v[34:35], v[13:16], off offset:32
.LBB137_25:
	s_endpgm
	.section	.rodata,"a",@progbits
	.p2align	6, 0x0
	.amdhsa_kernel _ZN9rocsparseL19gebsrmvn_3xn_kernelILj128ELj7ELj8E21rocsparse_complex_numIdEEEvi20rocsparse_direction_NS_24const_host_device_scalarIT2_EEPKiS8_PKS5_SA_S6_PS5_21rocsparse_index_base_b
		.amdhsa_group_segment_fixed_size 0
		.amdhsa_private_segment_fixed_size 0
		.amdhsa_kernarg_size 88
		.amdhsa_user_sgpr_count 6
		.amdhsa_user_sgpr_private_segment_buffer 1
		.amdhsa_user_sgpr_dispatch_ptr 0
		.amdhsa_user_sgpr_queue_ptr 0
		.amdhsa_user_sgpr_kernarg_segment_ptr 1
		.amdhsa_user_sgpr_dispatch_id 0
		.amdhsa_user_sgpr_flat_scratch_init 0
		.amdhsa_user_sgpr_private_segment_size 0
		.amdhsa_wavefront_size32 1
		.amdhsa_uses_dynamic_stack 0
		.amdhsa_system_sgpr_private_segment_wavefront_offset 0
		.amdhsa_system_sgpr_workgroup_id_x 1
		.amdhsa_system_sgpr_workgroup_id_y 0
		.amdhsa_system_sgpr_workgroup_id_z 0
		.amdhsa_system_sgpr_workgroup_info 0
		.amdhsa_system_vgpr_workitem_id 0
		.amdhsa_next_free_vgpr 74
		.amdhsa_next_free_sgpr 16
		.amdhsa_reserve_vcc 1
		.amdhsa_reserve_flat_scratch 0
		.amdhsa_float_round_mode_32 0
		.amdhsa_float_round_mode_16_64 0
		.amdhsa_float_denorm_mode_32 3
		.amdhsa_float_denorm_mode_16_64 3
		.amdhsa_dx10_clamp 1
		.amdhsa_ieee_mode 1
		.amdhsa_fp16_overflow 0
		.amdhsa_workgroup_processor_mode 1
		.amdhsa_memory_ordered 1
		.amdhsa_forward_progress 1
		.amdhsa_shared_vgpr_count 0
		.amdhsa_exception_fp_ieee_invalid_op 0
		.amdhsa_exception_fp_denorm_src 0
		.amdhsa_exception_fp_ieee_div_zero 0
		.amdhsa_exception_fp_ieee_overflow 0
		.amdhsa_exception_fp_ieee_underflow 0
		.amdhsa_exception_fp_ieee_inexact 0
		.amdhsa_exception_int_div_zero 0
	.end_amdhsa_kernel
	.section	.text._ZN9rocsparseL19gebsrmvn_3xn_kernelILj128ELj7ELj8E21rocsparse_complex_numIdEEEvi20rocsparse_direction_NS_24const_host_device_scalarIT2_EEPKiS8_PKS5_SA_S6_PS5_21rocsparse_index_base_b,"axG",@progbits,_ZN9rocsparseL19gebsrmvn_3xn_kernelILj128ELj7ELj8E21rocsparse_complex_numIdEEEvi20rocsparse_direction_NS_24const_host_device_scalarIT2_EEPKiS8_PKS5_SA_S6_PS5_21rocsparse_index_base_b,comdat
.Lfunc_end137:
	.size	_ZN9rocsparseL19gebsrmvn_3xn_kernelILj128ELj7ELj8E21rocsparse_complex_numIdEEEvi20rocsparse_direction_NS_24const_host_device_scalarIT2_EEPKiS8_PKS5_SA_S6_PS5_21rocsparse_index_base_b, .Lfunc_end137-_ZN9rocsparseL19gebsrmvn_3xn_kernelILj128ELj7ELj8E21rocsparse_complex_numIdEEEvi20rocsparse_direction_NS_24const_host_device_scalarIT2_EEPKiS8_PKS5_SA_S6_PS5_21rocsparse_index_base_b
                                        ; -- End function
	.set _ZN9rocsparseL19gebsrmvn_3xn_kernelILj128ELj7ELj8E21rocsparse_complex_numIdEEEvi20rocsparse_direction_NS_24const_host_device_scalarIT2_EEPKiS8_PKS5_SA_S6_PS5_21rocsparse_index_base_b.num_vgpr, 74
	.set _ZN9rocsparseL19gebsrmvn_3xn_kernelILj128ELj7ELj8E21rocsparse_complex_numIdEEEvi20rocsparse_direction_NS_24const_host_device_scalarIT2_EEPKiS8_PKS5_SA_S6_PS5_21rocsparse_index_base_b.num_agpr, 0
	.set _ZN9rocsparseL19gebsrmvn_3xn_kernelILj128ELj7ELj8E21rocsparse_complex_numIdEEEvi20rocsparse_direction_NS_24const_host_device_scalarIT2_EEPKiS8_PKS5_SA_S6_PS5_21rocsparse_index_base_b.numbered_sgpr, 16
	.set _ZN9rocsparseL19gebsrmvn_3xn_kernelILj128ELj7ELj8E21rocsparse_complex_numIdEEEvi20rocsparse_direction_NS_24const_host_device_scalarIT2_EEPKiS8_PKS5_SA_S6_PS5_21rocsparse_index_base_b.num_named_barrier, 0
	.set _ZN9rocsparseL19gebsrmvn_3xn_kernelILj128ELj7ELj8E21rocsparse_complex_numIdEEEvi20rocsparse_direction_NS_24const_host_device_scalarIT2_EEPKiS8_PKS5_SA_S6_PS5_21rocsparse_index_base_b.private_seg_size, 0
	.set _ZN9rocsparseL19gebsrmvn_3xn_kernelILj128ELj7ELj8E21rocsparse_complex_numIdEEEvi20rocsparse_direction_NS_24const_host_device_scalarIT2_EEPKiS8_PKS5_SA_S6_PS5_21rocsparse_index_base_b.uses_vcc, 1
	.set _ZN9rocsparseL19gebsrmvn_3xn_kernelILj128ELj7ELj8E21rocsparse_complex_numIdEEEvi20rocsparse_direction_NS_24const_host_device_scalarIT2_EEPKiS8_PKS5_SA_S6_PS5_21rocsparse_index_base_b.uses_flat_scratch, 0
	.set _ZN9rocsparseL19gebsrmvn_3xn_kernelILj128ELj7ELj8E21rocsparse_complex_numIdEEEvi20rocsparse_direction_NS_24const_host_device_scalarIT2_EEPKiS8_PKS5_SA_S6_PS5_21rocsparse_index_base_b.has_dyn_sized_stack, 0
	.set _ZN9rocsparseL19gebsrmvn_3xn_kernelILj128ELj7ELj8E21rocsparse_complex_numIdEEEvi20rocsparse_direction_NS_24const_host_device_scalarIT2_EEPKiS8_PKS5_SA_S6_PS5_21rocsparse_index_base_b.has_recursion, 0
	.set _ZN9rocsparseL19gebsrmvn_3xn_kernelILj128ELj7ELj8E21rocsparse_complex_numIdEEEvi20rocsparse_direction_NS_24const_host_device_scalarIT2_EEPKiS8_PKS5_SA_S6_PS5_21rocsparse_index_base_b.has_indirect_call, 0
	.section	.AMDGPU.csdata,"",@progbits
; Kernel info:
; codeLenInByte = 4196
; TotalNumSgprs: 18
; NumVgprs: 74
; ScratchSize: 0
; MemoryBound: 0
; FloatMode: 240
; IeeeMode: 1
; LDSByteSize: 0 bytes/workgroup (compile time only)
; SGPRBlocks: 0
; VGPRBlocks: 9
; NumSGPRsForWavesPerEU: 18
; NumVGPRsForWavesPerEU: 74
; Occupancy: 12
; WaveLimiterHint : 1
; COMPUTE_PGM_RSRC2:SCRATCH_EN: 0
; COMPUTE_PGM_RSRC2:USER_SGPR: 6
; COMPUTE_PGM_RSRC2:TRAP_HANDLER: 0
; COMPUTE_PGM_RSRC2:TGID_X_EN: 1
; COMPUTE_PGM_RSRC2:TGID_Y_EN: 0
; COMPUTE_PGM_RSRC2:TGID_Z_EN: 0
; COMPUTE_PGM_RSRC2:TIDIG_COMP_CNT: 0
	.section	.text._ZN9rocsparseL19gebsrmvn_3xn_kernelILj128ELj7ELj16E21rocsparse_complex_numIdEEEvi20rocsparse_direction_NS_24const_host_device_scalarIT2_EEPKiS8_PKS5_SA_S6_PS5_21rocsparse_index_base_b,"axG",@progbits,_ZN9rocsparseL19gebsrmvn_3xn_kernelILj128ELj7ELj16E21rocsparse_complex_numIdEEEvi20rocsparse_direction_NS_24const_host_device_scalarIT2_EEPKiS8_PKS5_SA_S6_PS5_21rocsparse_index_base_b,comdat
	.globl	_ZN9rocsparseL19gebsrmvn_3xn_kernelILj128ELj7ELj16E21rocsparse_complex_numIdEEEvi20rocsparse_direction_NS_24const_host_device_scalarIT2_EEPKiS8_PKS5_SA_S6_PS5_21rocsparse_index_base_b ; -- Begin function _ZN9rocsparseL19gebsrmvn_3xn_kernelILj128ELj7ELj16E21rocsparse_complex_numIdEEEvi20rocsparse_direction_NS_24const_host_device_scalarIT2_EEPKiS8_PKS5_SA_S6_PS5_21rocsparse_index_base_b
	.p2align	8
	.type	_ZN9rocsparseL19gebsrmvn_3xn_kernelILj128ELj7ELj16E21rocsparse_complex_numIdEEEvi20rocsparse_direction_NS_24const_host_device_scalarIT2_EEPKiS8_PKS5_SA_S6_PS5_21rocsparse_index_base_b,@function
_ZN9rocsparseL19gebsrmvn_3xn_kernelILj128ELj7ELj16E21rocsparse_complex_numIdEEEvi20rocsparse_direction_NS_24const_host_device_scalarIT2_EEPKiS8_PKS5_SA_S6_PS5_21rocsparse_index_base_b: ; @_ZN9rocsparseL19gebsrmvn_3xn_kernelILj128ELj7ELj16E21rocsparse_complex_numIdEEEvi20rocsparse_direction_NS_24const_host_device_scalarIT2_EEPKiS8_PKS5_SA_S6_PS5_21rocsparse_index_base_b
; %bb.0:
	s_clause 0x1
	s_load_dwordx2 s[2:3], s[4:5], 0x50
	s_load_dwordx2 s[0:1], s[4:5], 0x8
	s_add_u32 s7, s4, 8
	s_addc_u32 s10, s5, 0
	s_add_u32 s11, s4, 56
	s_addc_u32 s12, s5, 0
	s_load_dwordx2 s[8:9], s[4:5], 0x38
	s_waitcnt lgkmcnt(0)
	s_bitcmp1_b32 s3, 0
	s_cselect_b32 s0, s7, s0
	s_cselect_b32 s1, s10, s1
	v_mov_b32_e32 v1, s0
	v_mov_b32_e32 v2, s1
	s_cselect_b32 s0, s11, s8
	s_cselect_b32 s1, s12, s9
	v_mov_b32_e32 v5, s0
	v_mov_b32_e32 v6, s1
	flat_load_dwordx4 v[1:4], v[1:2]
	flat_load_dwordx4 v[5:8], v[5:6]
	s_waitcnt vmcnt(1) lgkmcnt(1)
	v_cmp_eq_f64_e32 vcc_lo, 0, v[1:2]
	v_cmp_eq_f64_e64 s0, 0, v[3:4]
	s_and_b32 s3, vcc_lo, s0
	s_mov_b32 s0, -1
	s_and_saveexec_b32 s1, s3
	s_cbranch_execz .LBB138_2
; %bb.1:
	s_waitcnt vmcnt(0) lgkmcnt(0)
	v_cmp_neq_f64_e32 vcc_lo, 1.0, v[5:6]
	v_cmp_neq_f64_e64 s0, 0, v[7:8]
	s_or_b32 s0, vcc_lo, s0
	s_orn2_b32 s0, s0, exec_lo
.LBB138_2:
	s_or_b32 exec_lo, exec_lo, s1
	s_and_saveexec_b32 s1, s0
	s_cbranch_execz .LBB138_25
; %bb.3:
	s_load_dwordx2 s[0:1], s[4:5], 0x0
	v_lshrrev_b32_e32 v9, 4, v0
	v_lshl_or_b32 v9, s6, 3, v9
	s_waitcnt lgkmcnt(0)
	v_cmp_gt_i32_e32 vcc_lo, s0, v9
	s_and_b32 exec_lo, exec_lo, vcc_lo
	s_cbranch_execz .LBB138_25
; %bb.4:
	s_load_dwordx8 s[8:15], s[4:5], 0x18
	v_ashrrev_i32_e32 v10, 31, v9
	v_and_b32_e32 v0, 15, v0
	s_cmp_lg_u32 s1, 0
	v_lshlrev_b64 v[10:11], 2, v[9:10]
	s_waitcnt lgkmcnt(0)
	v_add_co_u32 v10, vcc_lo, s8, v10
	v_add_co_ci_u32_e64 v11, null, s9, v11, vcc_lo
	global_load_dwordx2 v[11:12], v[10:11], off
	s_waitcnt vmcnt(0)
	v_subrev_nc_u32_e32 v10, s2, v11
	v_subrev_nc_u32_e32 v39, s2, v12
	v_add_nc_u32_e32 v10, v10, v0
	v_cmp_lt_i32_e64 s0, v10, v39
	s_cbranch_scc0 .LBB138_12
; %bb.5:
	v_mov_b32_e32 v12, 0
	v_mov_b32_e32 v20, 0
	;; [unrolled: 1-line block ×12, first 2 shown]
	s_and_saveexec_b32 s1, s0
	s_cbranch_execz .LBB138_14
; %bb.6:
	v_mul_lo_u32 v11, v11, 21
	v_mul_lo_u32 v40, v10, 21
	s_mul_i32 s3, s2, 21
	v_mov_b32_e32 v12, 0
	v_mov_b32_e32 v20, 0
	;; [unrolled: 1-line block ×5, first 2 shown]
	v_mad_u32_u24 v11, v0, 21, v11
	v_mov_b32_e32 v22, 0
	v_mov_b32_e32 v13, 0
	v_mov_b32_e32 v25, 0
	v_mov_b32_e32 v21, 0
	v_mov_b32_e32 v15, 0
	v_mov_b32_e32 v17, 0
	v_mov_b32_e32 v19, 0
	v_mov_b32_e32 v23, 0
	v_subrev_nc_u32_e32 v41, s3, v11
	v_mov_b32_e32 v26, v10
	s_mov_b32 s3, 0
	s_branch .LBB138_8
.LBB138_7:                              ;   in Loop: Header=BB138_8 Depth=1
	v_add_nc_u32_e32 v26, 16, v26
	v_add_nc_u32_e32 v40, 0x150, v40
	;; [unrolled: 1-line block ×3, first 2 shown]
	v_cmp_ge_i32_e32 vcc_lo, v26, v39
	s_or_b32 s3, vcc_lo, s3
	s_andn2_b32 exec_lo, exec_lo, s3
	s_cbranch_execz .LBB138_13
.LBB138_8:                              ; =>This Loop Header: Depth=1
                                        ;     Child Loop BB138_10 Depth 2
	v_ashrrev_i32_e32 v27, 31, v26
	v_mov_b32_e32 v32, v13
	v_mov_b32_e32 v34, v21
	;; [unrolled: 1-line block ×4, first 2 shown]
	v_lshlrev_b64 v[27:28], 2, v[26:27]
	v_mov_b32_e32 v38, v23
	v_mov_b32_e32 v31, v12
	;; [unrolled: 1-line block ×5, first 2 shown]
	v_add_co_u32 v27, vcc_lo, s10, v27
	v_add_co_ci_u32_e64 v28, null, s11, v28, vcc_lo
	v_mov_b32_e32 v37, v22
	s_mov_b32 s6, 0
	global_load_dword v11, v[27:28], off
	v_mov_b32_e32 v28, v17
	v_mov_b32_e32 v27, v16
	s_waitcnt vmcnt(0)
	v_subrev_nc_u32_e32 v11, s2, v11
	v_mul_lo_u32 v11, v11, 7
	s_branch .LBB138_10
.LBB138_9:                              ;   in Loop: Header=BB138_8 Depth=1
                                        ; implicit-def: $vgpr37_vgpr38
                                        ; implicit-def: $vgpr35_vgpr36
                                        ; implicit-def: $vgpr27_vgpr28
                                        ; implicit-def: $vgpr29_vgpr30
                                        ; implicit-def: $vgpr33_vgpr34
                                        ; implicit-def: $vgpr31_vgpr32
                                        ; implicit-def: $sgpr6
                                        ; implicit-def: $vgpr11
	s_branch .LBB138_7
.LBB138_10:                             ;   Parent Loop BB138_8 Depth=1
                                        ; =>  This Inner Loop Header: Depth=2
	v_add_nc_u32_e32 v24, s6, v41
	v_add_nc_u32_e32 v42, s6, v40
	v_mov_b32_e32 v12, v25
	s_cmp_eq_u32 s6, 18
	v_lshlrev_b64 v[13:14], 4, v[24:25]
	v_add_nc_u32_e32 v24, 1, v42
	v_lshlrev_b64 v[15:16], 4, v[11:12]
	v_lshlrev_b64 v[17:18], 4, v[24:25]
	v_add_nc_u32_e32 v24, 2, v42
	v_add_co_u32 v12, vcc_lo, s12, v13
	v_add_co_ci_u32_e64 v13, null, s13, v14, vcc_lo
	v_lshlrev_b64 v[21:22], 4, v[24:25]
	v_add_co_u32 v19, vcc_lo, s14, v15
	v_add_co_ci_u32_e64 v20, null, s15, v16, vcc_lo
	v_add_co_u32 v16, vcc_lo, s12, v17
	v_add_co_ci_u32_e64 v17, null, s13, v18, vcc_lo
	;; [unrolled: 2-line block ×3, first 2 shown]
	global_load_dwordx4 v[12:15], v[12:13], off
	global_load_dwordx4 v[43:46], v[19:20], off
	s_clause 0x1
	global_load_dwordx4 v[16:19], v[16:17], off
	global_load_dwordx4 v[47:50], v[21:22], off
	s_waitcnt vmcnt(2)
	v_fma_f64 v[20:21], v[12:13], v[43:44], v[33:34]
	v_fma_f64 v[22:23], v[14:15], v[43:44], v[31:32]
	s_waitcnt vmcnt(1)
	v_fma_f64 v[31:32], v[16:17], v[43:44], v[35:36]
	v_fma_f64 v[33:34], v[18:19], v[43:44], v[37:38]
	;; [unrolled: 3-line block ×3, first 2 shown]
	v_fma_f64 v[20:21], -v[14:15], v[45:46], v[20:21]
	v_fma_f64 v[12:13], v[12:13], v[45:46], v[22:23]
	v_fma_f64 v[18:19], -v[18:19], v[45:46], v[31:32]
	v_fma_f64 v[22:23], v[16:17], v[45:46], v[33:34]
	;; [unrolled: 2-line block ×3, first 2 shown]
	s_cbranch_scc1 .LBB138_9
; %bb.11:                               ;   in Loop: Header=BB138_10 Depth=2
	v_add_nc_u32_e32 v24, 3, v42
	s_add_i32 s6, s6, 6
	v_lshlrev_b64 v[27:28], 4, v[24:25]
	v_add_nc_u32_e32 v24, 1, v11
	v_add_nc_u32_e32 v11, 2, v11
	v_lshlrev_b64 v[31:32], 4, v[24:25]
	v_add_nc_u32_e32 v24, 4, v42
	v_add_co_u32 v27, vcc_lo, s12, v27
	v_add_co_ci_u32_e64 v28, null, s13, v28, vcc_lo
	v_lshlrev_b64 v[33:34], 4, v[24:25]
	v_add_nc_u32_e32 v24, 5, v42
	v_add_co_u32 v31, vcc_lo, s14, v31
	v_add_co_ci_u32_e64 v32, null, s15, v32, vcc_lo
	v_lshlrev_b64 v[35:36], 4, v[24:25]
	v_add_co_u32 v33, vcc_lo, s12, v33
	v_add_co_ci_u32_e64 v34, null, s13, v34, vcc_lo
	global_load_dwordx4 v[27:30], v[27:28], off
	v_add_co_u32 v35, vcc_lo, s12, v35
	v_add_co_ci_u32_e64 v36, null, s13, v36, vcc_lo
	global_load_dwordx4 v[42:45], v[31:32], off
	s_clause 0x1
	global_load_dwordx4 v[46:49], v[33:34], off
	global_load_dwordx4 v[50:53], v[35:36], off
	s_waitcnt vmcnt(2)
	v_fma_f64 v[31:32], v[27:28], v[42:43], v[20:21]
	v_fma_f64 v[35:36], v[29:30], v[42:43], v[12:13]
	s_waitcnt vmcnt(1)
	v_fma_f64 v[37:38], v[46:47], v[42:43], v[18:19]
	v_fma_f64 v[54:55], v[48:49], v[42:43], v[22:23]
	;; [unrolled: 3-line block ×3, first 2 shown]
	v_fma_f64 v[33:34], -v[29:30], v[44:45], v[31:32]
	v_fma_f64 v[31:32], v[27:28], v[44:45], v[35:36]
	v_fma_f64 v[35:36], -v[48:49], v[44:45], v[37:38]
	v_fma_f64 v[37:38], v[46:47], v[44:45], v[54:55]
	;; [unrolled: 2-line block ×3, first 2 shown]
	s_cbranch_execnz .LBB138_10
	s_branch .LBB138_7
.LBB138_12:
                                        ; implicit-def: $vgpr12_vgpr13
                                        ; implicit-def: $vgpr20_vgpr21
                                        ; implicit-def: $vgpr14_vgpr15
                                        ; implicit-def: $vgpr16_vgpr17
                                        ; implicit-def: $vgpr18_vgpr19
                                        ; implicit-def: $vgpr22_vgpr23
	s_branch .LBB138_15
.LBB138_13:
	s_or_b32 exec_lo, exec_lo, s3
.LBB138_14:
	s_or_b32 exec_lo, exec_lo, s1
	s_cbranch_execnz .LBB138_20
.LBB138_15:
	v_mov_b32_e32 v12, 0
	v_mov_b32_e32 v20, 0
	;; [unrolled: 1-line block ×12, first 2 shown]
	s_and_saveexec_b32 s1, s0
	s_cbranch_execz .LBB138_19
; %bb.16:
	v_mad_u64_u32 v[24:25], null, v10, 21, 20
	v_mov_b32_e32 v12, 0
	v_mov_b32_e32 v20, 0
	;; [unrolled: 1-line block ×13, first 2 shown]
	s_mov_b32 s0, 0
.LBB138_17:                             ; =>This Inner Loop Header: Depth=1
	v_ashrrev_i32_e32 v11, 31, v10
	v_subrev_nc_u32_e32 v26, 20, v24
	v_add_nc_u32_e32 v30, -13, v24
	v_mov_b32_e32 v31, v27
	v_add_nc_u32_e32 v32, -6, v24
	v_lshlrev_b64 v[36:37], 2, v[10:11]
	v_mov_b32_e32 v33, v27
	v_lshlrev_b64 v[34:35], 4, v[26:27]
	v_mov_b32_e32 v25, v27
	v_lshlrev_b64 v[30:31], 4, v[30:31]
	v_subrev_nc_u32_e32 v26, 19, v24
	v_add_co_u32 v36, vcc_lo, s10, v36
	v_add_co_ci_u32_e64 v37, null, s11, v37, vcc_lo
	v_lshlrev_b64 v[32:33], 4, v[32:33]
	v_mov_b32_e32 v29, v27
	v_lshlrev_b64 v[40:41], 4, v[24:25]
	global_load_dword v11, v[36:37], off
	v_add_co_u32 v34, vcc_lo, s12, v34
	v_lshlrev_b64 v[25:26], 4, v[26:27]
	v_add_co_ci_u32_e64 v35, null, s13, v35, vcc_lo
	v_add_co_u32 v42, vcc_lo, s12, v30
	v_add_co_ci_u32_e64 v43, null, s13, v31, vcc_lo
	v_add_co_u32 v44, vcc_lo, s12, v32
	;; [unrolled: 2-line block ×4, first 2 shown]
	v_add_co_ci_u32_e64 v26, null, s13, v26, vcc_lo
	s_clause 0x4
	global_load_dwordx4 v[30:33], v[34:35], off
	global_load_dwordx4 v[34:37], v[42:43], off
	;; [unrolled: 1-line block ×5, first 2 shown]
	v_add_nc_u32_e32 v10, 16, v10
	s_waitcnt vmcnt(5)
	v_subrev_nc_u32_e32 v11, s2, v11
	v_mul_lo_u32 v28, v11, 7
	v_lshlrev_b64 v[52:53], 4, v[28:29]
	v_add_nc_u32_e32 v26, 1, v28
	v_lshlrev_b64 v[56:57], 4, v[26:27]
	v_add_co_u32 v52, vcc_lo, s14, v52
	v_add_co_ci_u32_e64 v53, null, s15, v53, vcc_lo
	v_add_nc_u32_e32 v26, -12, v24
	v_add_co_u32 v56, vcc_lo, s14, v56
	global_load_dwordx4 v[52:55], v[52:53], off
	v_add_co_ci_u32_e64 v57, null, s15, v57, vcc_lo
	v_lshlrev_b64 v[60:61], 4, v[26:27]
	v_add_nc_u32_e32 v26, -5, v24
	global_load_dwordx4 v[56:59], v[56:57], off
	v_lshlrev_b64 v[62:63], 4, v[26:27]
	v_add_co_u32 v60, vcc_lo, s12, v60
	v_add_co_ci_u32_e64 v61, null, s13, v61, vcc_lo
	v_subrev_nc_u32_e32 v26, 18, v24
	v_add_co_u32 v66, vcc_lo, s12, v62
	v_add_co_ci_u32_e64 v67, null, s13, v63, vcc_lo
	global_load_dwordx4 v[60:63], v[60:61], off
	v_lshlrev_b64 v[64:65], 4, v[26:27]
	v_add_nc_u32_e32 v26, 2, v28
	v_lshlrev_b64 v[68:69], 4, v[26:27]
	v_add_co_u32 v64, vcc_lo, s12, v64
	v_add_co_ci_u32_e64 v65, null, s13, v65, vcc_lo
	v_add_nc_u32_e32 v26, -11, v24
	s_waitcnt vmcnt(2)
	v_fma_f64 v[20:21], v[30:31], v[52:53], v[20:21]
	v_fma_f64 v[11:12], v[32:33], v[52:53], v[12:13]
	;; [unrolled: 1-line block ×5, first 2 shown]
	v_fma_f64 v[70:71], -v[32:33], v[54:55], v[20:21]
	v_fma_f64 v[72:73], v[30:31], v[54:55], v[11:12]
	global_load_dwordx4 v[29:32], v[66:67], off
	v_fma_f64 v[20:21], v[36:37], v[52:53], v[22:23]
	v_add_co_u32 v11, vcc_lo, s14, v68
	v_add_co_ci_u32_e64 v12, null, s15, v69, vcc_lo
	v_fma_f64 v[22:23], -v[36:37], v[54:55], v[18:19]
	v_fma_f64 v[52:53], -v[42:43], v[54:55], v[13:14]
	v_lshlrev_b64 v[66:67], 4, v[26:27]
	global_load_dwordx4 v[11:14], v[11:12], off
	v_add_nc_u32_e32 v26, -4, v24
	v_fma_f64 v[15:16], v[40:41], v[54:55], v[15:16]
	s_waitcnt vmcnt(3)
	v_fma_f64 v[42:43], v[48:49], v[56:57], v[70:71]
	v_fma_f64 v[37:38], v[34:35], v[54:55], v[20:21]
	global_load_dwordx4 v[18:21], v[64:65], off
	v_lshlrev_b64 v[33:34], 4, v[26:27]
	v_add_co_u32 v35, vcc_lo, s12, v66
	v_add_co_ci_u32_e64 v36, null, s13, v67, vcc_lo
	v_fma_f64 v[66:67], v[50:51], v[56:57], v[72:73]
	v_add_co_u32 v40, vcc_lo, s12, v33
	v_add_co_ci_u32_e64 v41, null, s13, v34, vcc_lo
	global_load_dwordx4 v[33:36], v[35:36], off
	v_subrev_nc_u32_e32 v26, 17, v24
	s_waitcnt vmcnt(4)
	v_fma_f64 v[22:23], v[60:61], v[56:57], v[22:23]
	v_lshlrev_b64 v[54:55], 4, v[26:27]
	v_fma_f64 v[68:69], -v[50:51], v[58:59], v[42:43]
	global_load_dwordx4 v[40:43], v[40:41], off
	v_add_nc_u32_e32 v26, 3, v28
	v_fma_f64 v[37:38], v[62:63], v[56:57], v[37:38]
	v_lshlrev_b64 v[64:65], 4, v[26:27]
	v_add_nc_u32_e32 v26, -10, v24
	v_fma_f64 v[66:67], v[48:49], v[58:59], v[66:67]
	v_add_co_u32 v48, vcc_lo, s12, v54
	v_add_co_ci_u32_e64 v49, null, s13, v55, vcc_lo
	v_add_co_u32 v54, vcc_lo, s14, v64
	v_add_co_ci_u32_e64 v55, null, s15, v65, vcc_lo
	v_lshlrev_b64 v[64:65], 4, v[26:27]
	v_fma_f64 v[22:23], -v[62:63], v[58:59], v[22:23]
	global_load_dwordx4 v[48:51], v[48:49], off
	v_add_nc_u32_e32 v26, -3, v24
	v_fma_f64 v[37:38], v[60:61], v[58:59], v[37:38]
	v_lshlrev_b64 v[60:61], 4, v[26:27]
	v_add_nc_u32_e32 v26, -16, v24
	v_lshlrev_b64 v[62:63], 4, v[26:27]
	v_add_nc_u32_e32 v26, 4, v28
	s_waitcnt vmcnt(5)
	v_fma_f64 v[52:53], v[29:30], v[56:57], v[52:53]
	v_fma_f64 v[15:16], v[31:32], v[56:57], v[15:16]
	v_fma_f64 v[56:57], -v[31:32], v[58:59], v[52:53]
	v_fma_f64 v[58:59], v[29:30], v[58:59], v[15:16]
	v_add_co_u32 v15, vcc_lo, s12, v64
	v_add_co_ci_u32_e64 v16, null, s13, v65, vcc_lo
	global_load_dwordx4 v[29:32], v[54:55], off
	s_waitcnt vmcnt(4)
	v_fma_f64 v[66:67], v[20:21], v[11:12], v[66:67]
	v_add_co_u32 v60, vcc_lo, s12, v60
	global_load_dwordx4 v[52:55], v[15:16], off
	v_fma_f64 v[15:16], v[18:19], v[11:12], v[68:69]
	v_add_co_ci_u32_e64 v61, null, s13, v61, vcc_lo
	v_add_co_u32 v62, vcc_lo, s12, v62
	v_lshlrev_b64 v[64:65], 4, v[26:27]
	v_add_co_ci_u32_e64 v63, null, s13, v63, vcc_lo
	v_add_nc_u32_e32 v26, -9, v24
	v_fma_f64 v[66:67], v[18:19], v[13:14], v[66:67]
	v_fma_f64 v[68:69], -v[20:21], v[13:14], v[15:16]
	s_waitcnt vmcnt(4)
	v_fma_f64 v[19:20], v[33:34], v[11:12], v[22:23]
	v_fma_f64 v[21:22], v[35:36], v[11:12], v[37:38]
	global_load_dwordx4 v[15:18], v[60:61], off
	v_fma_f64 v[37:38], -v[35:36], v[13:14], v[19:20]
	v_fma_f64 v[70:71], v[33:34], v[13:14], v[21:22]
	s_waitcnt vmcnt(4)
	v_fma_f64 v[33:34], v[40:41], v[11:12], v[56:57]
	v_fma_f64 v[11:12], v[42:43], v[11:12], v[58:59]
	global_load_dwordx4 v[19:22], v[62:63], off
	v_add_co_u32 v60, vcc_lo, s14, v64
	v_add_co_ci_u32_e64 v61, null, s15, v65, vcc_lo
	v_lshlrev_b64 v[64:65], 4, v[26:27]
	v_add_nc_u32_e32 v26, -2, v24
	v_lshlrev_b64 v[62:63], 4, v[26:27]
	v_add_nc_u32_e32 v26, -15, v24
	v_fma_f64 v[56:57], -v[42:43], v[13:14], v[33:34]
	v_fma_f64 v[58:59], v[40:41], v[13:14], v[11:12]
	global_load_dwordx4 v[11:14], v[60:61], off
	v_add_co_u32 v33, vcc_lo, s12, v64
	v_add_co_ci_u32_e64 v34, null, s13, v65, vcc_lo
	v_lshlrev_b64 v[40:41], 4, v[26:27]
	v_add_co_u32 v42, vcc_lo, s12, v62
	global_load_dwordx4 v[33:36], v[33:34], off
	v_add_co_ci_u32_e64 v43, null, s13, v63, vcc_lo
	v_add_co_u32 v60, vcc_lo, s12, v40
	v_add_co_ci_u32_e64 v61, null, s13, v41, vcc_lo
	v_add_nc_u32_e32 v26, 5, v28
	v_lshlrev_b64 v[62:63], 4, v[26:27]
	v_add_nc_u32_e32 v26, -8, v24
	v_add_co_u32 v62, vcc_lo, s14, v62
	v_add_co_ci_u32_e64 v63, null, s15, v63, vcc_lo
	s_waitcnt vmcnt(5)
	v_fma_f64 v[40:41], v[48:49], v[29:30], v[68:69]
	v_fma_f64 v[64:65], v[50:51], v[29:30], v[66:67]
	v_lshlrev_b64 v[68:69], 4, v[26:27]
	v_add_nc_u32_e32 v26, -1, v24
	s_waitcnt vmcnt(4)
	v_fma_f64 v[37:38], v[52:53], v[29:30], v[37:38]
	v_fma_f64 v[66:67], -v[50:51], v[31:32], v[40:41]
	v_fma_f64 v[64:65], v[48:49], v[31:32], v[64:65]
	v_fma_f64 v[48:49], v[54:55], v[29:30], v[70:71]
	global_load_dwordx4 v[40:43], v[42:43], off
	v_fma_f64 v[37:38], -v[54:55], v[31:32], v[37:38]
	v_lshlrev_b64 v[54:55], 4, v[26:27]
	v_add_nc_u32_e32 v26, -14, v24
	s_waitcnt vmcnt(4)
	v_fma_f64 v[56:57], v[15:16], v[29:30], v[56:57]
	v_fma_f64 v[29:30], v[17:18], v[29:30], v[58:59]
	;; [unrolled: 1-line block ×3, first 2 shown]
	global_load_dwordx4 v[48:51], v[60:61], off
	v_add_co_u32 v52, vcc_lo, s12, v68
	v_add_co_ci_u32_e64 v53, null, s13, v69, vcc_lo
	v_fma_f64 v[68:69], -v[17:18], v[31:32], v[56:57]
	v_lshlrev_b64 v[56:57], 4, v[26:27]
	v_add_nc_u32_e32 v26, 6, v28
	v_add_co_u32 v54, vcc_lo, s12, v54
	v_add_co_ci_u32_e64 v55, null, s13, v55, vcc_lo
	v_lshlrev_b64 v[58:59], 4, v[26:27]
	v_add_co_u32 v56, vcc_lo, s12, v56
	v_add_co_ci_u32_e64 v57, null, s13, v57, vcc_lo
	v_fma_f64 v[72:73], v[15:16], v[31:32], v[29:30]
	global_load_dwordx4 v[15:18], v[62:63], off
	global_load_dwordx4 v[28:31], v[52:53], off
	v_add_nc_u32_e32 v26, -7, v24
	v_add_nc_u32_e32 v24, 0x150, v24
	v_lshlrev_b64 v[25:26], 4, v[26:27]
	s_waitcnt vmcnt(5)
	v_fma_f64 v[60:61], v[19:20], v[11:12], v[66:67]
	v_fma_f64 v[62:63], v[21:22], v[11:12], v[64:65]
	s_waitcnt vmcnt(4)
	v_fma_f64 v[37:38], v[33:34], v[11:12], v[37:38]
	v_fma_f64 v[21:22], -v[21:22], v[13:14], v[60:61]
	v_add_co_u32 v60, vcc_lo, s14, v58
	v_add_co_ci_u32_e64 v61, null, s15, v59, vcc_lo
	s_clause 0x1
	global_load_dwordx4 v[56:59], v[56:57], off
	global_load_dwordx4 v[52:55], v[54:55], off
	v_fma_f64 v[19:20], v[19:20], v[13:14], v[62:63]
	v_fma_f64 v[62:63], v[35:36], v[11:12], v[70:71]
	v_add_co_u32 v25, vcc_lo, s12, v25
	v_add_co_ci_u32_e64 v26, null, s13, v26, vcc_lo
	v_fma_f64 v[36:37], -v[35:36], v[13:14], v[37:38]
	v_cmp_ge_i32_e32 vcc_lo, v10, v39
	s_or_b32 s0, vcc_lo, s0
	v_fma_f64 v[64:65], v[33:34], v[13:14], v[62:63]
	global_load_dwordx4 v[32:35], v[60:61], off
	global_load_dwordx4 v[60:63], v[25:26], off
	s_waitcnt vmcnt(7)
	v_fma_f64 v[25:26], v[40:41], v[11:12], v[68:69]
	v_fma_f64 v[11:12], v[42:43], v[11:12], v[72:73]
	v_fma_f64 v[25:26], -v[42:43], v[13:14], v[25:26]
	v_fma_f64 v[11:12], v[40:41], v[13:14], v[11:12]
	s_waitcnt vmcnt(5)
	v_fma_f64 v[13:14], v[48:49], v[15:16], v[21:22]
	v_fma_f64 v[19:20], v[50:51], v[15:16], v[19:20]
	s_waitcnt vmcnt(4)
	v_fma_f64 v[21:22], v[28:29], v[15:16], v[36:37]
	v_fma_f64 v[36:37], v[30:31], v[15:16], v[64:65]
	v_fma_f64 v[13:14], -v[50:51], v[17:18], v[13:14]
	s_waitcnt vmcnt(2)
	v_fma_f64 v[25:26], v[52:53], v[15:16], v[25:26]
	v_fma_f64 v[11:12], v[54:55], v[15:16], v[11:12]
	;; [unrolled: 1-line block ×3, first 2 shown]
	v_fma_f64 v[19:20], -v[30:31], v[17:18], v[21:22]
	v_fma_f64 v[21:22], v[28:29], v[17:18], v[36:37]
	v_fma_f64 v[25:26], -v[54:55], v[17:18], v[25:26]
	v_fma_f64 v[11:12], v[52:53], v[17:18], v[11:12]
	s_waitcnt vmcnt(1)
	v_fma_f64 v[13:14], v[56:57], v[32:33], v[13:14]
	v_fma_f64 v[15:16], v[58:59], v[32:33], v[15:16]
	s_waitcnt vmcnt(0)
	v_fma_f64 v[17:18], v[60:61], v[32:33], v[19:20]
	v_fma_f64 v[22:23], v[62:63], v[32:33], v[21:22]
	v_fma_f64 v[25:26], v[44:45], v[32:33], v[25:26]
	v_fma_f64 v[28:29], v[46:47], v[32:33], v[11:12]
	v_fma_f64 v[20:21], -v[58:59], v[34:35], v[13:14]
	v_fma_f64 v[12:13], v[56:57], v[34:35], v[15:16]
	v_fma_f64 v[18:19], -v[62:63], v[34:35], v[17:18]
	v_fma_f64 v[22:23], v[60:61], v[34:35], v[22:23]
	;; [unrolled: 2-line block ×3, first 2 shown]
	s_andn2_b32 exec_lo, exec_lo, s0
	s_cbranch_execnz .LBB138_17
; %bb.18:
	s_or_b32 exec_lo, exec_lo, s0
.LBB138_19:
	s_or_b32 exec_lo, exec_lo, s1
.LBB138_20:
	v_mbcnt_lo_u32_b32 v34, -1, 0
	v_xor_b32_e32 v10, 8, v34
	v_cmp_gt_i32_e32 vcc_lo, 32, v10
	v_cndmask_b32_e32 v10, v34, v10, vcc_lo
	v_lshlrev_b32_e32 v33, 2, v10
	ds_bpermute_b32 v10, v33, v20
	ds_bpermute_b32 v11, v33, v21
	ds_bpermute_b32 v24, v33, v12
	ds_bpermute_b32 v25, v33, v13
	ds_bpermute_b32 v26, v33, v18
	ds_bpermute_b32 v27, v33, v19
	ds_bpermute_b32 v28, v33, v22
	ds_bpermute_b32 v29, v33, v23
	ds_bpermute_b32 v30, v33, v14
	ds_bpermute_b32 v31, v33, v15
	ds_bpermute_b32 v32, v33, v16
	ds_bpermute_b32 v33, v33, v17
	s_waitcnt lgkmcnt(10)
	v_add_f64 v[10:11], v[20:21], v[10:11]
	s_waitcnt lgkmcnt(8)
	v_add_f64 v[12:13], v[12:13], v[24:25]
	v_xor_b32_e32 v24, 4, v34
	s_waitcnt lgkmcnt(6)
	v_add_f64 v[18:19], v[18:19], v[26:27]
	s_waitcnt lgkmcnt(4)
	v_add_f64 v[20:21], v[22:23], v[28:29]
	s_waitcnt lgkmcnt(2)
	v_add_f64 v[14:15], v[14:15], v[30:31]
	v_cmp_gt_i32_e32 vcc_lo, 32, v24
	s_waitcnt lgkmcnt(0)
	v_add_f64 v[16:17], v[16:17], v[32:33]
	v_cndmask_b32_e32 v22, v34, v24, vcc_lo
	v_lshlrev_b32_e32 v33, 2, v22
	ds_bpermute_b32 v22, v33, v10
	ds_bpermute_b32 v23, v33, v11
	ds_bpermute_b32 v24, v33, v12
	ds_bpermute_b32 v25, v33, v13
	ds_bpermute_b32 v26, v33, v18
	ds_bpermute_b32 v27, v33, v19
	ds_bpermute_b32 v28, v33, v20
	ds_bpermute_b32 v29, v33, v21
	ds_bpermute_b32 v30, v33, v14
	ds_bpermute_b32 v31, v33, v15
	ds_bpermute_b32 v32, v33, v16
	ds_bpermute_b32 v33, v33, v17
	s_waitcnt lgkmcnt(10)
	v_add_f64 v[10:11], v[10:11], v[22:23]
	s_waitcnt lgkmcnt(8)
	v_add_f64 v[12:13], v[12:13], v[24:25]
	v_xor_b32_e32 v24, 2, v34
	s_waitcnt lgkmcnt(6)
	v_add_f64 v[18:19], v[18:19], v[26:27]
	s_waitcnt lgkmcnt(4)
	v_add_f64 v[22:23], v[20:21], v[28:29]
	s_waitcnt lgkmcnt(2)
	v_add_f64 v[14:15], v[14:15], v[30:31]
	v_cmp_gt_i32_e32 vcc_lo, 32, v24
	s_waitcnt lgkmcnt(0)
	v_add_f64 v[16:17], v[16:17], v[32:33]
	;; [unrolled: 28-line block ×3, first 2 shown]
	v_cndmask_b32_e32 v22, v34, v24, vcc_lo
	v_cmp_eq_u32_e32 vcc_lo, 15, v0
	v_lshlrev_b32_e32 v25, 2, v22
	ds_bpermute_b32 v32, v25, v10
	ds_bpermute_b32 v33, v25, v11
	;; [unrolled: 1-line block ×12, first 2 shown]
	s_and_b32 exec_lo, exec_lo, vcc_lo
	s_cbranch_execz .LBB138_25
; %bb.21:
	v_cmp_eq_f64_e32 vcc_lo, 0, v[5:6]
	v_cmp_eq_f64_e64 s0, 0, v[7:8]
	s_waitcnt lgkmcnt(10)
	v_add_f64 v[10:11], v[10:11], v[32:33]
	s_waitcnt lgkmcnt(8)
	v_add_f64 v[20:21], v[20:21], v[30:31]
	;; [unrolled: 2-line block ×6, first 2 shown]
	s_load_dwordx2 s[2:3], s[4:5], 0x48
	s_and_b32 s0, vcc_lo, s0
	s_and_saveexec_b32 s1, s0
	s_xor_b32 s0, exec_lo, s1
	s_cbranch_execz .LBB138_23
; %bb.22:
	v_mul_f64 v[5:6], v[20:21], -v[3:4]
	v_mul_f64 v[7:8], v[1:2], v[20:21]
	v_mul_f64 v[20:21], v[18:19], -v[3:4]
	v_mul_f64 v[18:19], v[1:2], v[18:19]
	;; [unrolled: 2-line block ×3, first 2 shown]
	v_lshl_add_u32 v24, v9, 1, v9
	v_ashrrev_i32_e32 v25, 31, v24
	v_fma_f64 v[5:6], v[1:2], v[10:11], v[5:6]
	v_fma_f64 v[7:8], v[3:4], v[10:11], v[7:8]
	v_fma_f64 v[9:10], v[1:2], v[12:13], v[20:21]
	v_fma_f64 v[11:12], v[3:4], v[12:13], v[18:19]
	v_fma_f64 v[0:1], v[1:2], v[14:15], v[22:23]
	v_fma_f64 v[2:3], v[3:4], v[14:15], v[16:17]
	v_lshlrev_b64 v[13:14], 4, v[24:25]
                                        ; implicit-def: $vgpr20_vgpr21
                                        ; implicit-def: $vgpr18_vgpr19
                                        ; implicit-def: $vgpr16_vgpr17
	s_waitcnt lgkmcnt(0)
	v_add_co_u32 v13, vcc_lo, s2, v13
	v_add_co_ci_u32_e64 v14, null, s3, v14, vcc_lo
	global_store_dwordx4 v[13:14], v[5:8], off
	global_store_dwordx4 v[13:14], v[9:12], off offset:16
	global_store_dwordx4 v[13:14], v[0:3], off offset:32
                                        ; implicit-def: $vgpr9
                                        ; implicit-def: $vgpr10_vgpr11
                                        ; implicit-def: $vgpr12_vgpr13
                                        ; implicit-def: $vgpr14_vgpr15
                                        ; implicit-def: $vgpr7_vgpr8
                                        ; implicit-def: $vgpr3_vgpr4
.LBB138_23:
	s_andn2_saveexec_b32 s0, s0
	s_cbranch_execz .LBB138_25
; %bb.24:
	v_lshl_add_u32 v22, v9, 1, v9
	v_mul_f64 v[36:37], v[20:21], -v[3:4]
	v_mul_f64 v[20:21], v[1:2], v[20:21]
	v_mul_f64 v[38:39], v[18:19], -v[3:4]
	v_mul_f64 v[18:19], v[1:2], v[18:19]
	v_ashrrev_i32_e32 v23, 31, v22
	v_mul_f64 v[40:41], v[16:17], -v[3:4]
	v_mul_f64 v[16:17], v[1:2], v[16:17]
	v_lshlrev_b64 v[22:23], 4, v[22:23]
	s_waitcnt lgkmcnt(0)
	v_add_co_u32 v34, vcc_lo, s2, v22
	v_add_co_ci_u32_e64 v35, null, s3, v23, vcc_lo
	s_clause 0x2
	global_load_dwordx4 v[22:25], v[34:35], off
	global_load_dwordx4 v[26:29], v[34:35], off offset:16
	global_load_dwordx4 v[30:33], v[34:35], off offset:32
	v_fma_f64 v[36:37], v[1:2], v[10:11], v[36:37]
	v_fma_f64 v[9:10], v[3:4], v[10:11], v[20:21]
	;; [unrolled: 1-line block ×6, first 2 shown]
	s_waitcnt vmcnt(2)
	v_fma_f64 v[13:14], v[5:6], v[22:23], v[36:37]
	v_fma_f64 v[9:10], v[7:8], v[22:23], v[9:10]
	s_waitcnt vmcnt(1)
	v_fma_f64 v[15:16], v[5:6], v[26:27], v[20:21]
	v_fma_f64 v[11:12], v[7:8], v[26:27], v[11:12]
	;; [unrolled: 3-line block ×3, first 2 shown]
	v_fma_f64 v[0:1], -v[7:8], v[24:25], v[13:14]
	v_fma_f64 v[2:3], v[5:6], v[24:25], v[9:10]
	v_fma_f64 v[9:10], -v[7:8], v[28:29], v[15:16]
	v_fma_f64 v[11:12], v[5:6], v[28:29], v[11:12]
	;; [unrolled: 2-line block ×3, first 2 shown]
	global_store_dwordx4 v[34:35], v[0:3], off
	global_store_dwordx4 v[34:35], v[9:12], off offset:16
	global_store_dwordx4 v[34:35], v[13:16], off offset:32
.LBB138_25:
	s_endpgm
	.section	.rodata,"a",@progbits
	.p2align	6, 0x0
	.amdhsa_kernel _ZN9rocsparseL19gebsrmvn_3xn_kernelILj128ELj7ELj16E21rocsparse_complex_numIdEEEvi20rocsparse_direction_NS_24const_host_device_scalarIT2_EEPKiS8_PKS5_SA_S6_PS5_21rocsparse_index_base_b
		.amdhsa_group_segment_fixed_size 0
		.amdhsa_private_segment_fixed_size 0
		.amdhsa_kernarg_size 88
		.amdhsa_user_sgpr_count 6
		.amdhsa_user_sgpr_private_segment_buffer 1
		.amdhsa_user_sgpr_dispatch_ptr 0
		.amdhsa_user_sgpr_queue_ptr 0
		.amdhsa_user_sgpr_kernarg_segment_ptr 1
		.amdhsa_user_sgpr_dispatch_id 0
		.amdhsa_user_sgpr_flat_scratch_init 0
		.amdhsa_user_sgpr_private_segment_size 0
		.amdhsa_wavefront_size32 1
		.amdhsa_uses_dynamic_stack 0
		.amdhsa_system_sgpr_private_segment_wavefront_offset 0
		.amdhsa_system_sgpr_workgroup_id_x 1
		.amdhsa_system_sgpr_workgroup_id_y 0
		.amdhsa_system_sgpr_workgroup_id_z 0
		.amdhsa_system_sgpr_workgroup_info 0
		.amdhsa_system_vgpr_workitem_id 0
		.amdhsa_next_free_vgpr 74
		.amdhsa_next_free_sgpr 16
		.amdhsa_reserve_vcc 1
		.amdhsa_reserve_flat_scratch 0
		.amdhsa_float_round_mode_32 0
		.amdhsa_float_round_mode_16_64 0
		.amdhsa_float_denorm_mode_32 3
		.amdhsa_float_denorm_mode_16_64 3
		.amdhsa_dx10_clamp 1
		.amdhsa_ieee_mode 1
		.amdhsa_fp16_overflow 0
		.amdhsa_workgroup_processor_mode 1
		.amdhsa_memory_ordered 1
		.amdhsa_forward_progress 1
		.amdhsa_shared_vgpr_count 0
		.amdhsa_exception_fp_ieee_invalid_op 0
		.amdhsa_exception_fp_denorm_src 0
		.amdhsa_exception_fp_ieee_div_zero 0
		.amdhsa_exception_fp_ieee_overflow 0
		.amdhsa_exception_fp_ieee_underflow 0
		.amdhsa_exception_fp_ieee_inexact 0
		.amdhsa_exception_int_div_zero 0
	.end_amdhsa_kernel
	.section	.text._ZN9rocsparseL19gebsrmvn_3xn_kernelILj128ELj7ELj16E21rocsparse_complex_numIdEEEvi20rocsparse_direction_NS_24const_host_device_scalarIT2_EEPKiS8_PKS5_SA_S6_PS5_21rocsparse_index_base_b,"axG",@progbits,_ZN9rocsparseL19gebsrmvn_3xn_kernelILj128ELj7ELj16E21rocsparse_complex_numIdEEEvi20rocsparse_direction_NS_24const_host_device_scalarIT2_EEPKiS8_PKS5_SA_S6_PS5_21rocsparse_index_base_b,comdat
.Lfunc_end138:
	.size	_ZN9rocsparseL19gebsrmvn_3xn_kernelILj128ELj7ELj16E21rocsparse_complex_numIdEEEvi20rocsparse_direction_NS_24const_host_device_scalarIT2_EEPKiS8_PKS5_SA_S6_PS5_21rocsparse_index_base_b, .Lfunc_end138-_ZN9rocsparseL19gebsrmvn_3xn_kernelILj128ELj7ELj16E21rocsparse_complex_numIdEEEvi20rocsparse_direction_NS_24const_host_device_scalarIT2_EEPKiS8_PKS5_SA_S6_PS5_21rocsparse_index_base_b
                                        ; -- End function
	.set _ZN9rocsparseL19gebsrmvn_3xn_kernelILj128ELj7ELj16E21rocsparse_complex_numIdEEEvi20rocsparse_direction_NS_24const_host_device_scalarIT2_EEPKiS8_PKS5_SA_S6_PS5_21rocsparse_index_base_b.num_vgpr, 74
	.set _ZN9rocsparseL19gebsrmvn_3xn_kernelILj128ELj7ELj16E21rocsparse_complex_numIdEEEvi20rocsparse_direction_NS_24const_host_device_scalarIT2_EEPKiS8_PKS5_SA_S6_PS5_21rocsparse_index_base_b.num_agpr, 0
	.set _ZN9rocsparseL19gebsrmvn_3xn_kernelILj128ELj7ELj16E21rocsparse_complex_numIdEEEvi20rocsparse_direction_NS_24const_host_device_scalarIT2_EEPKiS8_PKS5_SA_S6_PS5_21rocsparse_index_base_b.numbered_sgpr, 16
	.set _ZN9rocsparseL19gebsrmvn_3xn_kernelILj128ELj7ELj16E21rocsparse_complex_numIdEEEvi20rocsparse_direction_NS_24const_host_device_scalarIT2_EEPKiS8_PKS5_SA_S6_PS5_21rocsparse_index_base_b.num_named_barrier, 0
	.set _ZN9rocsparseL19gebsrmvn_3xn_kernelILj128ELj7ELj16E21rocsparse_complex_numIdEEEvi20rocsparse_direction_NS_24const_host_device_scalarIT2_EEPKiS8_PKS5_SA_S6_PS5_21rocsparse_index_base_b.private_seg_size, 0
	.set _ZN9rocsparseL19gebsrmvn_3xn_kernelILj128ELj7ELj16E21rocsparse_complex_numIdEEEvi20rocsparse_direction_NS_24const_host_device_scalarIT2_EEPKiS8_PKS5_SA_S6_PS5_21rocsparse_index_base_b.uses_vcc, 1
	.set _ZN9rocsparseL19gebsrmvn_3xn_kernelILj128ELj7ELj16E21rocsparse_complex_numIdEEEvi20rocsparse_direction_NS_24const_host_device_scalarIT2_EEPKiS8_PKS5_SA_S6_PS5_21rocsparse_index_base_b.uses_flat_scratch, 0
	.set _ZN9rocsparseL19gebsrmvn_3xn_kernelILj128ELj7ELj16E21rocsparse_complex_numIdEEEvi20rocsparse_direction_NS_24const_host_device_scalarIT2_EEPKiS8_PKS5_SA_S6_PS5_21rocsparse_index_base_b.has_dyn_sized_stack, 0
	.set _ZN9rocsparseL19gebsrmvn_3xn_kernelILj128ELj7ELj16E21rocsparse_complex_numIdEEEvi20rocsparse_direction_NS_24const_host_device_scalarIT2_EEPKiS8_PKS5_SA_S6_PS5_21rocsparse_index_base_b.has_recursion, 0
	.set _ZN9rocsparseL19gebsrmvn_3xn_kernelILj128ELj7ELj16E21rocsparse_complex_numIdEEEvi20rocsparse_direction_NS_24const_host_device_scalarIT2_EEPKiS8_PKS5_SA_S6_PS5_21rocsparse_index_base_b.has_indirect_call, 0
	.section	.AMDGPU.csdata,"",@progbits
; Kernel info:
; codeLenInByte = 4380
; TotalNumSgprs: 18
; NumVgprs: 74
; ScratchSize: 0
; MemoryBound: 0
; FloatMode: 240
; IeeeMode: 1
; LDSByteSize: 0 bytes/workgroup (compile time only)
; SGPRBlocks: 0
; VGPRBlocks: 9
; NumSGPRsForWavesPerEU: 18
; NumVGPRsForWavesPerEU: 74
; Occupancy: 12
; WaveLimiterHint : 1
; COMPUTE_PGM_RSRC2:SCRATCH_EN: 0
; COMPUTE_PGM_RSRC2:USER_SGPR: 6
; COMPUTE_PGM_RSRC2:TRAP_HANDLER: 0
; COMPUTE_PGM_RSRC2:TGID_X_EN: 1
; COMPUTE_PGM_RSRC2:TGID_Y_EN: 0
; COMPUTE_PGM_RSRC2:TGID_Z_EN: 0
; COMPUTE_PGM_RSRC2:TIDIG_COMP_CNT: 0
	.section	.text._ZN9rocsparseL19gebsrmvn_3xn_kernelILj128ELj7ELj32E21rocsparse_complex_numIdEEEvi20rocsparse_direction_NS_24const_host_device_scalarIT2_EEPKiS8_PKS5_SA_S6_PS5_21rocsparse_index_base_b,"axG",@progbits,_ZN9rocsparseL19gebsrmvn_3xn_kernelILj128ELj7ELj32E21rocsparse_complex_numIdEEEvi20rocsparse_direction_NS_24const_host_device_scalarIT2_EEPKiS8_PKS5_SA_S6_PS5_21rocsparse_index_base_b,comdat
	.globl	_ZN9rocsparseL19gebsrmvn_3xn_kernelILj128ELj7ELj32E21rocsparse_complex_numIdEEEvi20rocsparse_direction_NS_24const_host_device_scalarIT2_EEPKiS8_PKS5_SA_S6_PS5_21rocsparse_index_base_b ; -- Begin function _ZN9rocsparseL19gebsrmvn_3xn_kernelILj128ELj7ELj32E21rocsparse_complex_numIdEEEvi20rocsparse_direction_NS_24const_host_device_scalarIT2_EEPKiS8_PKS5_SA_S6_PS5_21rocsparse_index_base_b
	.p2align	8
	.type	_ZN9rocsparseL19gebsrmvn_3xn_kernelILj128ELj7ELj32E21rocsparse_complex_numIdEEEvi20rocsparse_direction_NS_24const_host_device_scalarIT2_EEPKiS8_PKS5_SA_S6_PS5_21rocsparse_index_base_b,@function
_ZN9rocsparseL19gebsrmvn_3xn_kernelILj128ELj7ELj32E21rocsparse_complex_numIdEEEvi20rocsparse_direction_NS_24const_host_device_scalarIT2_EEPKiS8_PKS5_SA_S6_PS5_21rocsparse_index_base_b: ; @_ZN9rocsparseL19gebsrmvn_3xn_kernelILj128ELj7ELj32E21rocsparse_complex_numIdEEEvi20rocsparse_direction_NS_24const_host_device_scalarIT2_EEPKiS8_PKS5_SA_S6_PS5_21rocsparse_index_base_b
; %bb.0:
	s_clause 0x1
	s_load_dwordx2 s[2:3], s[4:5], 0x50
	s_load_dwordx2 s[0:1], s[4:5], 0x8
	s_add_u32 s7, s4, 8
	s_addc_u32 s10, s5, 0
	s_add_u32 s11, s4, 56
	s_addc_u32 s12, s5, 0
	s_load_dwordx2 s[8:9], s[4:5], 0x38
	s_waitcnt lgkmcnt(0)
	s_bitcmp1_b32 s3, 0
	s_cselect_b32 s0, s7, s0
	s_cselect_b32 s1, s10, s1
	v_mov_b32_e32 v1, s0
	v_mov_b32_e32 v2, s1
	s_cselect_b32 s0, s11, s8
	s_cselect_b32 s1, s12, s9
	v_mov_b32_e32 v5, s0
	v_mov_b32_e32 v6, s1
	flat_load_dwordx4 v[1:4], v[1:2]
	flat_load_dwordx4 v[5:8], v[5:6]
	s_waitcnt vmcnt(1) lgkmcnt(1)
	v_cmp_eq_f64_e32 vcc_lo, 0, v[1:2]
	v_cmp_eq_f64_e64 s0, 0, v[3:4]
	s_and_b32 s3, vcc_lo, s0
	s_mov_b32 s0, -1
	s_and_saveexec_b32 s1, s3
	s_cbranch_execz .LBB139_2
; %bb.1:
	s_waitcnt vmcnt(0) lgkmcnt(0)
	v_cmp_neq_f64_e32 vcc_lo, 1.0, v[5:6]
	v_cmp_neq_f64_e64 s0, 0, v[7:8]
	s_or_b32 s0, vcc_lo, s0
	s_orn2_b32 s0, s0, exec_lo
.LBB139_2:
	s_or_b32 exec_lo, exec_lo, s1
	s_and_saveexec_b32 s1, s0
	s_cbranch_execz .LBB139_25
; %bb.3:
	s_load_dwordx2 s[0:1], s[4:5], 0x0
	v_lshrrev_b32_e32 v9, 5, v0
	v_lshl_or_b32 v9, s6, 2, v9
	s_waitcnt lgkmcnt(0)
	v_cmp_gt_i32_e32 vcc_lo, s0, v9
	s_and_b32 exec_lo, exec_lo, vcc_lo
	s_cbranch_execz .LBB139_25
; %bb.4:
	s_load_dwordx8 s[8:15], s[4:5], 0x18
	v_ashrrev_i32_e32 v10, 31, v9
	v_and_b32_e32 v0, 31, v0
	s_cmp_lg_u32 s1, 0
	v_lshlrev_b64 v[10:11], 2, v[9:10]
	s_waitcnt lgkmcnt(0)
	v_add_co_u32 v10, vcc_lo, s8, v10
	v_add_co_ci_u32_e64 v11, null, s9, v11, vcc_lo
	global_load_dwordx2 v[11:12], v[10:11], off
	s_waitcnt vmcnt(0)
	v_subrev_nc_u32_e32 v10, s2, v11
	v_subrev_nc_u32_e32 v39, s2, v12
	v_add_nc_u32_e32 v10, v10, v0
	v_cmp_lt_i32_e64 s0, v10, v39
	s_cbranch_scc0 .LBB139_12
; %bb.5:
	v_mov_b32_e32 v12, 0
	v_mov_b32_e32 v20, 0
	;; [unrolled: 1-line block ×12, first 2 shown]
	s_and_saveexec_b32 s1, s0
	s_cbranch_execz .LBB139_14
; %bb.6:
	v_mul_lo_u32 v11, v11, 21
	v_mul_lo_u32 v40, v10, 21
	s_mul_i32 s3, s2, 21
	v_mov_b32_e32 v12, 0
	v_mov_b32_e32 v20, 0
	;; [unrolled: 1-line block ×5, first 2 shown]
	v_mad_u32_u24 v11, v0, 21, v11
	v_mov_b32_e32 v22, 0
	v_mov_b32_e32 v13, 0
	;; [unrolled: 1-line block ×8, first 2 shown]
	v_subrev_nc_u32_e32 v41, s3, v11
	v_mov_b32_e32 v26, v10
	s_mov_b32 s3, 0
	s_branch .LBB139_8
.LBB139_7:                              ;   in Loop: Header=BB139_8 Depth=1
	v_add_nc_u32_e32 v26, 32, v26
	v_add_nc_u32_e32 v40, 0x2a0, v40
	v_add_nc_u32_e32 v41, 0x2a0, v41
	v_cmp_ge_i32_e32 vcc_lo, v26, v39
	s_or_b32 s3, vcc_lo, s3
	s_andn2_b32 exec_lo, exec_lo, s3
	s_cbranch_execz .LBB139_13
.LBB139_8:                              ; =>This Loop Header: Depth=1
                                        ;     Child Loop BB139_10 Depth 2
	v_ashrrev_i32_e32 v27, 31, v26
	v_mov_b32_e32 v32, v13
	v_mov_b32_e32 v34, v21
	;; [unrolled: 1-line block ×4, first 2 shown]
	v_lshlrev_b64 v[27:28], 2, v[26:27]
	v_mov_b32_e32 v38, v23
	v_mov_b32_e32 v31, v12
	;; [unrolled: 1-line block ×5, first 2 shown]
	v_add_co_u32 v27, vcc_lo, s10, v27
	v_add_co_ci_u32_e64 v28, null, s11, v28, vcc_lo
	v_mov_b32_e32 v37, v22
	s_mov_b32 s6, 0
	global_load_dword v11, v[27:28], off
	v_mov_b32_e32 v28, v17
	v_mov_b32_e32 v27, v16
	s_waitcnt vmcnt(0)
	v_subrev_nc_u32_e32 v11, s2, v11
	v_mul_lo_u32 v11, v11, 7
	s_branch .LBB139_10
.LBB139_9:                              ;   in Loop: Header=BB139_8 Depth=1
                                        ; implicit-def: $vgpr37_vgpr38
                                        ; implicit-def: $vgpr35_vgpr36
                                        ; implicit-def: $vgpr27_vgpr28
                                        ; implicit-def: $vgpr29_vgpr30
                                        ; implicit-def: $vgpr33_vgpr34
                                        ; implicit-def: $vgpr31_vgpr32
                                        ; implicit-def: $sgpr6
                                        ; implicit-def: $vgpr11
	s_branch .LBB139_7
.LBB139_10:                             ;   Parent Loop BB139_8 Depth=1
                                        ; =>  This Inner Loop Header: Depth=2
	v_add_nc_u32_e32 v24, s6, v41
	v_add_nc_u32_e32 v42, s6, v40
	v_mov_b32_e32 v12, v25
	s_cmp_eq_u32 s6, 18
	v_lshlrev_b64 v[13:14], 4, v[24:25]
	v_add_nc_u32_e32 v24, 1, v42
	v_lshlrev_b64 v[15:16], 4, v[11:12]
	v_lshlrev_b64 v[17:18], 4, v[24:25]
	v_add_nc_u32_e32 v24, 2, v42
	v_add_co_u32 v12, vcc_lo, s12, v13
	v_add_co_ci_u32_e64 v13, null, s13, v14, vcc_lo
	v_lshlrev_b64 v[21:22], 4, v[24:25]
	v_add_co_u32 v19, vcc_lo, s14, v15
	v_add_co_ci_u32_e64 v20, null, s15, v16, vcc_lo
	v_add_co_u32 v16, vcc_lo, s12, v17
	v_add_co_ci_u32_e64 v17, null, s13, v18, vcc_lo
	;; [unrolled: 2-line block ×3, first 2 shown]
	global_load_dwordx4 v[12:15], v[12:13], off
	global_load_dwordx4 v[43:46], v[19:20], off
	s_clause 0x1
	global_load_dwordx4 v[16:19], v[16:17], off
	global_load_dwordx4 v[47:50], v[21:22], off
	s_waitcnt vmcnt(2)
	v_fma_f64 v[20:21], v[12:13], v[43:44], v[33:34]
	v_fma_f64 v[22:23], v[14:15], v[43:44], v[31:32]
	s_waitcnt vmcnt(1)
	v_fma_f64 v[31:32], v[16:17], v[43:44], v[35:36]
	v_fma_f64 v[33:34], v[18:19], v[43:44], v[37:38]
	s_waitcnt vmcnt(0)
	v_fma_f64 v[29:30], v[47:48], v[43:44], v[29:30]
	v_fma_f64 v[27:28], v[49:50], v[43:44], v[27:28]
	v_fma_f64 v[20:21], -v[14:15], v[45:46], v[20:21]
	v_fma_f64 v[12:13], v[12:13], v[45:46], v[22:23]
	v_fma_f64 v[18:19], -v[18:19], v[45:46], v[31:32]
	v_fma_f64 v[22:23], v[16:17], v[45:46], v[33:34]
	;; [unrolled: 2-line block ×3, first 2 shown]
	s_cbranch_scc1 .LBB139_9
; %bb.11:                               ;   in Loop: Header=BB139_10 Depth=2
	v_add_nc_u32_e32 v24, 3, v42
	s_add_i32 s6, s6, 6
	v_lshlrev_b64 v[27:28], 4, v[24:25]
	v_add_nc_u32_e32 v24, 1, v11
	v_add_nc_u32_e32 v11, 2, v11
	v_lshlrev_b64 v[31:32], 4, v[24:25]
	v_add_nc_u32_e32 v24, 4, v42
	v_add_co_u32 v27, vcc_lo, s12, v27
	v_add_co_ci_u32_e64 v28, null, s13, v28, vcc_lo
	v_lshlrev_b64 v[33:34], 4, v[24:25]
	v_add_nc_u32_e32 v24, 5, v42
	v_add_co_u32 v31, vcc_lo, s14, v31
	v_add_co_ci_u32_e64 v32, null, s15, v32, vcc_lo
	v_lshlrev_b64 v[35:36], 4, v[24:25]
	v_add_co_u32 v33, vcc_lo, s12, v33
	v_add_co_ci_u32_e64 v34, null, s13, v34, vcc_lo
	global_load_dwordx4 v[27:30], v[27:28], off
	v_add_co_u32 v35, vcc_lo, s12, v35
	v_add_co_ci_u32_e64 v36, null, s13, v36, vcc_lo
	global_load_dwordx4 v[42:45], v[31:32], off
	s_clause 0x1
	global_load_dwordx4 v[46:49], v[33:34], off
	global_load_dwordx4 v[50:53], v[35:36], off
	s_waitcnt vmcnt(2)
	v_fma_f64 v[31:32], v[27:28], v[42:43], v[20:21]
	v_fma_f64 v[35:36], v[29:30], v[42:43], v[12:13]
	s_waitcnt vmcnt(1)
	v_fma_f64 v[37:38], v[46:47], v[42:43], v[18:19]
	v_fma_f64 v[54:55], v[48:49], v[42:43], v[22:23]
	;; [unrolled: 3-line block ×3, first 2 shown]
	v_fma_f64 v[33:34], -v[29:30], v[44:45], v[31:32]
	v_fma_f64 v[31:32], v[27:28], v[44:45], v[35:36]
	v_fma_f64 v[35:36], -v[48:49], v[44:45], v[37:38]
	v_fma_f64 v[37:38], v[46:47], v[44:45], v[54:55]
	;; [unrolled: 2-line block ×3, first 2 shown]
	s_cbranch_execnz .LBB139_10
	s_branch .LBB139_7
.LBB139_12:
                                        ; implicit-def: $vgpr12_vgpr13
                                        ; implicit-def: $vgpr20_vgpr21
                                        ; implicit-def: $vgpr14_vgpr15
                                        ; implicit-def: $vgpr16_vgpr17
                                        ; implicit-def: $vgpr18_vgpr19
                                        ; implicit-def: $vgpr22_vgpr23
	s_branch .LBB139_15
.LBB139_13:
	s_or_b32 exec_lo, exec_lo, s3
.LBB139_14:
	s_or_b32 exec_lo, exec_lo, s1
	s_cbranch_execnz .LBB139_20
.LBB139_15:
	v_mov_b32_e32 v12, 0
	v_mov_b32_e32 v20, 0
	;; [unrolled: 1-line block ×12, first 2 shown]
	s_and_saveexec_b32 s1, s0
	s_cbranch_execz .LBB139_19
; %bb.16:
	v_mad_u64_u32 v[24:25], null, v10, 21, 20
	v_mov_b32_e32 v12, 0
	v_mov_b32_e32 v20, 0
	;; [unrolled: 1-line block ×13, first 2 shown]
	s_mov_b32 s0, 0
.LBB139_17:                             ; =>This Inner Loop Header: Depth=1
	v_ashrrev_i32_e32 v11, 31, v10
	v_subrev_nc_u32_e32 v26, 20, v24
	v_add_nc_u32_e32 v30, -13, v24
	v_mov_b32_e32 v31, v27
	v_add_nc_u32_e32 v32, -6, v24
	v_lshlrev_b64 v[36:37], 2, v[10:11]
	v_mov_b32_e32 v33, v27
	v_lshlrev_b64 v[34:35], 4, v[26:27]
	v_mov_b32_e32 v25, v27
	v_lshlrev_b64 v[30:31], 4, v[30:31]
	v_subrev_nc_u32_e32 v26, 19, v24
	v_add_co_u32 v36, vcc_lo, s10, v36
	v_add_co_ci_u32_e64 v37, null, s11, v37, vcc_lo
	v_lshlrev_b64 v[32:33], 4, v[32:33]
	v_mov_b32_e32 v29, v27
	v_lshlrev_b64 v[40:41], 4, v[24:25]
	global_load_dword v11, v[36:37], off
	v_add_co_u32 v34, vcc_lo, s12, v34
	v_lshlrev_b64 v[25:26], 4, v[26:27]
	v_add_co_ci_u32_e64 v35, null, s13, v35, vcc_lo
	v_add_co_u32 v42, vcc_lo, s12, v30
	v_add_co_ci_u32_e64 v43, null, s13, v31, vcc_lo
	v_add_co_u32 v44, vcc_lo, s12, v32
	;; [unrolled: 2-line block ×4, first 2 shown]
	v_add_co_ci_u32_e64 v26, null, s13, v26, vcc_lo
	s_clause 0x4
	global_load_dwordx4 v[30:33], v[34:35], off
	global_load_dwordx4 v[34:37], v[42:43], off
	;; [unrolled: 1-line block ×5, first 2 shown]
	v_add_nc_u32_e32 v10, 32, v10
	s_waitcnt vmcnt(5)
	v_subrev_nc_u32_e32 v11, s2, v11
	v_mul_lo_u32 v28, v11, 7
	v_lshlrev_b64 v[52:53], 4, v[28:29]
	v_add_nc_u32_e32 v26, 1, v28
	v_lshlrev_b64 v[56:57], 4, v[26:27]
	v_add_co_u32 v52, vcc_lo, s14, v52
	v_add_co_ci_u32_e64 v53, null, s15, v53, vcc_lo
	v_add_nc_u32_e32 v26, -12, v24
	v_add_co_u32 v56, vcc_lo, s14, v56
	global_load_dwordx4 v[52:55], v[52:53], off
	v_add_co_ci_u32_e64 v57, null, s15, v57, vcc_lo
	v_lshlrev_b64 v[60:61], 4, v[26:27]
	v_add_nc_u32_e32 v26, -5, v24
	global_load_dwordx4 v[56:59], v[56:57], off
	v_lshlrev_b64 v[62:63], 4, v[26:27]
	v_add_co_u32 v60, vcc_lo, s12, v60
	v_add_co_ci_u32_e64 v61, null, s13, v61, vcc_lo
	v_subrev_nc_u32_e32 v26, 18, v24
	v_add_co_u32 v66, vcc_lo, s12, v62
	v_add_co_ci_u32_e64 v67, null, s13, v63, vcc_lo
	global_load_dwordx4 v[60:63], v[60:61], off
	v_lshlrev_b64 v[64:65], 4, v[26:27]
	v_add_nc_u32_e32 v26, 2, v28
	v_lshlrev_b64 v[68:69], 4, v[26:27]
	v_add_co_u32 v64, vcc_lo, s12, v64
	v_add_co_ci_u32_e64 v65, null, s13, v65, vcc_lo
	v_add_nc_u32_e32 v26, -11, v24
	s_waitcnt vmcnt(2)
	v_fma_f64 v[20:21], v[30:31], v[52:53], v[20:21]
	v_fma_f64 v[11:12], v[32:33], v[52:53], v[12:13]
	;; [unrolled: 1-line block ×5, first 2 shown]
	v_fma_f64 v[70:71], -v[32:33], v[54:55], v[20:21]
	v_fma_f64 v[72:73], v[30:31], v[54:55], v[11:12]
	global_load_dwordx4 v[29:32], v[66:67], off
	v_fma_f64 v[20:21], v[36:37], v[52:53], v[22:23]
	v_add_co_u32 v11, vcc_lo, s14, v68
	v_add_co_ci_u32_e64 v12, null, s15, v69, vcc_lo
	v_fma_f64 v[22:23], -v[36:37], v[54:55], v[18:19]
	v_fma_f64 v[52:53], -v[42:43], v[54:55], v[13:14]
	v_lshlrev_b64 v[66:67], 4, v[26:27]
	global_load_dwordx4 v[11:14], v[11:12], off
	v_add_nc_u32_e32 v26, -4, v24
	v_fma_f64 v[15:16], v[40:41], v[54:55], v[15:16]
	s_waitcnt vmcnt(3)
	v_fma_f64 v[42:43], v[48:49], v[56:57], v[70:71]
	v_fma_f64 v[37:38], v[34:35], v[54:55], v[20:21]
	global_load_dwordx4 v[18:21], v[64:65], off
	v_lshlrev_b64 v[33:34], 4, v[26:27]
	v_add_co_u32 v35, vcc_lo, s12, v66
	v_add_co_ci_u32_e64 v36, null, s13, v67, vcc_lo
	v_fma_f64 v[66:67], v[50:51], v[56:57], v[72:73]
	v_add_co_u32 v40, vcc_lo, s12, v33
	v_add_co_ci_u32_e64 v41, null, s13, v34, vcc_lo
	global_load_dwordx4 v[33:36], v[35:36], off
	v_subrev_nc_u32_e32 v26, 17, v24
	s_waitcnt vmcnt(4)
	v_fma_f64 v[22:23], v[60:61], v[56:57], v[22:23]
	v_lshlrev_b64 v[54:55], 4, v[26:27]
	v_fma_f64 v[68:69], -v[50:51], v[58:59], v[42:43]
	global_load_dwordx4 v[40:43], v[40:41], off
	v_add_nc_u32_e32 v26, 3, v28
	v_fma_f64 v[37:38], v[62:63], v[56:57], v[37:38]
	v_lshlrev_b64 v[64:65], 4, v[26:27]
	v_add_nc_u32_e32 v26, -10, v24
	v_fma_f64 v[66:67], v[48:49], v[58:59], v[66:67]
	v_add_co_u32 v48, vcc_lo, s12, v54
	v_add_co_ci_u32_e64 v49, null, s13, v55, vcc_lo
	v_add_co_u32 v54, vcc_lo, s14, v64
	v_add_co_ci_u32_e64 v55, null, s15, v65, vcc_lo
	v_lshlrev_b64 v[64:65], 4, v[26:27]
	v_fma_f64 v[22:23], -v[62:63], v[58:59], v[22:23]
	global_load_dwordx4 v[48:51], v[48:49], off
	v_add_nc_u32_e32 v26, -3, v24
	v_fma_f64 v[37:38], v[60:61], v[58:59], v[37:38]
	v_lshlrev_b64 v[60:61], 4, v[26:27]
	v_add_nc_u32_e32 v26, -16, v24
	v_lshlrev_b64 v[62:63], 4, v[26:27]
	v_add_nc_u32_e32 v26, 4, v28
	s_waitcnt vmcnt(5)
	v_fma_f64 v[52:53], v[29:30], v[56:57], v[52:53]
	v_fma_f64 v[15:16], v[31:32], v[56:57], v[15:16]
	v_fma_f64 v[56:57], -v[31:32], v[58:59], v[52:53]
	v_fma_f64 v[58:59], v[29:30], v[58:59], v[15:16]
	v_add_co_u32 v15, vcc_lo, s12, v64
	v_add_co_ci_u32_e64 v16, null, s13, v65, vcc_lo
	global_load_dwordx4 v[29:32], v[54:55], off
	s_waitcnt vmcnt(4)
	v_fma_f64 v[66:67], v[20:21], v[11:12], v[66:67]
	v_add_co_u32 v60, vcc_lo, s12, v60
	global_load_dwordx4 v[52:55], v[15:16], off
	v_fma_f64 v[15:16], v[18:19], v[11:12], v[68:69]
	v_add_co_ci_u32_e64 v61, null, s13, v61, vcc_lo
	v_add_co_u32 v62, vcc_lo, s12, v62
	v_lshlrev_b64 v[64:65], 4, v[26:27]
	v_add_co_ci_u32_e64 v63, null, s13, v63, vcc_lo
	v_add_nc_u32_e32 v26, -9, v24
	v_fma_f64 v[66:67], v[18:19], v[13:14], v[66:67]
	v_fma_f64 v[68:69], -v[20:21], v[13:14], v[15:16]
	s_waitcnt vmcnt(4)
	v_fma_f64 v[19:20], v[33:34], v[11:12], v[22:23]
	v_fma_f64 v[21:22], v[35:36], v[11:12], v[37:38]
	global_load_dwordx4 v[15:18], v[60:61], off
	v_fma_f64 v[37:38], -v[35:36], v[13:14], v[19:20]
	v_fma_f64 v[70:71], v[33:34], v[13:14], v[21:22]
	s_waitcnt vmcnt(4)
	v_fma_f64 v[33:34], v[40:41], v[11:12], v[56:57]
	v_fma_f64 v[11:12], v[42:43], v[11:12], v[58:59]
	global_load_dwordx4 v[19:22], v[62:63], off
	v_add_co_u32 v60, vcc_lo, s14, v64
	v_add_co_ci_u32_e64 v61, null, s15, v65, vcc_lo
	v_lshlrev_b64 v[64:65], 4, v[26:27]
	v_add_nc_u32_e32 v26, -2, v24
	v_lshlrev_b64 v[62:63], 4, v[26:27]
	v_add_nc_u32_e32 v26, -15, v24
	v_fma_f64 v[56:57], -v[42:43], v[13:14], v[33:34]
	v_fma_f64 v[58:59], v[40:41], v[13:14], v[11:12]
	global_load_dwordx4 v[11:14], v[60:61], off
	v_add_co_u32 v33, vcc_lo, s12, v64
	v_add_co_ci_u32_e64 v34, null, s13, v65, vcc_lo
	v_lshlrev_b64 v[40:41], 4, v[26:27]
	v_add_co_u32 v42, vcc_lo, s12, v62
	global_load_dwordx4 v[33:36], v[33:34], off
	v_add_co_ci_u32_e64 v43, null, s13, v63, vcc_lo
	v_add_co_u32 v60, vcc_lo, s12, v40
	v_add_co_ci_u32_e64 v61, null, s13, v41, vcc_lo
	v_add_nc_u32_e32 v26, 5, v28
	v_lshlrev_b64 v[62:63], 4, v[26:27]
	v_add_nc_u32_e32 v26, -8, v24
	v_add_co_u32 v62, vcc_lo, s14, v62
	v_add_co_ci_u32_e64 v63, null, s15, v63, vcc_lo
	s_waitcnt vmcnt(5)
	v_fma_f64 v[40:41], v[48:49], v[29:30], v[68:69]
	v_fma_f64 v[64:65], v[50:51], v[29:30], v[66:67]
	v_lshlrev_b64 v[68:69], 4, v[26:27]
	v_add_nc_u32_e32 v26, -1, v24
	s_waitcnt vmcnt(4)
	v_fma_f64 v[37:38], v[52:53], v[29:30], v[37:38]
	v_fma_f64 v[66:67], -v[50:51], v[31:32], v[40:41]
	v_fma_f64 v[64:65], v[48:49], v[31:32], v[64:65]
	v_fma_f64 v[48:49], v[54:55], v[29:30], v[70:71]
	global_load_dwordx4 v[40:43], v[42:43], off
	v_fma_f64 v[37:38], -v[54:55], v[31:32], v[37:38]
	v_lshlrev_b64 v[54:55], 4, v[26:27]
	v_add_nc_u32_e32 v26, -14, v24
	s_waitcnt vmcnt(4)
	v_fma_f64 v[56:57], v[15:16], v[29:30], v[56:57]
	v_fma_f64 v[29:30], v[17:18], v[29:30], v[58:59]
	;; [unrolled: 1-line block ×3, first 2 shown]
	global_load_dwordx4 v[48:51], v[60:61], off
	v_add_co_u32 v52, vcc_lo, s12, v68
	v_add_co_ci_u32_e64 v53, null, s13, v69, vcc_lo
	v_fma_f64 v[68:69], -v[17:18], v[31:32], v[56:57]
	v_lshlrev_b64 v[56:57], 4, v[26:27]
	v_add_nc_u32_e32 v26, 6, v28
	v_add_co_u32 v54, vcc_lo, s12, v54
	v_add_co_ci_u32_e64 v55, null, s13, v55, vcc_lo
	v_lshlrev_b64 v[58:59], 4, v[26:27]
	v_add_co_u32 v56, vcc_lo, s12, v56
	v_add_co_ci_u32_e64 v57, null, s13, v57, vcc_lo
	v_fma_f64 v[72:73], v[15:16], v[31:32], v[29:30]
	global_load_dwordx4 v[15:18], v[62:63], off
	global_load_dwordx4 v[28:31], v[52:53], off
	v_add_nc_u32_e32 v26, -7, v24
	v_add_nc_u32_e32 v24, 0x2a0, v24
	v_lshlrev_b64 v[25:26], 4, v[26:27]
	s_waitcnt vmcnt(5)
	v_fma_f64 v[60:61], v[19:20], v[11:12], v[66:67]
	v_fma_f64 v[62:63], v[21:22], v[11:12], v[64:65]
	s_waitcnt vmcnt(4)
	v_fma_f64 v[37:38], v[33:34], v[11:12], v[37:38]
	v_fma_f64 v[21:22], -v[21:22], v[13:14], v[60:61]
	v_add_co_u32 v60, vcc_lo, s14, v58
	v_add_co_ci_u32_e64 v61, null, s15, v59, vcc_lo
	s_clause 0x1
	global_load_dwordx4 v[56:59], v[56:57], off
	global_load_dwordx4 v[52:55], v[54:55], off
	v_fma_f64 v[19:20], v[19:20], v[13:14], v[62:63]
	v_fma_f64 v[62:63], v[35:36], v[11:12], v[70:71]
	v_add_co_u32 v25, vcc_lo, s12, v25
	v_add_co_ci_u32_e64 v26, null, s13, v26, vcc_lo
	v_fma_f64 v[36:37], -v[35:36], v[13:14], v[37:38]
	v_cmp_ge_i32_e32 vcc_lo, v10, v39
	s_or_b32 s0, vcc_lo, s0
	v_fma_f64 v[64:65], v[33:34], v[13:14], v[62:63]
	global_load_dwordx4 v[32:35], v[60:61], off
	global_load_dwordx4 v[60:63], v[25:26], off
	s_waitcnt vmcnt(7)
	v_fma_f64 v[25:26], v[40:41], v[11:12], v[68:69]
	v_fma_f64 v[11:12], v[42:43], v[11:12], v[72:73]
	v_fma_f64 v[25:26], -v[42:43], v[13:14], v[25:26]
	v_fma_f64 v[11:12], v[40:41], v[13:14], v[11:12]
	s_waitcnt vmcnt(5)
	v_fma_f64 v[13:14], v[48:49], v[15:16], v[21:22]
	v_fma_f64 v[19:20], v[50:51], v[15:16], v[19:20]
	s_waitcnt vmcnt(4)
	v_fma_f64 v[21:22], v[28:29], v[15:16], v[36:37]
	v_fma_f64 v[36:37], v[30:31], v[15:16], v[64:65]
	v_fma_f64 v[13:14], -v[50:51], v[17:18], v[13:14]
	s_waitcnt vmcnt(2)
	v_fma_f64 v[25:26], v[52:53], v[15:16], v[25:26]
	v_fma_f64 v[11:12], v[54:55], v[15:16], v[11:12]
	;; [unrolled: 1-line block ×3, first 2 shown]
	v_fma_f64 v[19:20], -v[30:31], v[17:18], v[21:22]
	v_fma_f64 v[21:22], v[28:29], v[17:18], v[36:37]
	v_fma_f64 v[25:26], -v[54:55], v[17:18], v[25:26]
	v_fma_f64 v[11:12], v[52:53], v[17:18], v[11:12]
	s_waitcnt vmcnt(1)
	v_fma_f64 v[13:14], v[56:57], v[32:33], v[13:14]
	v_fma_f64 v[15:16], v[58:59], v[32:33], v[15:16]
	s_waitcnt vmcnt(0)
	v_fma_f64 v[17:18], v[60:61], v[32:33], v[19:20]
	v_fma_f64 v[22:23], v[62:63], v[32:33], v[21:22]
	;; [unrolled: 1-line block ×4, first 2 shown]
	v_fma_f64 v[20:21], -v[58:59], v[34:35], v[13:14]
	v_fma_f64 v[12:13], v[56:57], v[34:35], v[15:16]
	v_fma_f64 v[18:19], -v[62:63], v[34:35], v[17:18]
	v_fma_f64 v[22:23], v[60:61], v[34:35], v[22:23]
	;; [unrolled: 2-line block ×3, first 2 shown]
	s_andn2_b32 exec_lo, exec_lo, s0
	s_cbranch_execnz .LBB139_17
; %bb.18:
	s_or_b32 exec_lo, exec_lo, s0
.LBB139_19:
	s_or_b32 exec_lo, exec_lo, s1
.LBB139_20:
	v_mbcnt_lo_u32_b32 v34, -1, 0
	v_xor_b32_e32 v10, 16, v34
	v_cmp_gt_i32_e32 vcc_lo, 32, v10
	v_cndmask_b32_e32 v10, v34, v10, vcc_lo
	v_lshlrev_b32_e32 v33, 2, v10
	ds_bpermute_b32 v10, v33, v20
	ds_bpermute_b32 v11, v33, v21
	;; [unrolled: 1-line block ×12, first 2 shown]
	s_waitcnt lgkmcnt(10)
	v_add_f64 v[10:11], v[20:21], v[10:11]
	s_waitcnt lgkmcnt(8)
	v_add_f64 v[12:13], v[12:13], v[24:25]
	v_xor_b32_e32 v24, 8, v34
	s_waitcnt lgkmcnt(6)
	v_add_f64 v[18:19], v[18:19], v[26:27]
	s_waitcnt lgkmcnt(4)
	v_add_f64 v[20:21], v[22:23], v[28:29]
	;; [unrolled: 2-line block ×3, first 2 shown]
	v_cmp_gt_i32_e32 vcc_lo, 32, v24
	s_waitcnt lgkmcnt(0)
	v_add_f64 v[16:17], v[16:17], v[32:33]
	v_cndmask_b32_e32 v22, v34, v24, vcc_lo
	v_lshlrev_b32_e32 v33, 2, v22
	ds_bpermute_b32 v22, v33, v10
	ds_bpermute_b32 v23, v33, v11
	;; [unrolled: 1-line block ×12, first 2 shown]
	s_waitcnt lgkmcnt(10)
	v_add_f64 v[10:11], v[10:11], v[22:23]
	v_xor_b32_e32 v22, 4, v34
	s_waitcnt lgkmcnt(8)
	v_add_f64 v[12:13], v[12:13], v[24:25]
	s_waitcnt lgkmcnt(6)
	v_add_f64 v[18:19], v[18:19], v[26:27]
	;; [unrolled: 2-line block ×3, first 2 shown]
	v_cmp_gt_i32_e32 vcc_lo, 32, v22
	s_waitcnt lgkmcnt(2)
	v_add_f64 v[14:15], v[14:15], v[30:31]
	s_waitcnt lgkmcnt(0)
	v_add_f64 v[16:17], v[16:17], v[32:33]
	v_cndmask_b32_e32 v22, v34, v22, vcc_lo
	v_lshlrev_b32_e32 v33, 2, v22
	ds_bpermute_b32 v22, v33, v10
	ds_bpermute_b32 v23, v33, v11
	;; [unrolled: 1-line block ×12, first 2 shown]
	s_waitcnt lgkmcnt(10)
	v_add_f64 v[10:11], v[10:11], v[22:23]
	s_waitcnt lgkmcnt(8)
	v_add_f64 v[12:13], v[12:13], v[24:25]
	v_xor_b32_e32 v24, 2, v34
	s_waitcnt lgkmcnt(6)
	v_add_f64 v[18:19], v[18:19], v[26:27]
	s_waitcnt lgkmcnt(4)
	v_add_f64 v[22:23], v[20:21], v[28:29]
	;; [unrolled: 2-line block ×3, first 2 shown]
	v_cmp_gt_i32_e32 vcc_lo, 32, v24
	s_waitcnt lgkmcnt(0)
	v_add_f64 v[16:17], v[16:17], v[32:33]
	v_cndmask_b32_e32 v20, v34, v24, vcc_lo
	v_lshlrev_b32_e32 v33, 2, v20
	ds_bpermute_b32 v20, v33, v10
	ds_bpermute_b32 v21, v33, v11
	;; [unrolled: 1-line block ×12, first 2 shown]
	s_waitcnt lgkmcnt(10)
	v_add_f64 v[10:11], v[10:11], v[20:21]
	s_waitcnt lgkmcnt(8)
	v_add_f64 v[20:21], v[12:13], v[24:25]
	v_xor_b32_e32 v24, 1, v34
	s_waitcnt lgkmcnt(6)
	v_add_f64 v[12:13], v[18:19], v[26:27]
	s_waitcnt lgkmcnt(4)
	v_add_f64 v[18:19], v[22:23], v[28:29]
	;; [unrolled: 2-line block ×3, first 2 shown]
	v_cmp_gt_i32_e32 vcc_lo, 32, v24
	s_waitcnt lgkmcnt(0)
	v_add_f64 v[16:17], v[16:17], v[32:33]
	v_cndmask_b32_e32 v22, v34, v24, vcc_lo
	v_cmp_eq_u32_e32 vcc_lo, 31, v0
	v_lshlrev_b32_e32 v25, 2, v22
	ds_bpermute_b32 v32, v25, v10
	ds_bpermute_b32 v33, v25, v11
	;; [unrolled: 1-line block ×12, first 2 shown]
	s_and_b32 exec_lo, exec_lo, vcc_lo
	s_cbranch_execz .LBB139_25
; %bb.21:
	v_cmp_eq_f64_e32 vcc_lo, 0, v[5:6]
	v_cmp_eq_f64_e64 s0, 0, v[7:8]
	s_waitcnt lgkmcnt(10)
	v_add_f64 v[10:11], v[10:11], v[32:33]
	s_waitcnt lgkmcnt(8)
	v_add_f64 v[20:21], v[20:21], v[30:31]
	;; [unrolled: 2-line block ×6, first 2 shown]
	s_load_dwordx2 s[2:3], s[4:5], 0x48
	s_and_b32 s0, vcc_lo, s0
	s_and_saveexec_b32 s1, s0
	s_xor_b32 s0, exec_lo, s1
	s_cbranch_execz .LBB139_23
; %bb.22:
	v_mul_f64 v[5:6], v[20:21], -v[3:4]
	v_mul_f64 v[7:8], v[1:2], v[20:21]
	v_mul_f64 v[20:21], v[18:19], -v[3:4]
	v_mul_f64 v[18:19], v[1:2], v[18:19]
	;; [unrolled: 2-line block ×3, first 2 shown]
	v_lshl_add_u32 v24, v9, 1, v9
	v_ashrrev_i32_e32 v25, 31, v24
	v_fma_f64 v[5:6], v[1:2], v[10:11], v[5:6]
	v_fma_f64 v[7:8], v[3:4], v[10:11], v[7:8]
	;; [unrolled: 1-line block ×6, first 2 shown]
	v_lshlrev_b64 v[13:14], 4, v[24:25]
                                        ; implicit-def: $vgpr20_vgpr21
                                        ; implicit-def: $vgpr18_vgpr19
                                        ; implicit-def: $vgpr16_vgpr17
	s_waitcnt lgkmcnt(0)
	v_add_co_u32 v13, vcc_lo, s2, v13
	v_add_co_ci_u32_e64 v14, null, s3, v14, vcc_lo
	global_store_dwordx4 v[13:14], v[5:8], off
	global_store_dwordx4 v[13:14], v[9:12], off offset:16
	global_store_dwordx4 v[13:14], v[0:3], off offset:32
                                        ; implicit-def: $vgpr9
                                        ; implicit-def: $vgpr10_vgpr11
                                        ; implicit-def: $vgpr12_vgpr13
                                        ; implicit-def: $vgpr14_vgpr15
                                        ; implicit-def: $vgpr7_vgpr8
                                        ; implicit-def: $vgpr3_vgpr4
.LBB139_23:
	s_andn2_saveexec_b32 s0, s0
	s_cbranch_execz .LBB139_25
; %bb.24:
	v_lshl_add_u32 v22, v9, 1, v9
	v_mul_f64 v[36:37], v[20:21], -v[3:4]
	v_mul_f64 v[20:21], v[1:2], v[20:21]
	v_mul_f64 v[38:39], v[18:19], -v[3:4]
	v_mul_f64 v[18:19], v[1:2], v[18:19]
	v_ashrrev_i32_e32 v23, 31, v22
	v_mul_f64 v[40:41], v[16:17], -v[3:4]
	v_mul_f64 v[16:17], v[1:2], v[16:17]
	v_lshlrev_b64 v[22:23], 4, v[22:23]
	s_waitcnt lgkmcnt(0)
	v_add_co_u32 v34, vcc_lo, s2, v22
	v_add_co_ci_u32_e64 v35, null, s3, v23, vcc_lo
	s_clause 0x2
	global_load_dwordx4 v[22:25], v[34:35], off
	global_load_dwordx4 v[26:29], v[34:35], off offset:16
	global_load_dwordx4 v[30:33], v[34:35], off offset:32
	v_fma_f64 v[36:37], v[1:2], v[10:11], v[36:37]
	v_fma_f64 v[9:10], v[3:4], v[10:11], v[20:21]
	v_fma_f64 v[20:21], v[1:2], v[12:13], v[38:39]
	v_fma_f64 v[11:12], v[3:4], v[12:13], v[18:19]
	v_fma_f64 v[0:1], v[1:2], v[14:15], v[40:41]
	v_fma_f64 v[2:3], v[3:4], v[14:15], v[16:17]
	s_waitcnt vmcnt(2)
	v_fma_f64 v[13:14], v[5:6], v[22:23], v[36:37]
	v_fma_f64 v[9:10], v[7:8], v[22:23], v[9:10]
	s_waitcnt vmcnt(1)
	v_fma_f64 v[15:16], v[5:6], v[26:27], v[20:21]
	v_fma_f64 v[11:12], v[7:8], v[26:27], v[11:12]
	;; [unrolled: 3-line block ×3, first 2 shown]
	v_fma_f64 v[0:1], -v[7:8], v[24:25], v[13:14]
	v_fma_f64 v[2:3], v[5:6], v[24:25], v[9:10]
	v_fma_f64 v[9:10], -v[7:8], v[28:29], v[15:16]
	v_fma_f64 v[11:12], v[5:6], v[28:29], v[11:12]
	;; [unrolled: 2-line block ×3, first 2 shown]
	global_store_dwordx4 v[34:35], v[0:3], off
	global_store_dwordx4 v[34:35], v[9:12], off offset:16
	global_store_dwordx4 v[34:35], v[13:16], off offset:32
.LBB139_25:
	s_endpgm
	.section	.rodata,"a",@progbits
	.p2align	6, 0x0
	.amdhsa_kernel _ZN9rocsparseL19gebsrmvn_3xn_kernelILj128ELj7ELj32E21rocsparse_complex_numIdEEEvi20rocsparse_direction_NS_24const_host_device_scalarIT2_EEPKiS8_PKS5_SA_S6_PS5_21rocsparse_index_base_b
		.amdhsa_group_segment_fixed_size 0
		.amdhsa_private_segment_fixed_size 0
		.amdhsa_kernarg_size 88
		.amdhsa_user_sgpr_count 6
		.amdhsa_user_sgpr_private_segment_buffer 1
		.amdhsa_user_sgpr_dispatch_ptr 0
		.amdhsa_user_sgpr_queue_ptr 0
		.amdhsa_user_sgpr_kernarg_segment_ptr 1
		.amdhsa_user_sgpr_dispatch_id 0
		.amdhsa_user_sgpr_flat_scratch_init 0
		.amdhsa_user_sgpr_private_segment_size 0
		.amdhsa_wavefront_size32 1
		.amdhsa_uses_dynamic_stack 0
		.amdhsa_system_sgpr_private_segment_wavefront_offset 0
		.amdhsa_system_sgpr_workgroup_id_x 1
		.amdhsa_system_sgpr_workgroup_id_y 0
		.amdhsa_system_sgpr_workgroup_id_z 0
		.amdhsa_system_sgpr_workgroup_info 0
		.amdhsa_system_vgpr_workitem_id 0
		.amdhsa_next_free_vgpr 74
		.amdhsa_next_free_sgpr 16
		.amdhsa_reserve_vcc 1
		.amdhsa_reserve_flat_scratch 0
		.amdhsa_float_round_mode_32 0
		.amdhsa_float_round_mode_16_64 0
		.amdhsa_float_denorm_mode_32 3
		.amdhsa_float_denorm_mode_16_64 3
		.amdhsa_dx10_clamp 1
		.amdhsa_ieee_mode 1
		.amdhsa_fp16_overflow 0
		.amdhsa_workgroup_processor_mode 1
		.amdhsa_memory_ordered 1
		.amdhsa_forward_progress 1
		.amdhsa_shared_vgpr_count 0
		.amdhsa_exception_fp_ieee_invalid_op 0
		.amdhsa_exception_fp_denorm_src 0
		.amdhsa_exception_fp_ieee_div_zero 0
		.amdhsa_exception_fp_ieee_overflow 0
		.amdhsa_exception_fp_ieee_underflow 0
		.amdhsa_exception_fp_ieee_inexact 0
		.amdhsa_exception_int_div_zero 0
	.end_amdhsa_kernel
	.section	.text._ZN9rocsparseL19gebsrmvn_3xn_kernelILj128ELj7ELj32E21rocsparse_complex_numIdEEEvi20rocsparse_direction_NS_24const_host_device_scalarIT2_EEPKiS8_PKS5_SA_S6_PS5_21rocsparse_index_base_b,"axG",@progbits,_ZN9rocsparseL19gebsrmvn_3xn_kernelILj128ELj7ELj32E21rocsparse_complex_numIdEEEvi20rocsparse_direction_NS_24const_host_device_scalarIT2_EEPKiS8_PKS5_SA_S6_PS5_21rocsparse_index_base_b,comdat
.Lfunc_end139:
	.size	_ZN9rocsparseL19gebsrmvn_3xn_kernelILj128ELj7ELj32E21rocsparse_complex_numIdEEEvi20rocsparse_direction_NS_24const_host_device_scalarIT2_EEPKiS8_PKS5_SA_S6_PS5_21rocsparse_index_base_b, .Lfunc_end139-_ZN9rocsparseL19gebsrmvn_3xn_kernelILj128ELj7ELj32E21rocsparse_complex_numIdEEEvi20rocsparse_direction_NS_24const_host_device_scalarIT2_EEPKiS8_PKS5_SA_S6_PS5_21rocsparse_index_base_b
                                        ; -- End function
	.set _ZN9rocsparseL19gebsrmvn_3xn_kernelILj128ELj7ELj32E21rocsparse_complex_numIdEEEvi20rocsparse_direction_NS_24const_host_device_scalarIT2_EEPKiS8_PKS5_SA_S6_PS5_21rocsparse_index_base_b.num_vgpr, 74
	.set _ZN9rocsparseL19gebsrmvn_3xn_kernelILj128ELj7ELj32E21rocsparse_complex_numIdEEEvi20rocsparse_direction_NS_24const_host_device_scalarIT2_EEPKiS8_PKS5_SA_S6_PS5_21rocsparse_index_base_b.num_agpr, 0
	.set _ZN9rocsparseL19gebsrmvn_3xn_kernelILj128ELj7ELj32E21rocsparse_complex_numIdEEEvi20rocsparse_direction_NS_24const_host_device_scalarIT2_EEPKiS8_PKS5_SA_S6_PS5_21rocsparse_index_base_b.numbered_sgpr, 16
	.set _ZN9rocsparseL19gebsrmvn_3xn_kernelILj128ELj7ELj32E21rocsparse_complex_numIdEEEvi20rocsparse_direction_NS_24const_host_device_scalarIT2_EEPKiS8_PKS5_SA_S6_PS5_21rocsparse_index_base_b.num_named_barrier, 0
	.set _ZN9rocsparseL19gebsrmvn_3xn_kernelILj128ELj7ELj32E21rocsparse_complex_numIdEEEvi20rocsparse_direction_NS_24const_host_device_scalarIT2_EEPKiS8_PKS5_SA_S6_PS5_21rocsparse_index_base_b.private_seg_size, 0
	.set _ZN9rocsparseL19gebsrmvn_3xn_kernelILj128ELj7ELj32E21rocsparse_complex_numIdEEEvi20rocsparse_direction_NS_24const_host_device_scalarIT2_EEPKiS8_PKS5_SA_S6_PS5_21rocsparse_index_base_b.uses_vcc, 1
	.set _ZN9rocsparseL19gebsrmvn_3xn_kernelILj128ELj7ELj32E21rocsparse_complex_numIdEEEvi20rocsparse_direction_NS_24const_host_device_scalarIT2_EEPKiS8_PKS5_SA_S6_PS5_21rocsparse_index_base_b.uses_flat_scratch, 0
	.set _ZN9rocsparseL19gebsrmvn_3xn_kernelILj128ELj7ELj32E21rocsparse_complex_numIdEEEvi20rocsparse_direction_NS_24const_host_device_scalarIT2_EEPKiS8_PKS5_SA_S6_PS5_21rocsparse_index_base_b.has_dyn_sized_stack, 0
	.set _ZN9rocsparseL19gebsrmvn_3xn_kernelILj128ELj7ELj32E21rocsparse_complex_numIdEEEvi20rocsparse_direction_NS_24const_host_device_scalarIT2_EEPKiS8_PKS5_SA_S6_PS5_21rocsparse_index_base_b.has_recursion, 0
	.set _ZN9rocsparseL19gebsrmvn_3xn_kernelILj128ELj7ELj32E21rocsparse_complex_numIdEEEvi20rocsparse_direction_NS_24const_host_device_scalarIT2_EEPKiS8_PKS5_SA_S6_PS5_21rocsparse_index_base_b.has_indirect_call, 0
	.section	.AMDGPU.csdata,"",@progbits
; Kernel info:
; codeLenInByte = 4564
; TotalNumSgprs: 18
; NumVgprs: 74
; ScratchSize: 0
; MemoryBound: 0
; FloatMode: 240
; IeeeMode: 1
; LDSByteSize: 0 bytes/workgroup (compile time only)
; SGPRBlocks: 0
; VGPRBlocks: 9
; NumSGPRsForWavesPerEU: 18
; NumVGPRsForWavesPerEU: 74
; Occupancy: 12
; WaveLimiterHint : 1
; COMPUTE_PGM_RSRC2:SCRATCH_EN: 0
; COMPUTE_PGM_RSRC2:USER_SGPR: 6
; COMPUTE_PGM_RSRC2:TRAP_HANDLER: 0
; COMPUTE_PGM_RSRC2:TGID_X_EN: 1
; COMPUTE_PGM_RSRC2:TGID_Y_EN: 0
; COMPUTE_PGM_RSRC2:TGID_Z_EN: 0
; COMPUTE_PGM_RSRC2:TIDIG_COMP_CNT: 0
	.section	.text._ZN9rocsparseL19gebsrmvn_3xn_kernelILj128ELj7ELj64E21rocsparse_complex_numIdEEEvi20rocsparse_direction_NS_24const_host_device_scalarIT2_EEPKiS8_PKS5_SA_S6_PS5_21rocsparse_index_base_b,"axG",@progbits,_ZN9rocsparseL19gebsrmvn_3xn_kernelILj128ELj7ELj64E21rocsparse_complex_numIdEEEvi20rocsparse_direction_NS_24const_host_device_scalarIT2_EEPKiS8_PKS5_SA_S6_PS5_21rocsparse_index_base_b,comdat
	.globl	_ZN9rocsparseL19gebsrmvn_3xn_kernelILj128ELj7ELj64E21rocsparse_complex_numIdEEEvi20rocsparse_direction_NS_24const_host_device_scalarIT2_EEPKiS8_PKS5_SA_S6_PS5_21rocsparse_index_base_b ; -- Begin function _ZN9rocsparseL19gebsrmvn_3xn_kernelILj128ELj7ELj64E21rocsparse_complex_numIdEEEvi20rocsparse_direction_NS_24const_host_device_scalarIT2_EEPKiS8_PKS5_SA_S6_PS5_21rocsparse_index_base_b
	.p2align	8
	.type	_ZN9rocsparseL19gebsrmvn_3xn_kernelILj128ELj7ELj64E21rocsparse_complex_numIdEEEvi20rocsparse_direction_NS_24const_host_device_scalarIT2_EEPKiS8_PKS5_SA_S6_PS5_21rocsparse_index_base_b,@function
_ZN9rocsparseL19gebsrmvn_3xn_kernelILj128ELj7ELj64E21rocsparse_complex_numIdEEEvi20rocsparse_direction_NS_24const_host_device_scalarIT2_EEPKiS8_PKS5_SA_S6_PS5_21rocsparse_index_base_b: ; @_ZN9rocsparseL19gebsrmvn_3xn_kernelILj128ELj7ELj64E21rocsparse_complex_numIdEEEvi20rocsparse_direction_NS_24const_host_device_scalarIT2_EEPKiS8_PKS5_SA_S6_PS5_21rocsparse_index_base_b
; %bb.0:
	s_clause 0x1
	s_load_dwordx2 s[2:3], s[4:5], 0x50
	s_load_dwordx2 s[0:1], s[4:5], 0x8
	s_add_u32 s7, s4, 8
	s_addc_u32 s10, s5, 0
	s_add_u32 s11, s4, 56
	s_addc_u32 s12, s5, 0
	s_load_dwordx2 s[8:9], s[4:5], 0x38
	s_waitcnt lgkmcnt(0)
	s_bitcmp1_b32 s3, 0
	s_cselect_b32 s0, s7, s0
	s_cselect_b32 s1, s10, s1
	v_mov_b32_e32 v1, s0
	v_mov_b32_e32 v2, s1
	s_cselect_b32 s0, s11, s8
	s_cselect_b32 s1, s12, s9
	v_mov_b32_e32 v5, s0
	v_mov_b32_e32 v6, s1
	flat_load_dwordx4 v[1:4], v[1:2]
	flat_load_dwordx4 v[5:8], v[5:6]
	s_waitcnt vmcnt(1) lgkmcnt(1)
	v_cmp_eq_f64_e32 vcc_lo, 0, v[1:2]
	v_cmp_eq_f64_e64 s0, 0, v[3:4]
	s_and_b32 s3, vcc_lo, s0
	s_mov_b32 s0, -1
	s_and_saveexec_b32 s1, s3
	s_cbranch_execz .LBB140_2
; %bb.1:
	s_waitcnt vmcnt(0) lgkmcnt(0)
	v_cmp_neq_f64_e32 vcc_lo, 1.0, v[5:6]
	v_cmp_neq_f64_e64 s0, 0, v[7:8]
	s_or_b32 s0, vcc_lo, s0
	s_orn2_b32 s0, s0, exec_lo
.LBB140_2:
	s_or_b32 exec_lo, exec_lo, s1
	s_and_saveexec_b32 s1, s0
	s_cbranch_execz .LBB140_25
; %bb.3:
	s_load_dwordx2 s[0:1], s[4:5], 0x0
	v_lshrrev_b32_e32 v9, 6, v0
	v_lshl_or_b32 v9, s6, 1, v9
	s_waitcnt lgkmcnt(0)
	v_cmp_gt_i32_e32 vcc_lo, s0, v9
	s_and_b32 exec_lo, exec_lo, vcc_lo
	s_cbranch_execz .LBB140_25
; %bb.4:
	s_load_dwordx8 s[8:15], s[4:5], 0x18
	v_ashrrev_i32_e32 v10, 31, v9
	v_and_b32_e32 v0, 63, v0
	s_cmp_lg_u32 s1, 0
	v_lshlrev_b64 v[10:11], 2, v[9:10]
	s_waitcnt lgkmcnt(0)
	v_add_co_u32 v10, vcc_lo, s8, v10
	v_add_co_ci_u32_e64 v11, null, s9, v11, vcc_lo
	global_load_dwordx2 v[11:12], v[10:11], off
	s_waitcnt vmcnt(0)
	v_subrev_nc_u32_e32 v10, s2, v11
	v_subrev_nc_u32_e32 v39, s2, v12
	v_add_nc_u32_e32 v10, v10, v0
	v_cmp_lt_i32_e64 s0, v10, v39
	s_cbranch_scc0 .LBB140_12
; %bb.5:
	v_mov_b32_e32 v12, 0
	v_mov_b32_e32 v20, 0
	;; [unrolled: 1-line block ×12, first 2 shown]
	s_and_saveexec_b32 s1, s0
	s_cbranch_execz .LBB140_14
; %bb.6:
	v_mul_lo_u32 v11, v11, 21
	v_mul_lo_u32 v40, v10, 21
	s_mul_i32 s3, s2, 21
	v_mov_b32_e32 v12, 0
	v_mov_b32_e32 v20, 0
	;; [unrolled: 1-line block ×5, first 2 shown]
	v_mad_u32_u24 v11, v0, 21, v11
	v_mov_b32_e32 v22, 0
	v_mov_b32_e32 v13, 0
	;; [unrolled: 1-line block ×8, first 2 shown]
	v_subrev_nc_u32_e32 v41, s3, v11
	v_mov_b32_e32 v26, v10
	s_mov_b32 s3, 0
	s_branch .LBB140_8
.LBB140_7:                              ;   in Loop: Header=BB140_8 Depth=1
	v_add_nc_u32_e32 v26, 64, v26
	v_add_nc_u32_e32 v40, 0x540, v40
	v_add_nc_u32_e32 v41, 0x540, v41
	v_cmp_ge_i32_e32 vcc_lo, v26, v39
	s_or_b32 s3, vcc_lo, s3
	s_andn2_b32 exec_lo, exec_lo, s3
	s_cbranch_execz .LBB140_13
.LBB140_8:                              ; =>This Loop Header: Depth=1
                                        ;     Child Loop BB140_10 Depth 2
	v_ashrrev_i32_e32 v27, 31, v26
	v_mov_b32_e32 v32, v13
	v_mov_b32_e32 v34, v21
	;; [unrolled: 1-line block ×4, first 2 shown]
	v_lshlrev_b64 v[27:28], 2, v[26:27]
	v_mov_b32_e32 v38, v23
	v_mov_b32_e32 v31, v12
	;; [unrolled: 1-line block ×5, first 2 shown]
	v_add_co_u32 v27, vcc_lo, s10, v27
	v_add_co_ci_u32_e64 v28, null, s11, v28, vcc_lo
	v_mov_b32_e32 v37, v22
	s_mov_b32 s6, 0
	global_load_dword v11, v[27:28], off
	v_mov_b32_e32 v28, v17
	v_mov_b32_e32 v27, v16
	s_waitcnt vmcnt(0)
	v_subrev_nc_u32_e32 v11, s2, v11
	v_mul_lo_u32 v11, v11, 7
	s_branch .LBB140_10
.LBB140_9:                              ;   in Loop: Header=BB140_8 Depth=1
                                        ; implicit-def: $vgpr37_vgpr38
                                        ; implicit-def: $vgpr35_vgpr36
                                        ; implicit-def: $vgpr27_vgpr28
                                        ; implicit-def: $vgpr29_vgpr30
                                        ; implicit-def: $vgpr33_vgpr34
                                        ; implicit-def: $vgpr31_vgpr32
                                        ; implicit-def: $sgpr6
                                        ; implicit-def: $vgpr11
	s_branch .LBB140_7
.LBB140_10:                             ;   Parent Loop BB140_8 Depth=1
                                        ; =>  This Inner Loop Header: Depth=2
	v_add_nc_u32_e32 v24, s6, v41
	v_add_nc_u32_e32 v42, s6, v40
	v_mov_b32_e32 v12, v25
	s_cmp_eq_u32 s6, 18
	v_lshlrev_b64 v[13:14], 4, v[24:25]
	v_add_nc_u32_e32 v24, 1, v42
	v_lshlrev_b64 v[15:16], 4, v[11:12]
	v_lshlrev_b64 v[17:18], 4, v[24:25]
	v_add_nc_u32_e32 v24, 2, v42
	v_add_co_u32 v12, vcc_lo, s12, v13
	v_add_co_ci_u32_e64 v13, null, s13, v14, vcc_lo
	v_lshlrev_b64 v[21:22], 4, v[24:25]
	v_add_co_u32 v19, vcc_lo, s14, v15
	v_add_co_ci_u32_e64 v20, null, s15, v16, vcc_lo
	v_add_co_u32 v16, vcc_lo, s12, v17
	v_add_co_ci_u32_e64 v17, null, s13, v18, vcc_lo
	;; [unrolled: 2-line block ×3, first 2 shown]
	global_load_dwordx4 v[12:15], v[12:13], off
	global_load_dwordx4 v[43:46], v[19:20], off
	s_clause 0x1
	global_load_dwordx4 v[16:19], v[16:17], off
	global_load_dwordx4 v[47:50], v[21:22], off
	s_waitcnt vmcnt(2)
	v_fma_f64 v[20:21], v[12:13], v[43:44], v[33:34]
	v_fma_f64 v[22:23], v[14:15], v[43:44], v[31:32]
	s_waitcnt vmcnt(1)
	v_fma_f64 v[31:32], v[16:17], v[43:44], v[35:36]
	v_fma_f64 v[33:34], v[18:19], v[43:44], v[37:38]
	;; [unrolled: 3-line block ×3, first 2 shown]
	v_fma_f64 v[20:21], -v[14:15], v[45:46], v[20:21]
	v_fma_f64 v[12:13], v[12:13], v[45:46], v[22:23]
	v_fma_f64 v[18:19], -v[18:19], v[45:46], v[31:32]
	v_fma_f64 v[22:23], v[16:17], v[45:46], v[33:34]
	;; [unrolled: 2-line block ×3, first 2 shown]
	s_cbranch_scc1 .LBB140_9
; %bb.11:                               ;   in Loop: Header=BB140_10 Depth=2
	v_add_nc_u32_e32 v24, 3, v42
	s_add_i32 s6, s6, 6
	v_lshlrev_b64 v[27:28], 4, v[24:25]
	v_add_nc_u32_e32 v24, 1, v11
	v_add_nc_u32_e32 v11, 2, v11
	v_lshlrev_b64 v[31:32], 4, v[24:25]
	v_add_nc_u32_e32 v24, 4, v42
	v_add_co_u32 v27, vcc_lo, s12, v27
	v_add_co_ci_u32_e64 v28, null, s13, v28, vcc_lo
	v_lshlrev_b64 v[33:34], 4, v[24:25]
	v_add_nc_u32_e32 v24, 5, v42
	v_add_co_u32 v31, vcc_lo, s14, v31
	v_add_co_ci_u32_e64 v32, null, s15, v32, vcc_lo
	v_lshlrev_b64 v[35:36], 4, v[24:25]
	v_add_co_u32 v33, vcc_lo, s12, v33
	v_add_co_ci_u32_e64 v34, null, s13, v34, vcc_lo
	global_load_dwordx4 v[27:30], v[27:28], off
	v_add_co_u32 v35, vcc_lo, s12, v35
	v_add_co_ci_u32_e64 v36, null, s13, v36, vcc_lo
	global_load_dwordx4 v[42:45], v[31:32], off
	s_clause 0x1
	global_load_dwordx4 v[46:49], v[33:34], off
	global_load_dwordx4 v[50:53], v[35:36], off
	s_waitcnt vmcnt(2)
	v_fma_f64 v[31:32], v[27:28], v[42:43], v[20:21]
	v_fma_f64 v[35:36], v[29:30], v[42:43], v[12:13]
	s_waitcnt vmcnt(1)
	v_fma_f64 v[37:38], v[46:47], v[42:43], v[18:19]
	v_fma_f64 v[54:55], v[48:49], v[42:43], v[22:23]
	;; [unrolled: 3-line block ×3, first 2 shown]
	v_fma_f64 v[33:34], -v[29:30], v[44:45], v[31:32]
	v_fma_f64 v[31:32], v[27:28], v[44:45], v[35:36]
	v_fma_f64 v[35:36], -v[48:49], v[44:45], v[37:38]
	v_fma_f64 v[37:38], v[46:47], v[44:45], v[54:55]
	v_fma_f64 v[29:30], -v[52:53], v[44:45], v[56:57]
	v_fma_f64 v[27:28], v[50:51], v[44:45], v[42:43]
	s_cbranch_execnz .LBB140_10
	s_branch .LBB140_7
.LBB140_12:
                                        ; implicit-def: $vgpr12_vgpr13
                                        ; implicit-def: $vgpr20_vgpr21
                                        ; implicit-def: $vgpr14_vgpr15
                                        ; implicit-def: $vgpr16_vgpr17
                                        ; implicit-def: $vgpr18_vgpr19
                                        ; implicit-def: $vgpr22_vgpr23
	s_branch .LBB140_15
.LBB140_13:
	s_or_b32 exec_lo, exec_lo, s3
.LBB140_14:
	s_or_b32 exec_lo, exec_lo, s1
	s_cbranch_execnz .LBB140_20
.LBB140_15:
	v_mov_b32_e32 v12, 0
	v_mov_b32_e32 v20, 0
	v_mov_b32_e32 v14, 0
	v_mov_b32_e32 v16, 0
	v_mov_b32_e32 v18, 0
	v_mov_b32_e32 v22, 0
	v_mov_b32_e32 v13, 0
	v_mov_b32_e32 v21, 0
	v_mov_b32_e32 v15, 0
	v_mov_b32_e32 v17, 0
	v_mov_b32_e32 v19, 0
	v_mov_b32_e32 v23, 0
	s_and_saveexec_b32 s1, s0
	s_cbranch_execz .LBB140_19
; %bb.16:
	v_mad_u64_u32 v[24:25], null, v10, 21, 20
	v_mov_b32_e32 v12, 0
	v_mov_b32_e32 v20, 0
	;; [unrolled: 1-line block ×13, first 2 shown]
	s_mov_b32 s0, 0
.LBB140_17:                             ; =>This Inner Loop Header: Depth=1
	v_ashrrev_i32_e32 v11, 31, v10
	v_subrev_nc_u32_e32 v26, 20, v24
	v_add_nc_u32_e32 v30, -13, v24
	v_mov_b32_e32 v31, v27
	v_add_nc_u32_e32 v32, -6, v24
	v_lshlrev_b64 v[36:37], 2, v[10:11]
	v_mov_b32_e32 v33, v27
	v_lshlrev_b64 v[34:35], 4, v[26:27]
	v_mov_b32_e32 v25, v27
	v_lshlrev_b64 v[30:31], 4, v[30:31]
	v_subrev_nc_u32_e32 v26, 19, v24
	v_add_co_u32 v36, vcc_lo, s10, v36
	v_add_co_ci_u32_e64 v37, null, s11, v37, vcc_lo
	v_lshlrev_b64 v[32:33], 4, v[32:33]
	v_mov_b32_e32 v29, v27
	v_lshlrev_b64 v[40:41], 4, v[24:25]
	global_load_dword v11, v[36:37], off
	v_add_co_u32 v34, vcc_lo, s12, v34
	v_lshlrev_b64 v[25:26], 4, v[26:27]
	v_add_co_ci_u32_e64 v35, null, s13, v35, vcc_lo
	v_add_co_u32 v42, vcc_lo, s12, v30
	v_add_co_ci_u32_e64 v43, null, s13, v31, vcc_lo
	v_add_co_u32 v44, vcc_lo, s12, v32
	;; [unrolled: 2-line block ×4, first 2 shown]
	v_add_co_ci_u32_e64 v26, null, s13, v26, vcc_lo
	s_clause 0x4
	global_load_dwordx4 v[30:33], v[34:35], off
	global_load_dwordx4 v[34:37], v[42:43], off
	;; [unrolled: 1-line block ×5, first 2 shown]
	v_add_nc_u32_e32 v10, 64, v10
	s_waitcnt vmcnt(5)
	v_subrev_nc_u32_e32 v11, s2, v11
	v_mul_lo_u32 v28, v11, 7
	v_lshlrev_b64 v[52:53], 4, v[28:29]
	v_add_nc_u32_e32 v26, 1, v28
	v_lshlrev_b64 v[56:57], 4, v[26:27]
	v_add_co_u32 v52, vcc_lo, s14, v52
	v_add_co_ci_u32_e64 v53, null, s15, v53, vcc_lo
	v_add_nc_u32_e32 v26, -12, v24
	v_add_co_u32 v56, vcc_lo, s14, v56
	global_load_dwordx4 v[52:55], v[52:53], off
	v_add_co_ci_u32_e64 v57, null, s15, v57, vcc_lo
	v_lshlrev_b64 v[60:61], 4, v[26:27]
	v_add_nc_u32_e32 v26, -5, v24
	global_load_dwordx4 v[56:59], v[56:57], off
	v_lshlrev_b64 v[62:63], 4, v[26:27]
	v_add_co_u32 v60, vcc_lo, s12, v60
	v_add_co_ci_u32_e64 v61, null, s13, v61, vcc_lo
	v_subrev_nc_u32_e32 v26, 18, v24
	v_add_co_u32 v66, vcc_lo, s12, v62
	v_add_co_ci_u32_e64 v67, null, s13, v63, vcc_lo
	global_load_dwordx4 v[60:63], v[60:61], off
	v_lshlrev_b64 v[64:65], 4, v[26:27]
	v_add_nc_u32_e32 v26, 2, v28
	v_lshlrev_b64 v[68:69], 4, v[26:27]
	v_add_co_u32 v64, vcc_lo, s12, v64
	v_add_co_ci_u32_e64 v65, null, s13, v65, vcc_lo
	v_add_nc_u32_e32 v26, -11, v24
	s_waitcnt vmcnt(2)
	v_fma_f64 v[20:21], v[30:31], v[52:53], v[20:21]
	v_fma_f64 v[11:12], v[32:33], v[52:53], v[12:13]
	;; [unrolled: 1-line block ×5, first 2 shown]
	v_fma_f64 v[70:71], -v[32:33], v[54:55], v[20:21]
	v_fma_f64 v[72:73], v[30:31], v[54:55], v[11:12]
	global_load_dwordx4 v[29:32], v[66:67], off
	v_fma_f64 v[20:21], v[36:37], v[52:53], v[22:23]
	v_add_co_u32 v11, vcc_lo, s14, v68
	v_add_co_ci_u32_e64 v12, null, s15, v69, vcc_lo
	v_fma_f64 v[22:23], -v[36:37], v[54:55], v[18:19]
	v_fma_f64 v[52:53], -v[42:43], v[54:55], v[13:14]
	v_lshlrev_b64 v[66:67], 4, v[26:27]
	global_load_dwordx4 v[11:14], v[11:12], off
	v_add_nc_u32_e32 v26, -4, v24
	v_fma_f64 v[15:16], v[40:41], v[54:55], v[15:16]
	s_waitcnt vmcnt(3)
	v_fma_f64 v[42:43], v[48:49], v[56:57], v[70:71]
	v_fma_f64 v[37:38], v[34:35], v[54:55], v[20:21]
	global_load_dwordx4 v[18:21], v[64:65], off
	v_lshlrev_b64 v[33:34], 4, v[26:27]
	v_add_co_u32 v35, vcc_lo, s12, v66
	v_add_co_ci_u32_e64 v36, null, s13, v67, vcc_lo
	v_fma_f64 v[66:67], v[50:51], v[56:57], v[72:73]
	v_add_co_u32 v40, vcc_lo, s12, v33
	v_add_co_ci_u32_e64 v41, null, s13, v34, vcc_lo
	global_load_dwordx4 v[33:36], v[35:36], off
	v_subrev_nc_u32_e32 v26, 17, v24
	s_waitcnt vmcnt(4)
	v_fma_f64 v[22:23], v[60:61], v[56:57], v[22:23]
	v_lshlrev_b64 v[54:55], 4, v[26:27]
	v_fma_f64 v[68:69], -v[50:51], v[58:59], v[42:43]
	global_load_dwordx4 v[40:43], v[40:41], off
	v_add_nc_u32_e32 v26, 3, v28
	v_fma_f64 v[37:38], v[62:63], v[56:57], v[37:38]
	v_lshlrev_b64 v[64:65], 4, v[26:27]
	v_add_nc_u32_e32 v26, -10, v24
	v_fma_f64 v[66:67], v[48:49], v[58:59], v[66:67]
	v_add_co_u32 v48, vcc_lo, s12, v54
	v_add_co_ci_u32_e64 v49, null, s13, v55, vcc_lo
	v_add_co_u32 v54, vcc_lo, s14, v64
	v_add_co_ci_u32_e64 v55, null, s15, v65, vcc_lo
	v_lshlrev_b64 v[64:65], 4, v[26:27]
	v_fma_f64 v[22:23], -v[62:63], v[58:59], v[22:23]
	global_load_dwordx4 v[48:51], v[48:49], off
	v_add_nc_u32_e32 v26, -3, v24
	v_fma_f64 v[37:38], v[60:61], v[58:59], v[37:38]
	v_lshlrev_b64 v[60:61], 4, v[26:27]
	v_add_nc_u32_e32 v26, -16, v24
	v_lshlrev_b64 v[62:63], 4, v[26:27]
	v_add_nc_u32_e32 v26, 4, v28
	s_waitcnt vmcnt(5)
	v_fma_f64 v[52:53], v[29:30], v[56:57], v[52:53]
	v_fma_f64 v[15:16], v[31:32], v[56:57], v[15:16]
	v_fma_f64 v[56:57], -v[31:32], v[58:59], v[52:53]
	v_fma_f64 v[58:59], v[29:30], v[58:59], v[15:16]
	v_add_co_u32 v15, vcc_lo, s12, v64
	v_add_co_ci_u32_e64 v16, null, s13, v65, vcc_lo
	global_load_dwordx4 v[29:32], v[54:55], off
	s_waitcnt vmcnt(4)
	v_fma_f64 v[66:67], v[20:21], v[11:12], v[66:67]
	v_add_co_u32 v60, vcc_lo, s12, v60
	global_load_dwordx4 v[52:55], v[15:16], off
	v_fma_f64 v[15:16], v[18:19], v[11:12], v[68:69]
	v_add_co_ci_u32_e64 v61, null, s13, v61, vcc_lo
	v_add_co_u32 v62, vcc_lo, s12, v62
	v_lshlrev_b64 v[64:65], 4, v[26:27]
	v_add_co_ci_u32_e64 v63, null, s13, v63, vcc_lo
	v_add_nc_u32_e32 v26, -9, v24
	v_fma_f64 v[66:67], v[18:19], v[13:14], v[66:67]
	v_fma_f64 v[68:69], -v[20:21], v[13:14], v[15:16]
	s_waitcnt vmcnt(4)
	v_fma_f64 v[19:20], v[33:34], v[11:12], v[22:23]
	v_fma_f64 v[21:22], v[35:36], v[11:12], v[37:38]
	global_load_dwordx4 v[15:18], v[60:61], off
	v_fma_f64 v[37:38], -v[35:36], v[13:14], v[19:20]
	v_fma_f64 v[70:71], v[33:34], v[13:14], v[21:22]
	s_waitcnt vmcnt(4)
	v_fma_f64 v[33:34], v[40:41], v[11:12], v[56:57]
	v_fma_f64 v[11:12], v[42:43], v[11:12], v[58:59]
	global_load_dwordx4 v[19:22], v[62:63], off
	v_add_co_u32 v60, vcc_lo, s14, v64
	v_add_co_ci_u32_e64 v61, null, s15, v65, vcc_lo
	v_lshlrev_b64 v[64:65], 4, v[26:27]
	v_add_nc_u32_e32 v26, -2, v24
	v_lshlrev_b64 v[62:63], 4, v[26:27]
	v_add_nc_u32_e32 v26, -15, v24
	v_fma_f64 v[56:57], -v[42:43], v[13:14], v[33:34]
	v_fma_f64 v[58:59], v[40:41], v[13:14], v[11:12]
	global_load_dwordx4 v[11:14], v[60:61], off
	v_add_co_u32 v33, vcc_lo, s12, v64
	v_add_co_ci_u32_e64 v34, null, s13, v65, vcc_lo
	v_lshlrev_b64 v[40:41], 4, v[26:27]
	v_add_co_u32 v42, vcc_lo, s12, v62
	global_load_dwordx4 v[33:36], v[33:34], off
	v_add_co_ci_u32_e64 v43, null, s13, v63, vcc_lo
	v_add_co_u32 v60, vcc_lo, s12, v40
	v_add_co_ci_u32_e64 v61, null, s13, v41, vcc_lo
	v_add_nc_u32_e32 v26, 5, v28
	v_lshlrev_b64 v[62:63], 4, v[26:27]
	v_add_nc_u32_e32 v26, -8, v24
	v_add_co_u32 v62, vcc_lo, s14, v62
	v_add_co_ci_u32_e64 v63, null, s15, v63, vcc_lo
	s_waitcnt vmcnt(5)
	v_fma_f64 v[40:41], v[48:49], v[29:30], v[68:69]
	v_fma_f64 v[64:65], v[50:51], v[29:30], v[66:67]
	v_lshlrev_b64 v[68:69], 4, v[26:27]
	v_add_nc_u32_e32 v26, -1, v24
	s_waitcnt vmcnt(4)
	v_fma_f64 v[37:38], v[52:53], v[29:30], v[37:38]
	v_fma_f64 v[66:67], -v[50:51], v[31:32], v[40:41]
	v_fma_f64 v[64:65], v[48:49], v[31:32], v[64:65]
	v_fma_f64 v[48:49], v[54:55], v[29:30], v[70:71]
	global_load_dwordx4 v[40:43], v[42:43], off
	v_fma_f64 v[37:38], -v[54:55], v[31:32], v[37:38]
	v_lshlrev_b64 v[54:55], 4, v[26:27]
	v_add_nc_u32_e32 v26, -14, v24
	s_waitcnt vmcnt(4)
	v_fma_f64 v[56:57], v[15:16], v[29:30], v[56:57]
	v_fma_f64 v[29:30], v[17:18], v[29:30], v[58:59]
	;; [unrolled: 1-line block ×3, first 2 shown]
	global_load_dwordx4 v[48:51], v[60:61], off
	v_add_co_u32 v52, vcc_lo, s12, v68
	v_add_co_ci_u32_e64 v53, null, s13, v69, vcc_lo
	v_fma_f64 v[68:69], -v[17:18], v[31:32], v[56:57]
	v_lshlrev_b64 v[56:57], 4, v[26:27]
	v_add_nc_u32_e32 v26, 6, v28
	v_add_co_u32 v54, vcc_lo, s12, v54
	v_add_co_ci_u32_e64 v55, null, s13, v55, vcc_lo
	v_lshlrev_b64 v[58:59], 4, v[26:27]
	v_add_co_u32 v56, vcc_lo, s12, v56
	v_add_co_ci_u32_e64 v57, null, s13, v57, vcc_lo
	v_fma_f64 v[72:73], v[15:16], v[31:32], v[29:30]
	global_load_dwordx4 v[15:18], v[62:63], off
	global_load_dwordx4 v[28:31], v[52:53], off
	v_add_nc_u32_e32 v26, -7, v24
	v_add_nc_u32_e32 v24, 0x540, v24
	v_lshlrev_b64 v[25:26], 4, v[26:27]
	s_waitcnt vmcnt(5)
	v_fma_f64 v[60:61], v[19:20], v[11:12], v[66:67]
	v_fma_f64 v[62:63], v[21:22], v[11:12], v[64:65]
	s_waitcnt vmcnt(4)
	v_fma_f64 v[37:38], v[33:34], v[11:12], v[37:38]
	v_fma_f64 v[21:22], -v[21:22], v[13:14], v[60:61]
	v_add_co_u32 v60, vcc_lo, s14, v58
	v_add_co_ci_u32_e64 v61, null, s15, v59, vcc_lo
	s_clause 0x1
	global_load_dwordx4 v[56:59], v[56:57], off
	global_load_dwordx4 v[52:55], v[54:55], off
	v_fma_f64 v[19:20], v[19:20], v[13:14], v[62:63]
	v_fma_f64 v[62:63], v[35:36], v[11:12], v[70:71]
	v_add_co_u32 v25, vcc_lo, s12, v25
	v_add_co_ci_u32_e64 v26, null, s13, v26, vcc_lo
	v_fma_f64 v[36:37], -v[35:36], v[13:14], v[37:38]
	v_cmp_ge_i32_e32 vcc_lo, v10, v39
	s_or_b32 s0, vcc_lo, s0
	v_fma_f64 v[64:65], v[33:34], v[13:14], v[62:63]
	global_load_dwordx4 v[32:35], v[60:61], off
	global_load_dwordx4 v[60:63], v[25:26], off
	s_waitcnt vmcnt(7)
	v_fma_f64 v[25:26], v[40:41], v[11:12], v[68:69]
	v_fma_f64 v[11:12], v[42:43], v[11:12], v[72:73]
	v_fma_f64 v[25:26], -v[42:43], v[13:14], v[25:26]
	v_fma_f64 v[11:12], v[40:41], v[13:14], v[11:12]
	s_waitcnt vmcnt(5)
	v_fma_f64 v[13:14], v[48:49], v[15:16], v[21:22]
	v_fma_f64 v[19:20], v[50:51], v[15:16], v[19:20]
	s_waitcnt vmcnt(4)
	v_fma_f64 v[21:22], v[28:29], v[15:16], v[36:37]
	v_fma_f64 v[36:37], v[30:31], v[15:16], v[64:65]
	v_fma_f64 v[13:14], -v[50:51], v[17:18], v[13:14]
	s_waitcnt vmcnt(2)
	v_fma_f64 v[25:26], v[52:53], v[15:16], v[25:26]
	v_fma_f64 v[11:12], v[54:55], v[15:16], v[11:12]
	;; [unrolled: 1-line block ×3, first 2 shown]
	v_fma_f64 v[19:20], -v[30:31], v[17:18], v[21:22]
	v_fma_f64 v[21:22], v[28:29], v[17:18], v[36:37]
	v_fma_f64 v[25:26], -v[54:55], v[17:18], v[25:26]
	v_fma_f64 v[11:12], v[52:53], v[17:18], v[11:12]
	s_waitcnt vmcnt(1)
	v_fma_f64 v[13:14], v[56:57], v[32:33], v[13:14]
	v_fma_f64 v[15:16], v[58:59], v[32:33], v[15:16]
	s_waitcnt vmcnt(0)
	v_fma_f64 v[17:18], v[60:61], v[32:33], v[19:20]
	v_fma_f64 v[22:23], v[62:63], v[32:33], v[21:22]
	v_fma_f64 v[25:26], v[44:45], v[32:33], v[25:26]
	v_fma_f64 v[28:29], v[46:47], v[32:33], v[11:12]
	v_fma_f64 v[20:21], -v[58:59], v[34:35], v[13:14]
	v_fma_f64 v[12:13], v[56:57], v[34:35], v[15:16]
	v_fma_f64 v[18:19], -v[62:63], v[34:35], v[17:18]
	v_fma_f64 v[22:23], v[60:61], v[34:35], v[22:23]
	;; [unrolled: 2-line block ×3, first 2 shown]
	s_andn2_b32 exec_lo, exec_lo, s0
	s_cbranch_execnz .LBB140_17
; %bb.18:
	s_or_b32 exec_lo, exec_lo, s0
.LBB140_19:
	s_or_b32 exec_lo, exec_lo, s1
.LBB140_20:
	v_mbcnt_lo_u32_b32 v34, -1, 0
	v_or_b32_e32 v10, 32, v34
	v_cmp_gt_i32_e32 vcc_lo, 32, v10
	v_cndmask_b32_e32 v10, v34, v10, vcc_lo
	v_lshlrev_b32_e32 v33, 2, v10
	ds_bpermute_b32 v10, v33, v20
	ds_bpermute_b32 v11, v33, v21
	;; [unrolled: 1-line block ×12, first 2 shown]
	s_waitcnt lgkmcnt(10)
	v_add_f64 v[10:11], v[20:21], v[10:11]
	s_waitcnt lgkmcnt(8)
	v_add_f64 v[12:13], v[12:13], v[24:25]
	v_xor_b32_e32 v24, 16, v34
	s_waitcnt lgkmcnt(6)
	v_add_f64 v[18:19], v[18:19], v[26:27]
	s_waitcnt lgkmcnt(4)
	v_add_f64 v[20:21], v[22:23], v[28:29]
	;; [unrolled: 2-line block ×3, first 2 shown]
	v_cmp_gt_i32_e32 vcc_lo, 32, v24
	s_waitcnt lgkmcnt(0)
	v_add_f64 v[16:17], v[16:17], v[32:33]
	v_cndmask_b32_e32 v22, v34, v24, vcc_lo
	v_lshlrev_b32_e32 v33, 2, v22
	ds_bpermute_b32 v22, v33, v10
	ds_bpermute_b32 v23, v33, v11
	;; [unrolled: 1-line block ×12, first 2 shown]
	s_waitcnt lgkmcnt(10)
	v_add_f64 v[10:11], v[10:11], v[22:23]
	v_xor_b32_e32 v22, 8, v34
	s_waitcnt lgkmcnt(8)
	v_add_f64 v[12:13], v[12:13], v[24:25]
	s_waitcnt lgkmcnt(6)
	v_add_f64 v[18:19], v[18:19], v[26:27]
	;; [unrolled: 2-line block ×3, first 2 shown]
	v_cmp_gt_i32_e32 vcc_lo, 32, v22
	s_waitcnt lgkmcnt(2)
	v_add_f64 v[14:15], v[14:15], v[30:31]
	s_waitcnt lgkmcnt(0)
	v_add_f64 v[16:17], v[16:17], v[32:33]
	v_cndmask_b32_e32 v22, v34, v22, vcc_lo
	v_lshlrev_b32_e32 v33, 2, v22
	ds_bpermute_b32 v22, v33, v10
	ds_bpermute_b32 v23, v33, v11
	;; [unrolled: 1-line block ×12, first 2 shown]
	s_waitcnt lgkmcnt(10)
	v_add_f64 v[10:11], v[10:11], v[22:23]
	v_xor_b32_e32 v22, 4, v34
	s_waitcnt lgkmcnt(8)
	v_add_f64 v[12:13], v[12:13], v[24:25]
	s_waitcnt lgkmcnt(6)
	v_add_f64 v[18:19], v[18:19], v[26:27]
	;; [unrolled: 2-line block ×3, first 2 shown]
	v_cmp_gt_i32_e32 vcc_lo, 32, v22
	s_waitcnt lgkmcnt(2)
	v_add_f64 v[14:15], v[14:15], v[30:31]
	s_waitcnt lgkmcnt(0)
	v_add_f64 v[16:17], v[16:17], v[32:33]
	v_cndmask_b32_e32 v22, v34, v22, vcc_lo
	v_lshlrev_b32_e32 v33, 2, v22
	ds_bpermute_b32 v22, v33, v10
	ds_bpermute_b32 v23, v33, v11
	;; [unrolled: 1-line block ×12, first 2 shown]
	s_waitcnt lgkmcnt(10)
	v_add_f64 v[10:11], v[10:11], v[22:23]
	s_waitcnt lgkmcnt(8)
	v_add_f64 v[12:13], v[12:13], v[24:25]
	v_xor_b32_e32 v24, 2, v34
	s_waitcnt lgkmcnt(6)
	v_add_f64 v[18:19], v[18:19], v[26:27]
	s_waitcnt lgkmcnt(4)
	v_add_f64 v[22:23], v[20:21], v[28:29]
	;; [unrolled: 2-line block ×3, first 2 shown]
	v_cmp_gt_i32_e32 vcc_lo, 32, v24
	s_waitcnt lgkmcnt(0)
	v_add_f64 v[16:17], v[16:17], v[32:33]
	v_cndmask_b32_e32 v20, v34, v24, vcc_lo
	v_lshlrev_b32_e32 v33, 2, v20
	ds_bpermute_b32 v20, v33, v10
	ds_bpermute_b32 v21, v33, v11
	;; [unrolled: 1-line block ×12, first 2 shown]
	s_waitcnt lgkmcnt(10)
	v_add_f64 v[10:11], v[10:11], v[20:21]
	s_waitcnt lgkmcnt(8)
	v_add_f64 v[20:21], v[12:13], v[24:25]
	v_xor_b32_e32 v24, 1, v34
	s_waitcnt lgkmcnt(6)
	v_add_f64 v[12:13], v[18:19], v[26:27]
	s_waitcnt lgkmcnt(4)
	v_add_f64 v[18:19], v[22:23], v[28:29]
	s_waitcnt lgkmcnt(2)
	v_add_f64 v[14:15], v[14:15], v[30:31]
	v_cmp_gt_i32_e32 vcc_lo, 32, v24
	s_waitcnt lgkmcnt(0)
	v_add_f64 v[16:17], v[16:17], v[32:33]
	v_cndmask_b32_e32 v22, v34, v24, vcc_lo
	v_cmp_eq_u32_e32 vcc_lo, 63, v0
	v_lshlrev_b32_e32 v25, 2, v22
	ds_bpermute_b32 v32, v25, v10
	ds_bpermute_b32 v33, v25, v11
	ds_bpermute_b32 v30, v25, v20
	ds_bpermute_b32 v31, v25, v21
	ds_bpermute_b32 v28, v25, v12
	ds_bpermute_b32 v29, v25, v13
	ds_bpermute_b32 v26, v25, v18
	ds_bpermute_b32 v27, v25, v19
	ds_bpermute_b32 v22, v25, v14
	ds_bpermute_b32 v23, v25, v15
	ds_bpermute_b32 v24, v25, v16
	ds_bpermute_b32 v25, v25, v17
	s_and_b32 exec_lo, exec_lo, vcc_lo
	s_cbranch_execz .LBB140_25
; %bb.21:
	v_cmp_eq_f64_e32 vcc_lo, 0, v[5:6]
	v_cmp_eq_f64_e64 s0, 0, v[7:8]
	s_waitcnt lgkmcnt(10)
	v_add_f64 v[10:11], v[10:11], v[32:33]
	s_waitcnt lgkmcnt(8)
	v_add_f64 v[20:21], v[20:21], v[30:31]
	;; [unrolled: 2-line block ×6, first 2 shown]
	s_load_dwordx2 s[2:3], s[4:5], 0x48
	s_and_b32 s0, vcc_lo, s0
	s_and_saveexec_b32 s1, s0
	s_xor_b32 s0, exec_lo, s1
	s_cbranch_execz .LBB140_23
; %bb.22:
	v_mul_f64 v[5:6], v[20:21], -v[3:4]
	v_mul_f64 v[7:8], v[1:2], v[20:21]
	v_mul_f64 v[20:21], v[18:19], -v[3:4]
	v_mul_f64 v[18:19], v[1:2], v[18:19]
	;; [unrolled: 2-line block ×3, first 2 shown]
	v_lshl_add_u32 v24, v9, 1, v9
	v_ashrrev_i32_e32 v25, 31, v24
	v_fma_f64 v[5:6], v[1:2], v[10:11], v[5:6]
	v_fma_f64 v[7:8], v[3:4], v[10:11], v[7:8]
	;; [unrolled: 1-line block ×6, first 2 shown]
	v_lshlrev_b64 v[13:14], 4, v[24:25]
                                        ; implicit-def: $vgpr20_vgpr21
                                        ; implicit-def: $vgpr18_vgpr19
                                        ; implicit-def: $vgpr16_vgpr17
	s_waitcnt lgkmcnt(0)
	v_add_co_u32 v13, vcc_lo, s2, v13
	v_add_co_ci_u32_e64 v14, null, s3, v14, vcc_lo
	global_store_dwordx4 v[13:14], v[5:8], off
	global_store_dwordx4 v[13:14], v[9:12], off offset:16
	global_store_dwordx4 v[13:14], v[0:3], off offset:32
                                        ; implicit-def: $vgpr9
                                        ; implicit-def: $vgpr10_vgpr11
                                        ; implicit-def: $vgpr12_vgpr13
                                        ; implicit-def: $vgpr14_vgpr15
                                        ; implicit-def: $vgpr7_vgpr8
                                        ; implicit-def: $vgpr3_vgpr4
.LBB140_23:
	s_andn2_saveexec_b32 s0, s0
	s_cbranch_execz .LBB140_25
; %bb.24:
	v_lshl_add_u32 v22, v9, 1, v9
	v_mul_f64 v[36:37], v[20:21], -v[3:4]
	v_mul_f64 v[20:21], v[1:2], v[20:21]
	v_mul_f64 v[38:39], v[18:19], -v[3:4]
	v_mul_f64 v[18:19], v[1:2], v[18:19]
	v_ashrrev_i32_e32 v23, 31, v22
	v_mul_f64 v[40:41], v[16:17], -v[3:4]
	v_mul_f64 v[16:17], v[1:2], v[16:17]
	v_lshlrev_b64 v[22:23], 4, v[22:23]
	s_waitcnt lgkmcnt(0)
	v_add_co_u32 v34, vcc_lo, s2, v22
	v_add_co_ci_u32_e64 v35, null, s3, v23, vcc_lo
	s_clause 0x2
	global_load_dwordx4 v[22:25], v[34:35], off
	global_load_dwordx4 v[26:29], v[34:35], off offset:16
	global_load_dwordx4 v[30:33], v[34:35], off offset:32
	v_fma_f64 v[36:37], v[1:2], v[10:11], v[36:37]
	v_fma_f64 v[9:10], v[3:4], v[10:11], v[20:21]
	;; [unrolled: 1-line block ×6, first 2 shown]
	s_waitcnt vmcnt(2)
	v_fma_f64 v[13:14], v[5:6], v[22:23], v[36:37]
	v_fma_f64 v[9:10], v[7:8], v[22:23], v[9:10]
	s_waitcnt vmcnt(1)
	v_fma_f64 v[15:16], v[5:6], v[26:27], v[20:21]
	v_fma_f64 v[11:12], v[7:8], v[26:27], v[11:12]
	;; [unrolled: 3-line block ×3, first 2 shown]
	v_fma_f64 v[0:1], -v[7:8], v[24:25], v[13:14]
	v_fma_f64 v[2:3], v[5:6], v[24:25], v[9:10]
	v_fma_f64 v[9:10], -v[7:8], v[28:29], v[15:16]
	v_fma_f64 v[11:12], v[5:6], v[28:29], v[11:12]
	;; [unrolled: 2-line block ×3, first 2 shown]
	global_store_dwordx4 v[34:35], v[0:3], off
	global_store_dwordx4 v[34:35], v[9:12], off offset:16
	global_store_dwordx4 v[34:35], v[13:16], off offset:32
.LBB140_25:
	s_endpgm
	.section	.rodata,"a",@progbits
	.p2align	6, 0x0
	.amdhsa_kernel _ZN9rocsparseL19gebsrmvn_3xn_kernelILj128ELj7ELj64E21rocsparse_complex_numIdEEEvi20rocsparse_direction_NS_24const_host_device_scalarIT2_EEPKiS8_PKS5_SA_S6_PS5_21rocsparse_index_base_b
		.amdhsa_group_segment_fixed_size 0
		.amdhsa_private_segment_fixed_size 0
		.amdhsa_kernarg_size 88
		.amdhsa_user_sgpr_count 6
		.amdhsa_user_sgpr_private_segment_buffer 1
		.amdhsa_user_sgpr_dispatch_ptr 0
		.amdhsa_user_sgpr_queue_ptr 0
		.amdhsa_user_sgpr_kernarg_segment_ptr 1
		.amdhsa_user_sgpr_dispatch_id 0
		.amdhsa_user_sgpr_flat_scratch_init 0
		.amdhsa_user_sgpr_private_segment_size 0
		.amdhsa_wavefront_size32 1
		.amdhsa_uses_dynamic_stack 0
		.amdhsa_system_sgpr_private_segment_wavefront_offset 0
		.amdhsa_system_sgpr_workgroup_id_x 1
		.amdhsa_system_sgpr_workgroup_id_y 0
		.amdhsa_system_sgpr_workgroup_id_z 0
		.amdhsa_system_sgpr_workgroup_info 0
		.amdhsa_system_vgpr_workitem_id 0
		.amdhsa_next_free_vgpr 74
		.amdhsa_next_free_sgpr 16
		.amdhsa_reserve_vcc 1
		.amdhsa_reserve_flat_scratch 0
		.amdhsa_float_round_mode_32 0
		.amdhsa_float_round_mode_16_64 0
		.amdhsa_float_denorm_mode_32 3
		.amdhsa_float_denorm_mode_16_64 3
		.amdhsa_dx10_clamp 1
		.amdhsa_ieee_mode 1
		.amdhsa_fp16_overflow 0
		.amdhsa_workgroup_processor_mode 1
		.amdhsa_memory_ordered 1
		.amdhsa_forward_progress 1
		.amdhsa_shared_vgpr_count 0
		.amdhsa_exception_fp_ieee_invalid_op 0
		.amdhsa_exception_fp_denorm_src 0
		.amdhsa_exception_fp_ieee_div_zero 0
		.amdhsa_exception_fp_ieee_overflow 0
		.amdhsa_exception_fp_ieee_underflow 0
		.amdhsa_exception_fp_ieee_inexact 0
		.amdhsa_exception_int_div_zero 0
	.end_amdhsa_kernel
	.section	.text._ZN9rocsparseL19gebsrmvn_3xn_kernelILj128ELj7ELj64E21rocsparse_complex_numIdEEEvi20rocsparse_direction_NS_24const_host_device_scalarIT2_EEPKiS8_PKS5_SA_S6_PS5_21rocsparse_index_base_b,"axG",@progbits,_ZN9rocsparseL19gebsrmvn_3xn_kernelILj128ELj7ELj64E21rocsparse_complex_numIdEEEvi20rocsparse_direction_NS_24const_host_device_scalarIT2_EEPKiS8_PKS5_SA_S6_PS5_21rocsparse_index_base_b,comdat
.Lfunc_end140:
	.size	_ZN9rocsparseL19gebsrmvn_3xn_kernelILj128ELj7ELj64E21rocsparse_complex_numIdEEEvi20rocsparse_direction_NS_24const_host_device_scalarIT2_EEPKiS8_PKS5_SA_S6_PS5_21rocsparse_index_base_b, .Lfunc_end140-_ZN9rocsparseL19gebsrmvn_3xn_kernelILj128ELj7ELj64E21rocsparse_complex_numIdEEEvi20rocsparse_direction_NS_24const_host_device_scalarIT2_EEPKiS8_PKS5_SA_S6_PS5_21rocsparse_index_base_b
                                        ; -- End function
	.set _ZN9rocsparseL19gebsrmvn_3xn_kernelILj128ELj7ELj64E21rocsparse_complex_numIdEEEvi20rocsparse_direction_NS_24const_host_device_scalarIT2_EEPKiS8_PKS5_SA_S6_PS5_21rocsparse_index_base_b.num_vgpr, 74
	.set _ZN9rocsparseL19gebsrmvn_3xn_kernelILj128ELj7ELj64E21rocsparse_complex_numIdEEEvi20rocsparse_direction_NS_24const_host_device_scalarIT2_EEPKiS8_PKS5_SA_S6_PS5_21rocsparse_index_base_b.num_agpr, 0
	.set _ZN9rocsparseL19gebsrmvn_3xn_kernelILj128ELj7ELj64E21rocsparse_complex_numIdEEEvi20rocsparse_direction_NS_24const_host_device_scalarIT2_EEPKiS8_PKS5_SA_S6_PS5_21rocsparse_index_base_b.numbered_sgpr, 16
	.set _ZN9rocsparseL19gebsrmvn_3xn_kernelILj128ELj7ELj64E21rocsparse_complex_numIdEEEvi20rocsparse_direction_NS_24const_host_device_scalarIT2_EEPKiS8_PKS5_SA_S6_PS5_21rocsparse_index_base_b.num_named_barrier, 0
	.set _ZN9rocsparseL19gebsrmvn_3xn_kernelILj128ELj7ELj64E21rocsparse_complex_numIdEEEvi20rocsparse_direction_NS_24const_host_device_scalarIT2_EEPKiS8_PKS5_SA_S6_PS5_21rocsparse_index_base_b.private_seg_size, 0
	.set _ZN9rocsparseL19gebsrmvn_3xn_kernelILj128ELj7ELj64E21rocsparse_complex_numIdEEEvi20rocsparse_direction_NS_24const_host_device_scalarIT2_EEPKiS8_PKS5_SA_S6_PS5_21rocsparse_index_base_b.uses_vcc, 1
	.set _ZN9rocsparseL19gebsrmvn_3xn_kernelILj128ELj7ELj64E21rocsparse_complex_numIdEEEvi20rocsparse_direction_NS_24const_host_device_scalarIT2_EEPKiS8_PKS5_SA_S6_PS5_21rocsparse_index_base_b.uses_flat_scratch, 0
	.set _ZN9rocsparseL19gebsrmvn_3xn_kernelILj128ELj7ELj64E21rocsparse_complex_numIdEEEvi20rocsparse_direction_NS_24const_host_device_scalarIT2_EEPKiS8_PKS5_SA_S6_PS5_21rocsparse_index_base_b.has_dyn_sized_stack, 0
	.set _ZN9rocsparseL19gebsrmvn_3xn_kernelILj128ELj7ELj64E21rocsparse_complex_numIdEEEvi20rocsparse_direction_NS_24const_host_device_scalarIT2_EEPKiS8_PKS5_SA_S6_PS5_21rocsparse_index_base_b.has_recursion, 0
	.set _ZN9rocsparseL19gebsrmvn_3xn_kernelILj128ELj7ELj64E21rocsparse_complex_numIdEEEvi20rocsparse_direction_NS_24const_host_device_scalarIT2_EEPKiS8_PKS5_SA_S6_PS5_21rocsparse_index_base_b.has_indirect_call, 0
	.section	.AMDGPU.csdata,"",@progbits
; Kernel info:
; codeLenInByte = 4748
; TotalNumSgprs: 18
; NumVgprs: 74
; ScratchSize: 0
; MemoryBound: 0
; FloatMode: 240
; IeeeMode: 1
; LDSByteSize: 0 bytes/workgroup (compile time only)
; SGPRBlocks: 0
; VGPRBlocks: 9
; NumSGPRsForWavesPerEU: 18
; NumVGPRsForWavesPerEU: 74
; Occupancy: 12
; WaveLimiterHint : 1
; COMPUTE_PGM_RSRC2:SCRATCH_EN: 0
; COMPUTE_PGM_RSRC2:USER_SGPR: 6
; COMPUTE_PGM_RSRC2:TRAP_HANDLER: 0
; COMPUTE_PGM_RSRC2:TGID_X_EN: 1
; COMPUTE_PGM_RSRC2:TGID_Y_EN: 0
; COMPUTE_PGM_RSRC2:TGID_Z_EN: 0
; COMPUTE_PGM_RSRC2:TIDIG_COMP_CNT: 0
	.section	.text._ZN9rocsparseL19gebsrmvn_3xn_kernelILj128ELj8ELj4E21rocsparse_complex_numIdEEEvi20rocsparse_direction_NS_24const_host_device_scalarIT2_EEPKiS8_PKS5_SA_S6_PS5_21rocsparse_index_base_b,"axG",@progbits,_ZN9rocsparseL19gebsrmvn_3xn_kernelILj128ELj8ELj4E21rocsparse_complex_numIdEEEvi20rocsparse_direction_NS_24const_host_device_scalarIT2_EEPKiS8_PKS5_SA_S6_PS5_21rocsparse_index_base_b,comdat
	.globl	_ZN9rocsparseL19gebsrmvn_3xn_kernelILj128ELj8ELj4E21rocsparse_complex_numIdEEEvi20rocsparse_direction_NS_24const_host_device_scalarIT2_EEPKiS8_PKS5_SA_S6_PS5_21rocsparse_index_base_b ; -- Begin function _ZN9rocsparseL19gebsrmvn_3xn_kernelILj128ELj8ELj4E21rocsparse_complex_numIdEEEvi20rocsparse_direction_NS_24const_host_device_scalarIT2_EEPKiS8_PKS5_SA_S6_PS5_21rocsparse_index_base_b
	.p2align	8
	.type	_ZN9rocsparseL19gebsrmvn_3xn_kernelILj128ELj8ELj4E21rocsparse_complex_numIdEEEvi20rocsparse_direction_NS_24const_host_device_scalarIT2_EEPKiS8_PKS5_SA_S6_PS5_21rocsparse_index_base_b,@function
_ZN9rocsparseL19gebsrmvn_3xn_kernelILj128ELj8ELj4E21rocsparse_complex_numIdEEEvi20rocsparse_direction_NS_24const_host_device_scalarIT2_EEPKiS8_PKS5_SA_S6_PS5_21rocsparse_index_base_b: ; @_ZN9rocsparseL19gebsrmvn_3xn_kernelILj128ELj8ELj4E21rocsparse_complex_numIdEEEvi20rocsparse_direction_NS_24const_host_device_scalarIT2_EEPKiS8_PKS5_SA_S6_PS5_21rocsparse_index_base_b
; %bb.0:
	s_clause 0x1
	s_load_dwordx2 s[2:3], s[4:5], 0x50
	s_load_dwordx2 s[0:1], s[4:5], 0x8
	s_add_u32 s7, s4, 8
	s_addc_u32 s10, s5, 0
	s_add_u32 s11, s4, 56
	s_addc_u32 s12, s5, 0
	s_load_dwordx2 s[8:9], s[4:5], 0x38
	s_waitcnt lgkmcnt(0)
	s_bitcmp1_b32 s3, 0
	s_cselect_b32 s0, s7, s0
	s_cselect_b32 s1, s10, s1
	v_mov_b32_e32 v1, s0
	v_mov_b32_e32 v2, s1
	s_cselect_b32 s0, s11, s8
	s_cselect_b32 s1, s12, s9
	v_mov_b32_e32 v5, s0
	v_mov_b32_e32 v6, s1
	flat_load_dwordx4 v[1:4], v[1:2]
	flat_load_dwordx4 v[5:8], v[5:6]
	s_waitcnt vmcnt(1) lgkmcnt(1)
	v_cmp_eq_f64_e32 vcc_lo, 0, v[1:2]
	v_cmp_eq_f64_e64 s0, 0, v[3:4]
	s_and_b32 s3, vcc_lo, s0
	s_mov_b32 s0, -1
	s_and_saveexec_b32 s1, s3
	s_cbranch_execz .LBB141_2
; %bb.1:
	s_waitcnt vmcnt(0) lgkmcnt(0)
	v_cmp_neq_f64_e32 vcc_lo, 1.0, v[5:6]
	v_cmp_neq_f64_e64 s0, 0, v[7:8]
	s_or_b32 s0, vcc_lo, s0
	s_orn2_b32 s0, s0, exec_lo
.LBB141_2:
	s_or_b32 exec_lo, exec_lo, s1
	s_and_saveexec_b32 s1, s0
	s_cbranch_execz .LBB141_25
; %bb.3:
	s_load_dwordx2 s[0:1], s[4:5], 0x0
	v_lshrrev_b32_e32 v9, 2, v0
	v_lshl_or_b32 v9, s6, 5, v9
	s_waitcnt lgkmcnt(0)
	v_cmp_gt_i32_e32 vcc_lo, s0, v9
	s_and_b32 exec_lo, exec_lo, vcc_lo
	s_cbranch_execz .LBB141_25
; %bb.4:
	s_load_dwordx8 s[8:15], s[4:5], 0x18
	v_ashrrev_i32_e32 v10, 31, v9
	v_and_b32_e32 v0, 3, v0
	s_cmp_lg_u32 s1, 0
	v_lshlrev_b64 v[10:11], 2, v[9:10]
	s_waitcnt lgkmcnt(0)
	v_add_co_u32 v10, vcc_lo, s8, v10
	v_add_co_ci_u32_e64 v11, null, s9, v11, vcc_lo
	global_load_dwordx2 v[13:14], v[10:11], off
	s_waitcnt vmcnt(0)
	v_subrev_nc_u32_e32 v10, s2, v13
	v_subrev_nc_u32_e32 v31, s2, v14
	v_add_nc_u32_e32 v12, v10, v0
	v_cmp_lt_i32_e64 s0, v12, v31
	s_cbranch_scc0 .LBB141_12
; %bb.5:
	v_mov_b32_e32 v10, 0
	v_mov_b32_e32 v14, 0
	;; [unrolled: 1-line block ×12, first 2 shown]
	s_and_saveexec_b32 s1, s0
	s_cbranch_execz .LBB141_11
; %bb.6:
	v_mul_lo_u32 v13, v13, 24
	s_mul_i32 s3, s2, 24
	v_mov_b32_e32 v10, 0
	v_mov_b32_e32 v14, 0
	;; [unrolled: 1-line block ×6, first 2 shown]
	v_mad_u32_u24 v13, v0, 24, v13
	v_mov_b32_e32 v11, 0
	v_mov_b32_e32 v25, 0
	;; [unrolled: 1-line block ×7, first 2 shown]
	v_subrev_nc_u32_e32 v13, s3, v13
	v_mov_b32_e32 v26, v12
	s_add_u32 s3, s14, 16
	s_addc_u32 s7, s15, 0
	s_mov_b32 s6, 0
.LBB141_7:                              ; =>This Loop Header: Depth=1
                                        ;     Child Loop BB141_8 Depth 2
	v_ashrrev_i32_e32 v27, 31, v26
	s_mov_b32 s8, 0
	v_lshlrev_b64 v[27:28], 2, v[26:27]
	v_add_co_u32 v27, vcc_lo, s10, v27
	v_add_co_ci_u32_e64 v28, null, s11, v28, vcc_lo
	global_load_dword v24, v[27:28], off
	s_waitcnt vmcnt(0)
	v_subrev_nc_u32_e32 v24, s2, v24
	v_lshlrev_b32_e32 v24, 3, v24
	v_lshlrev_b64 v[27:28], 4, v[24:25]
	v_add_co_u32 v27, vcc_lo, s3, v27
	v_add_co_ci_u32_e64 v28, null, s7, v28, vcc_lo
.LBB141_8:                              ;   Parent Loop BB141_7 Depth=1
                                        ; =>  This Inner Loop Header: Depth=2
	v_add_nc_u32_e32 v24, s8, v13
	v_mov_b32_e32 v30, v25
	s_clause 0x1
	global_load_dwordx4 v[32:35], v[27:28], off
	global_load_dwordx4 v[36:39], v[27:28], off offset:-16
	s_add_i32 s8, s8, 6
	s_cmp_eq_u32 s8, 24
	v_add_nc_u32_e32 v29, 2, v24
	v_lshlrev_b64 v[40:41], 4, v[24:25]
	v_add_nc_u32_e32 v24, 4, v24
	v_lshlrev_b64 v[29:30], 4, v[29:30]
	v_add_co_u32 v44, vcc_lo, s12, v40
	v_add_co_ci_u32_e64 v45, null, s13, v41, vcc_lo
	v_add_co_u32 v29, vcc_lo, s12, v29
	v_add_co_ci_u32_e64 v30, null, s13, v30, vcc_lo
	s_clause 0x3
	global_load_dwordx4 v[40:43], v[44:45], off
	global_load_dwordx4 v[44:47], v[44:45], off offset:16
	global_load_dwordx4 v[48:51], v[29:30], off
	global_load_dwordx4 v[52:55], v[29:30], off offset:16
	v_lshlrev_b64 v[29:30], 4, v[24:25]
	v_add_co_u32 v29, vcc_lo, s12, v29
	v_add_co_ci_u32_e64 v30, null, s13, v30, vcc_lo
	v_add_co_u32 v27, vcc_lo, v27, 32
	s_clause 0x1
	global_load_dwordx4 v[56:59], v[29:30], off
	global_load_dwordx4 v[60:63], v[29:30], off offset:16
	v_add_co_ci_u32_e64 v28, null, 0, v28, vcc_lo
	s_waitcnt vmcnt(5)
	v_fma_f64 v[14:15], v[40:41], v[36:37], v[14:15]
	v_fma_f64 v[10:11], v[42:43], v[36:37], v[10:11]
	s_waitcnt vmcnt(4)
	v_fma_f64 v[20:21], v[44:45], v[36:37], v[20:21]
	v_fma_f64 v[22:23], v[46:47], v[36:37], v[22:23]
	;; [unrolled: 3-line block ×3, first 2 shown]
	v_fma_f64 v[14:15], -v[42:43], v[38:39], v[14:15]
	v_fma_f64 v[10:11], v[40:41], v[38:39], v[10:11]
	v_fma_f64 v[20:21], -v[46:47], v[38:39], v[20:21]
	v_fma_f64 v[22:23], v[44:45], v[38:39], v[22:23]
	;; [unrolled: 2-line block ×3, first 2 shown]
	s_waitcnt vmcnt(2)
	v_fma_f64 v[14:15], v[52:53], v[32:33], v[14:15]
	v_fma_f64 v[10:11], v[54:55], v[32:33], v[10:11]
	s_waitcnt vmcnt(1)
	v_fma_f64 v[20:21], v[56:57], v[32:33], v[20:21]
	v_fma_f64 v[22:23], v[58:59], v[32:33], v[22:23]
	;; [unrolled: 3-line block ×3, first 2 shown]
	v_fma_f64 v[14:15], -v[54:55], v[34:35], v[14:15]
	v_fma_f64 v[10:11], v[52:53], v[34:35], v[10:11]
	v_fma_f64 v[20:21], -v[58:59], v[34:35], v[20:21]
	v_fma_f64 v[22:23], v[56:57], v[34:35], v[22:23]
	;; [unrolled: 2-line block ×3, first 2 shown]
	s_cbranch_scc0 .LBB141_8
; %bb.9:                                ;   in Loop: Header=BB141_7 Depth=1
	v_add_nc_u32_e32 v26, 4, v26
	v_add_nc_u32_e32 v13, 0x60, v13
	v_cmp_ge_i32_e32 vcc_lo, v26, v31
	s_or_b32 s6, vcc_lo, s6
	s_andn2_b32 exec_lo, exec_lo, s6
	s_cbranch_execnz .LBB141_7
; %bb.10:
	s_or_b32 exec_lo, exec_lo, s6
.LBB141_11:
	s_or_b32 exec_lo, exec_lo, s1
	s_cbranch_execz .LBB141_13
	s_branch .LBB141_20
.LBB141_12:
                                        ; implicit-def: $vgpr10_vgpr11
                                        ; implicit-def: $vgpr14_vgpr15
                                        ; implicit-def: $vgpr16_vgpr17
                                        ; implicit-def: $vgpr18_vgpr19
                                        ; implicit-def: $vgpr20_vgpr21
                                        ; implicit-def: $vgpr22_vgpr23
.LBB141_13:
	v_mov_b32_e32 v10, 0
	v_mov_b32_e32 v14, 0
	;; [unrolled: 1-line block ×12, first 2 shown]
	s_and_saveexec_b32 s3, s0
	s_cbranch_execz .LBB141_19
; %bb.14:
	v_mul_lo_u32 v24, v12, 24
	v_mov_b32_e32 v10, 0
	v_mov_b32_e32 v14, 0
	;; [unrolled: 1-line block ×12, first 2 shown]
	v_add_nc_u32_e32 v26, 16, v24
	v_add_nc_u32_e32 v28, 8, v24
	v_mov_b32_e32 v30, 0
	s_mov_b32 s6, 0
.LBB141_15:                             ; =>This Loop Header: Depth=1
                                        ;     Child Loop BB141_16 Depth 2
	v_ashrrev_i32_e32 v13, 31, v12
	v_mov_b32_e32 v27, v30
	v_mov_b32_e32 v29, v30
	;; [unrolled: 1-line block ×3, first 2 shown]
	s_mov_b64 s[0:1], 0
	v_lshlrev_b64 v[32:33], 2, v[12:13]
	v_lshlrev_b64 v[34:35], 4, v[28:29]
	;; [unrolled: 1-line block ×3, first 2 shown]
	v_add_co_u32 v32, vcc_lo, s10, v32
	v_add_co_ci_u32_e64 v33, null, s11, v33, vcc_lo
	global_load_dword v13, v[32:33], off
	v_lshlrev_b64 v[32:33], 4, v[26:27]
	s_waitcnt vmcnt(0)
	v_subrev_nc_u32_e32 v27, s2, v13
	v_add_co_u32 v13, vcc_lo, s12, v32
	v_add_co_ci_u32_e64 v25, null, s13, v33, vcc_lo
	v_lshlrev_b32_e32 v29, 3, v27
	v_add_co_u32 v27, vcc_lo, s12, v34
	v_add_co_ci_u32_e64 v32, null, s13, v35, vcc_lo
	v_lshlrev_b64 v[38:39], 4, v[29:30]
	v_add_co_u32 v33, vcc_lo, s12, v36
	v_add_co_ci_u32_e64 v34, null, s13, v37, vcc_lo
	v_mov_b32_e32 v29, v24
	v_add_co_u32 v35, vcc_lo, s14, v38
	v_add_co_ci_u32_e64 v36, null, s15, v39, vcc_lo
.LBB141_16:                             ;   Parent Loop BB141_15 Depth=1
                                        ; =>  This Inner Loop Header: Depth=2
	v_add_nc_u32_e32 v51, 16, v29
	v_mov_b32_e32 v52, v30
	v_lshlrev_b64 v[53:54], 4, v[29:30]
	v_add_co_u32 v41, vcc_lo, v35, s0
	v_add_co_ci_u32_e64 v42, null, s1, v36, vcc_lo
	v_lshlrev_b64 v[51:52], 4, v[51:52]
	v_add_co_u32 v49, vcc_lo, v27, s0
	v_add_co_ci_u32_e64 v50, null, s1, v32, vcc_lo
	v_add_co_u32 v53, vcc_lo, s12, v53
	v_add_co_ci_u32_e64 v54, null, s13, v54, vcc_lo
	;; [unrolled: 2-line block ×3, first 2 shown]
	s_clause 0x1
	global_load_dwordx4 v[37:40], v[41:42], off offset:16
	global_load_dwordx4 v[41:44], v[41:42], off
	s_clause 0x3
	global_load_dwordx4 v[45:48], v[49:50], off
	global_load_dwordx4 v[49:52], v[49:50], off offset:16
	global_load_dwordx4 v[53:56], v[53:54], off
	global_load_dwordx4 v[57:60], v[57:58], off
	v_add_co_u32 v61, vcc_lo, v13, s0
	v_add_co_ci_u32_e64 v62, null, s1, v25, vcc_lo
	v_add_co_u32 v65, vcc_lo, v33, s0
	v_add_co_ci_u32_e64 v66, null, s1, v34, vcc_lo
	s_clause 0x1
	global_load_dwordx4 v[61:64], v[61:62], off offset:16
	global_load_dwordx4 v[65:68], v[65:66], off offset:16
	v_add_nc_u32_e32 v29, 2, v29
	s_add_u32 s0, s0, 32
	s_addc_u32 s1, s1, 0
	s_cmpk_eq_i32 s0, 0x80
	s_waitcnt vmcnt(5)
	v_fma_f64 v[20:21], v[45:46], v[41:42], v[20:21]
	v_fma_f64 v[22:23], v[47:48], v[41:42], v[22:23]
	s_waitcnt vmcnt(3)
	v_fma_f64 v[14:15], v[53:54], v[41:42], v[14:15]
	v_fma_f64 v[10:11], v[55:56], v[41:42], v[10:11]
	;; [unrolled: 3-line block ×3, first 2 shown]
	v_fma_f64 v[20:21], -v[47:48], v[43:44], v[20:21]
	v_fma_f64 v[22:23], v[45:46], v[43:44], v[22:23]
	v_fma_f64 v[14:15], -v[55:56], v[43:44], v[14:15]
	v_fma_f64 v[10:11], v[53:54], v[43:44], v[10:11]
	;; [unrolled: 2-line block ×3, first 2 shown]
	v_fma_f64 v[20:21], v[49:50], v[37:38], v[20:21]
	v_fma_f64 v[22:23], v[51:52], v[37:38], v[22:23]
	s_waitcnt vmcnt(0)
	v_fma_f64 v[14:15], v[65:66], v[37:38], v[14:15]
	v_fma_f64 v[10:11], v[67:68], v[37:38], v[10:11]
	;; [unrolled: 1-line block ×4, first 2 shown]
	v_fma_f64 v[20:21], -v[51:52], v[39:40], v[20:21]
	v_fma_f64 v[22:23], v[49:50], v[39:40], v[22:23]
	v_fma_f64 v[14:15], -v[67:68], v[39:40], v[14:15]
	v_fma_f64 v[10:11], v[65:66], v[39:40], v[10:11]
	;; [unrolled: 2-line block ×3, first 2 shown]
	s_cbranch_scc0 .LBB141_16
; %bb.17:                               ;   in Loop: Header=BB141_15 Depth=1
	v_add_nc_u32_e32 v12, 4, v12
	v_add_nc_u32_e32 v26, 0x60, v26
	;; [unrolled: 1-line block ×4, first 2 shown]
	v_cmp_ge_i32_e32 vcc_lo, v12, v31
	s_or_b32 s6, vcc_lo, s6
	s_andn2_b32 exec_lo, exec_lo, s6
	s_cbranch_execnz .LBB141_15
; %bb.18:
	s_or_b32 exec_lo, exec_lo, s6
.LBB141_19:
	s_or_b32 exec_lo, exec_lo, s3
.LBB141_20:
	v_mbcnt_lo_u32_b32 v36, -1, 0
	v_xor_b32_e32 v12, 2, v36
	v_cmp_gt_i32_e32 vcc_lo, 32, v12
	v_cndmask_b32_e32 v12, v36, v12, vcc_lo
	v_lshlrev_b32_e32 v26, 2, v12
	ds_bpermute_b32 v12, v26, v14
	ds_bpermute_b32 v13, v26, v15
	ds_bpermute_b32 v24, v26, v10
	ds_bpermute_b32 v25, v26, v11
	ds_bpermute_b32 v28, v26, v20
	ds_bpermute_b32 v29, v26, v21
	ds_bpermute_b32 v30, v26, v22
	ds_bpermute_b32 v31, v26, v23
	ds_bpermute_b32 v32, v26, v16
	ds_bpermute_b32 v33, v26, v17
	ds_bpermute_b32 v34, v26, v18
	ds_bpermute_b32 v35, v26, v19
	s_waitcnt lgkmcnt(10)
	v_add_f64 v[26:27], v[14:15], v[12:13]
	s_waitcnt lgkmcnt(8)
	v_add_f64 v[24:25], v[10:11], v[24:25]
	v_xor_b32_e32 v10, 1, v36
	s_waitcnt lgkmcnt(6)
	v_add_f64 v[12:13], v[20:21], v[28:29]
	s_waitcnt lgkmcnt(4)
	v_add_f64 v[22:23], v[22:23], v[30:31]
	;; [unrolled: 2-line block ×3, first 2 shown]
	v_cmp_gt_i32_e32 vcc_lo, 32, v10
	s_waitcnt lgkmcnt(0)
	v_add_f64 v[16:17], v[18:19], v[34:35]
	v_cndmask_b32_e32 v10, v36, v10, vcc_lo
	v_cmp_eq_u32_e32 vcc_lo, 3, v0
	v_lshlrev_b32_e32 v31, 2, v10
	ds_bpermute_b32 v10, v31, v26
	ds_bpermute_b32 v11, v31, v27
	;; [unrolled: 1-line block ×12, first 2 shown]
	s_and_b32 exec_lo, exec_lo, vcc_lo
	s_cbranch_execz .LBB141_25
; %bb.21:
	v_cmp_eq_f64_e32 vcc_lo, 0, v[5:6]
	v_cmp_eq_f64_e64 s0, 0, v[7:8]
	s_waitcnt lgkmcnt(10)
	v_add_f64 v[10:11], v[26:27], v[10:11]
	s_waitcnt lgkmcnt(8)
	v_add_f64 v[20:21], v[24:25], v[20:21]
	;; [unrolled: 2-line block ×6, first 2 shown]
	s_load_dwordx2 s[2:3], s[4:5], 0x48
	s_and_b32 s0, vcc_lo, s0
	s_and_saveexec_b32 s1, s0
	s_xor_b32 s0, exec_lo, s1
	s_cbranch_execz .LBB141_23
; %bb.22:
	v_mul_f64 v[5:6], v[20:21], -v[3:4]
	v_mul_f64 v[7:8], v[1:2], v[20:21]
	v_mul_f64 v[20:21], v[18:19], -v[3:4]
	v_mul_f64 v[18:19], v[1:2], v[18:19]
	;; [unrolled: 2-line block ×3, first 2 shown]
	v_lshl_add_u32 v24, v9, 1, v9
	v_ashrrev_i32_e32 v25, 31, v24
	v_fma_f64 v[5:6], v[1:2], v[10:11], v[5:6]
	v_fma_f64 v[7:8], v[3:4], v[10:11], v[7:8]
	;; [unrolled: 1-line block ×6, first 2 shown]
	v_lshlrev_b64 v[13:14], 4, v[24:25]
                                        ; implicit-def: $vgpr20_vgpr21
                                        ; implicit-def: $vgpr18_vgpr19
                                        ; implicit-def: $vgpr16_vgpr17
	s_waitcnt lgkmcnt(0)
	v_add_co_u32 v13, vcc_lo, s2, v13
	v_add_co_ci_u32_e64 v14, null, s3, v14, vcc_lo
	global_store_dwordx4 v[13:14], v[5:8], off
	global_store_dwordx4 v[13:14], v[9:12], off offset:16
	global_store_dwordx4 v[13:14], v[0:3], off offset:32
                                        ; implicit-def: $vgpr9
                                        ; implicit-def: $vgpr10_vgpr11
                                        ; implicit-def: $vgpr12_vgpr13
                                        ; implicit-def: $vgpr14_vgpr15
                                        ; implicit-def: $vgpr7_vgpr8
                                        ; implicit-def: $vgpr3_vgpr4
.LBB141_23:
	s_andn2_saveexec_b32 s0, s0
	s_cbranch_execz .LBB141_25
; %bb.24:
	v_lshl_add_u32 v22, v9, 1, v9
	v_mul_f64 v[36:37], v[20:21], -v[3:4]
	v_mul_f64 v[20:21], v[1:2], v[20:21]
	v_mul_f64 v[38:39], v[18:19], -v[3:4]
	v_mul_f64 v[18:19], v[1:2], v[18:19]
	v_ashrrev_i32_e32 v23, 31, v22
	v_mul_f64 v[40:41], v[16:17], -v[3:4]
	v_mul_f64 v[16:17], v[1:2], v[16:17]
	v_lshlrev_b64 v[22:23], 4, v[22:23]
	s_waitcnt lgkmcnt(0)
	v_add_co_u32 v34, vcc_lo, s2, v22
	v_add_co_ci_u32_e64 v35, null, s3, v23, vcc_lo
	s_clause 0x2
	global_load_dwordx4 v[22:25], v[34:35], off
	global_load_dwordx4 v[26:29], v[34:35], off offset:16
	global_load_dwordx4 v[30:33], v[34:35], off offset:32
	v_fma_f64 v[36:37], v[1:2], v[10:11], v[36:37]
	v_fma_f64 v[9:10], v[3:4], v[10:11], v[20:21]
	v_fma_f64 v[20:21], v[1:2], v[12:13], v[38:39]
	v_fma_f64 v[11:12], v[3:4], v[12:13], v[18:19]
	v_fma_f64 v[0:1], v[1:2], v[14:15], v[40:41]
	v_fma_f64 v[2:3], v[3:4], v[14:15], v[16:17]
	s_waitcnt vmcnt(2)
	v_fma_f64 v[13:14], v[5:6], v[22:23], v[36:37]
	v_fma_f64 v[9:10], v[7:8], v[22:23], v[9:10]
	s_waitcnt vmcnt(1)
	v_fma_f64 v[15:16], v[5:6], v[26:27], v[20:21]
	v_fma_f64 v[11:12], v[7:8], v[26:27], v[11:12]
	;; [unrolled: 3-line block ×3, first 2 shown]
	v_fma_f64 v[0:1], -v[7:8], v[24:25], v[13:14]
	v_fma_f64 v[2:3], v[5:6], v[24:25], v[9:10]
	v_fma_f64 v[9:10], -v[7:8], v[28:29], v[15:16]
	v_fma_f64 v[11:12], v[5:6], v[28:29], v[11:12]
	;; [unrolled: 2-line block ×3, first 2 shown]
	global_store_dwordx4 v[34:35], v[0:3], off
	global_store_dwordx4 v[34:35], v[9:12], off offset:16
	global_store_dwordx4 v[34:35], v[13:16], off offset:32
.LBB141_25:
	s_endpgm
	.section	.rodata,"a",@progbits
	.p2align	6, 0x0
	.amdhsa_kernel _ZN9rocsparseL19gebsrmvn_3xn_kernelILj128ELj8ELj4E21rocsparse_complex_numIdEEEvi20rocsparse_direction_NS_24const_host_device_scalarIT2_EEPKiS8_PKS5_SA_S6_PS5_21rocsparse_index_base_b
		.amdhsa_group_segment_fixed_size 0
		.amdhsa_private_segment_fixed_size 0
		.amdhsa_kernarg_size 88
		.amdhsa_user_sgpr_count 6
		.amdhsa_user_sgpr_private_segment_buffer 1
		.amdhsa_user_sgpr_dispatch_ptr 0
		.amdhsa_user_sgpr_queue_ptr 0
		.amdhsa_user_sgpr_kernarg_segment_ptr 1
		.amdhsa_user_sgpr_dispatch_id 0
		.amdhsa_user_sgpr_flat_scratch_init 0
		.amdhsa_user_sgpr_private_segment_size 0
		.amdhsa_wavefront_size32 1
		.amdhsa_uses_dynamic_stack 0
		.amdhsa_system_sgpr_private_segment_wavefront_offset 0
		.amdhsa_system_sgpr_workgroup_id_x 1
		.amdhsa_system_sgpr_workgroup_id_y 0
		.amdhsa_system_sgpr_workgroup_id_z 0
		.amdhsa_system_sgpr_workgroup_info 0
		.amdhsa_system_vgpr_workitem_id 0
		.amdhsa_next_free_vgpr 69
		.amdhsa_next_free_sgpr 16
		.amdhsa_reserve_vcc 1
		.amdhsa_reserve_flat_scratch 0
		.amdhsa_float_round_mode_32 0
		.amdhsa_float_round_mode_16_64 0
		.amdhsa_float_denorm_mode_32 3
		.amdhsa_float_denorm_mode_16_64 3
		.amdhsa_dx10_clamp 1
		.amdhsa_ieee_mode 1
		.amdhsa_fp16_overflow 0
		.amdhsa_workgroup_processor_mode 1
		.amdhsa_memory_ordered 1
		.amdhsa_forward_progress 1
		.amdhsa_shared_vgpr_count 0
		.amdhsa_exception_fp_ieee_invalid_op 0
		.amdhsa_exception_fp_denorm_src 0
		.amdhsa_exception_fp_ieee_div_zero 0
		.amdhsa_exception_fp_ieee_overflow 0
		.amdhsa_exception_fp_ieee_underflow 0
		.amdhsa_exception_fp_ieee_inexact 0
		.amdhsa_exception_int_div_zero 0
	.end_amdhsa_kernel
	.section	.text._ZN9rocsparseL19gebsrmvn_3xn_kernelILj128ELj8ELj4E21rocsparse_complex_numIdEEEvi20rocsparse_direction_NS_24const_host_device_scalarIT2_EEPKiS8_PKS5_SA_S6_PS5_21rocsparse_index_base_b,"axG",@progbits,_ZN9rocsparseL19gebsrmvn_3xn_kernelILj128ELj8ELj4E21rocsparse_complex_numIdEEEvi20rocsparse_direction_NS_24const_host_device_scalarIT2_EEPKiS8_PKS5_SA_S6_PS5_21rocsparse_index_base_b,comdat
.Lfunc_end141:
	.size	_ZN9rocsparseL19gebsrmvn_3xn_kernelILj128ELj8ELj4E21rocsparse_complex_numIdEEEvi20rocsparse_direction_NS_24const_host_device_scalarIT2_EEPKiS8_PKS5_SA_S6_PS5_21rocsparse_index_base_b, .Lfunc_end141-_ZN9rocsparseL19gebsrmvn_3xn_kernelILj128ELj8ELj4E21rocsparse_complex_numIdEEEvi20rocsparse_direction_NS_24const_host_device_scalarIT2_EEPKiS8_PKS5_SA_S6_PS5_21rocsparse_index_base_b
                                        ; -- End function
	.set _ZN9rocsparseL19gebsrmvn_3xn_kernelILj128ELj8ELj4E21rocsparse_complex_numIdEEEvi20rocsparse_direction_NS_24const_host_device_scalarIT2_EEPKiS8_PKS5_SA_S6_PS5_21rocsparse_index_base_b.num_vgpr, 69
	.set _ZN9rocsparseL19gebsrmvn_3xn_kernelILj128ELj8ELj4E21rocsparse_complex_numIdEEEvi20rocsparse_direction_NS_24const_host_device_scalarIT2_EEPKiS8_PKS5_SA_S6_PS5_21rocsparse_index_base_b.num_agpr, 0
	.set _ZN9rocsparseL19gebsrmvn_3xn_kernelILj128ELj8ELj4E21rocsparse_complex_numIdEEEvi20rocsparse_direction_NS_24const_host_device_scalarIT2_EEPKiS8_PKS5_SA_S6_PS5_21rocsparse_index_base_b.numbered_sgpr, 16
	.set _ZN9rocsparseL19gebsrmvn_3xn_kernelILj128ELj8ELj4E21rocsparse_complex_numIdEEEvi20rocsparse_direction_NS_24const_host_device_scalarIT2_EEPKiS8_PKS5_SA_S6_PS5_21rocsparse_index_base_b.num_named_barrier, 0
	.set _ZN9rocsparseL19gebsrmvn_3xn_kernelILj128ELj8ELj4E21rocsparse_complex_numIdEEEvi20rocsparse_direction_NS_24const_host_device_scalarIT2_EEPKiS8_PKS5_SA_S6_PS5_21rocsparse_index_base_b.private_seg_size, 0
	.set _ZN9rocsparseL19gebsrmvn_3xn_kernelILj128ELj8ELj4E21rocsparse_complex_numIdEEEvi20rocsparse_direction_NS_24const_host_device_scalarIT2_EEPKiS8_PKS5_SA_S6_PS5_21rocsparse_index_base_b.uses_vcc, 1
	.set _ZN9rocsparseL19gebsrmvn_3xn_kernelILj128ELj8ELj4E21rocsparse_complex_numIdEEEvi20rocsparse_direction_NS_24const_host_device_scalarIT2_EEPKiS8_PKS5_SA_S6_PS5_21rocsparse_index_base_b.uses_flat_scratch, 0
	.set _ZN9rocsparseL19gebsrmvn_3xn_kernelILj128ELj8ELj4E21rocsparse_complex_numIdEEEvi20rocsparse_direction_NS_24const_host_device_scalarIT2_EEPKiS8_PKS5_SA_S6_PS5_21rocsparse_index_base_b.has_dyn_sized_stack, 0
	.set _ZN9rocsparseL19gebsrmvn_3xn_kernelILj128ELj8ELj4E21rocsparse_complex_numIdEEEvi20rocsparse_direction_NS_24const_host_device_scalarIT2_EEPKiS8_PKS5_SA_S6_PS5_21rocsparse_index_base_b.has_recursion, 0
	.set _ZN9rocsparseL19gebsrmvn_3xn_kernelILj128ELj8ELj4E21rocsparse_complex_numIdEEEvi20rocsparse_direction_NS_24const_host_device_scalarIT2_EEPKiS8_PKS5_SA_S6_PS5_21rocsparse_index_base_b.has_indirect_call, 0
	.section	.AMDGPU.csdata,"",@progbits
; Kernel info:
; codeLenInByte = 2624
; TotalNumSgprs: 18
; NumVgprs: 69
; ScratchSize: 0
; MemoryBound: 0
; FloatMode: 240
; IeeeMode: 1
; LDSByteSize: 0 bytes/workgroup (compile time only)
; SGPRBlocks: 0
; VGPRBlocks: 8
; NumSGPRsForWavesPerEU: 18
; NumVGPRsForWavesPerEU: 69
; Occupancy: 12
; WaveLimiterHint : 1
; COMPUTE_PGM_RSRC2:SCRATCH_EN: 0
; COMPUTE_PGM_RSRC2:USER_SGPR: 6
; COMPUTE_PGM_RSRC2:TRAP_HANDLER: 0
; COMPUTE_PGM_RSRC2:TGID_X_EN: 1
; COMPUTE_PGM_RSRC2:TGID_Y_EN: 0
; COMPUTE_PGM_RSRC2:TGID_Z_EN: 0
; COMPUTE_PGM_RSRC2:TIDIG_COMP_CNT: 0
	.section	.text._ZN9rocsparseL19gebsrmvn_3xn_kernelILj128ELj8ELj8E21rocsparse_complex_numIdEEEvi20rocsparse_direction_NS_24const_host_device_scalarIT2_EEPKiS8_PKS5_SA_S6_PS5_21rocsparse_index_base_b,"axG",@progbits,_ZN9rocsparseL19gebsrmvn_3xn_kernelILj128ELj8ELj8E21rocsparse_complex_numIdEEEvi20rocsparse_direction_NS_24const_host_device_scalarIT2_EEPKiS8_PKS5_SA_S6_PS5_21rocsparse_index_base_b,comdat
	.globl	_ZN9rocsparseL19gebsrmvn_3xn_kernelILj128ELj8ELj8E21rocsparse_complex_numIdEEEvi20rocsparse_direction_NS_24const_host_device_scalarIT2_EEPKiS8_PKS5_SA_S6_PS5_21rocsparse_index_base_b ; -- Begin function _ZN9rocsparseL19gebsrmvn_3xn_kernelILj128ELj8ELj8E21rocsparse_complex_numIdEEEvi20rocsparse_direction_NS_24const_host_device_scalarIT2_EEPKiS8_PKS5_SA_S6_PS5_21rocsparse_index_base_b
	.p2align	8
	.type	_ZN9rocsparseL19gebsrmvn_3xn_kernelILj128ELj8ELj8E21rocsparse_complex_numIdEEEvi20rocsparse_direction_NS_24const_host_device_scalarIT2_EEPKiS8_PKS5_SA_S6_PS5_21rocsparse_index_base_b,@function
_ZN9rocsparseL19gebsrmvn_3xn_kernelILj128ELj8ELj8E21rocsparse_complex_numIdEEEvi20rocsparse_direction_NS_24const_host_device_scalarIT2_EEPKiS8_PKS5_SA_S6_PS5_21rocsparse_index_base_b: ; @_ZN9rocsparseL19gebsrmvn_3xn_kernelILj128ELj8ELj8E21rocsparse_complex_numIdEEEvi20rocsparse_direction_NS_24const_host_device_scalarIT2_EEPKiS8_PKS5_SA_S6_PS5_21rocsparse_index_base_b
; %bb.0:
	s_clause 0x1
	s_load_dwordx2 s[2:3], s[4:5], 0x50
	s_load_dwordx2 s[0:1], s[4:5], 0x8
	s_add_u32 s7, s4, 8
	s_addc_u32 s10, s5, 0
	s_add_u32 s11, s4, 56
	s_addc_u32 s12, s5, 0
	s_load_dwordx2 s[8:9], s[4:5], 0x38
	s_waitcnt lgkmcnt(0)
	s_bitcmp1_b32 s3, 0
	s_cselect_b32 s0, s7, s0
	s_cselect_b32 s1, s10, s1
	v_mov_b32_e32 v1, s0
	v_mov_b32_e32 v2, s1
	s_cselect_b32 s0, s11, s8
	s_cselect_b32 s1, s12, s9
	v_mov_b32_e32 v5, s0
	v_mov_b32_e32 v6, s1
	flat_load_dwordx4 v[1:4], v[1:2]
	flat_load_dwordx4 v[5:8], v[5:6]
	s_waitcnt vmcnt(1) lgkmcnt(1)
	v_cmp_eq_f64_e32 vcc_lo, 0, v[1:2]
	v_cmp_eq_f64_e64 s0, 0, v[3:4]
	s_and_b32 s3, vcc_lo, s0
	s_mov_b32 s0, -1
	s_and_saveexec_b32 s1, s3
	s_cbranch_execz .LBB142_2
; %bb.1:
	s_waitcnt vmcnt(0) lgkmcnt(0)
	v_cmp_neq_f64_e32 vcc_lo, 1.0, v[5:6]
	v_cmp_neq_f64_e64 s0, 0, v[7:8]
	s_or_b32 s0, vcc_lo, s0
	s_orn2_b32 s0, s0, exec_lo
.LBB142_2:
	s_or_b32 exec_lo, exec_lo, s1
	s_and_saveexec_b32 s1, s0
	s_cbranch_execz .LBB142_25
; %bb.3:
	s_load_dwordx2 s[0:1], s[4:5], 0x0
	v_lshrrev_b32_e32 v9, 3, v0
	v_lshl_or_b32 v9, s6, 4, v9
	s_waitcnt lgkmcnt(0)
	v_cmp_gt_i32_e32 vcc_lo, s0, v9
	s_and_b32 exec_lo, exec_lo, vcc_lo
	s_cbranch_execz .LBB142_25
; %bb.4:
	s_load_dwordx8 s[8:15], s[4:5], 0x18
	v_ashrrev_i32_e32 v10, 31, v9
	v_and_b32_e32 v0, 7, v0
	s_cmp_lg_u32 s1, 0
	v_lshlrev_b64 v[10:11], 2, v[9:10]
	s_waitcnt lgkmcnt(0)
	v_add_co_u32 v10, vcc_lo, s8, v10
	v_add_co_ci_u32_e64 v11, null, s9, v11, vcc_lo
	global_load_dwordx2 v[19:20], v[10:11], off
	s_waitcnt vmcnt(0)
	v_subrev_nc_u32_e32 v10, s2, v19
	v_subrev_nc_u32_e32 v31, s2, v20
	v_add_nc_u32_e32 v18, v10, v0
	v_cmp_lt_i32_e64 s0, v18, v31
	s_cbranch_scc0 .LBB142_12
; %bb.5:
	v_mov_b32_e32 v10, 0
	v_mov_b32_e32 v12, 0
	;; [unrolled: 1-line block ×12, first 2 shown]
	s_and_saveexec_b32 s1, s0
	s_cbranch_execz .LBB142_11
; %bb.6:
	v_mul_lo_u32 v14, v19, 24
	s_mul_i32 s3, s2, 24
	v_mov_b32_e32 v10, 0
	v_mov_b32_e32 v12, 0
	;; [unrolled: 1-line block ×6, first 2 shown]
	v_mad_u32_u24 v19, v0, 24, v14
	v_mov_b32_e32 v14, 0
	v_mov_b32_e32 v25, 0
	;; [unrolled: 1-line block ×7, first 2 shown]
	v_subrev_nc_u32_e32 v19, s3, v19
	v_mov_b32_e32 v26, v18
	s_add_u32 s3, s14, 16
	s_addc_u32 s7, s15, 0
	s_mov_b32 s6, 0
.LBB142_7:                              ; =>This Loop Header: Depth=1
                                        ;     Child Loop BB142_8 Depth 2
	v_ashrrev_i32_e32 v27, 31, v26
	s_mov_b32 s8, 0
	v_lshlrev_b64 v[27:28], 2, v[26:27]
	v_add_co_u32 v27, vcc_lo, s10, v27
	v_add_co_ci_u32_e64 v28, null, s11, v28, vcc_lo
	global_load_dword v24, v[27:28], off
	s_waitcnt vmcnt(0)
	v_subrev_nc_u32_e32 v24, s2, v24
	v_lshlrev_b32_e32 v24, 3, v24
	v_lshlrev_b64 v[27:28], 4, v[24:25]
	v_add_co_u32 v27, vcc_lo, s3, v27
	v_add_co_ci_u32_e64 v28, null, s7, v28, vcc_lo
.LBB142_8:                              ;   Parent Loop BB142_7 Depth=1
                                        ; =>  This Inner Loop Header: Depth=2
	v_add_nc_u32_e32 v24, s8, v19
	v_mov_b32_e32 v30, v25
	s_clause 0x1
	global_load_dwordx4 v[32:35], v[27:28], off
	global_load_dwordx4 v[36:39], v[27:28], off offset:-16
	s_add_i32 s8, s8, 6
	s_cmp_eq_u32 s8, 24
	v_add_nc_u32_e32 v29, 2, v24
	v_lshlrev_b64 v[40:41], 4, v[24:25]
	v_add_nc_u32_e32 v24, 4, v24
	v_lshlrev_b64 v[29:30], 4, v[29:30]
	v_add_co_u32 v44, vcc_lo, s12, v40
	v_add_co_ci_u32_e64 v45, null, s13, v41, vcc_lo
	v_add_co_u32 v29, vcc_lo, s12, v29
	v_add_co_ci_u32_e64 v30, null, s13, v30, vcc_lo
	s_clause 0x3
	global_load_dwordx4 v[40:43], v[44:45], off
	global_load_dwordx4 v[44:47], v[44:45], off offset:16
	global_load_dwordx4 v[48:51], v[29:30], off
	global_load_dwordx4 v[52:55], v[29:30], off offset:16
	v_lshlrev_b64 v[29:30], 4, v[24:25]
	v_add_co_u32 v29, vcc_lo, s12, v29
	v_add_co_ci_u32_e64 v30, null, s13, v30, vcc_lo
	v_add_co_u32 v27, vcc_lo, v27, 32
	s_clause 0x1
	global_load_dwordx4 v[56:59], v[29:30], off
	global_load_dwordx4 v[60:63], v[29:30], off offset:16
	v_add_co_ci_u32_e64 v28, null, 0, v28, vcc_lo
	s_waitcnt vmcnt(5)
	v_fma_f64 v[12:13], v[40:41], v[36:37], v[12:13]
	v_fma_f64 v[10:11], v[42:43], v[36:37], v[10:11]
	s_waitcnt vmcnt(4)
	v_fma_f64 v[20:21], v[44:45], v[36:37], v[20:21]
	v_fma_f64 v[22:23], v[46:47], v[36:37], v[22:23]
	;; [unrolled: 3-line block ×3, first 2 shown]
	v_fma_f64 v[12:13], -v[42:43], v[38:39], v[12:13]
	v_fma_f64 v[10:11], v[40:41], v[38:39], v[10:11]
	v_fma_f64 v[20:21], -v[46:47], v[38:39], v[20:21]
	v_fma_f64 v[22:23], v[44:45], v[38:39], v[22:23]
	;; [unrolled: 2-line block ×3, first 2 shown]
	s_waitcnt vmcnt(2)
	v_fma_f64 v[12:13], v[52:53], v[32:33], v[12:13]
	v_fma_f64 v[10:11], v[54:55], v[32:33], v[10:11]
	s_waitcnt vmcnt(1)
	v_fma_f64 v[20:21], v[56:57], v[32:33], v[20:21]
	v_fma_f64 v[22:23], v[58:59], v[32:33], v[22:23]
	;; [unrolled: 3-line block ×3, first 2 shown]
	v_fma_f64 v[12:13], -v[54:55], v[34:35], v[12:13]
	v_fma_f64 v[10:11], v[52:53], v[34:35], v[10:11]
	v_fma_f64 v[20:21], -v[58:59], v[34:35], v[20:21]
	v_fma_f64 v[22:23], v[56:57], v[34:35], v[22:23]
	;; [unrolled: 2-line block ×3, first 2 shown]
	s_cbranch_scc0 .LBB142_8
; %bb.9:                                ;   in Loop: Header=BB142_7 Depth=1
	v_add_nc_u32_e32 v26, 8, v26
	v_add_nc_u32_e32 v19, 0xc0, v19
	v_cmp_ge_i32_e32 vcc_lo, v26, v31
	s_or_b32 s6, vcc_lo, s6
	s_andn2_b32 exec_lo, exec_lo, s6
	s_cbranch_execnz .LBB142_7
; %bb.10:
	s_or_b32 exec_lo, exec_lo, s6
.LBB142_11:
	s_or_b32 exec_lo, exec_lo, s1
	s_cbranch_execz .LBB142_13
	s_branch .LBB142_20
.LBB142_12:
                                        ; implicit-def: $vgpr10_vgpr11
                                        ; implicit-def: $vgpr12_vgpr13
                                        ; implicit-def: $vgpr14_vgpr15
                                        ; implicit-def: $vgpr16_vgpr17
                                        ; implicit-def: $vgpr20_vgpr21
                                        ; implicit-def: $vgpr22_vgpr23
.LBB142_13:
	v_mov_b32_e32 v10, 0
	v_mov_b32_e32 v12, 0
	;; [unrolled: 1-line block ×12, first 2 shown]
	s_and_saveexec_b32 s3, s0
	s_cbranch_execz .LBB142_19
; %bb.14:
	v_mul_lo_u32 v24, v18, 24
	v_mov_b32_e32 v10, 0
	v_mov_b32_e32 v12, 0
	;; [unrolled: 1-line block ×12, first 2 shown]
	v_add_nc_u32_e32 v26, 16, v24
	v_add_nc_u32_e32 v28, 8, v24
	v_mov_b32_e32 v30, 0
	s_mov_b32 s6, 0
.LBB142_15:                             ; =>This Loop Header: Depth=1
                                        ;     Child Loop BB142_16 Depth 2
	v_ashrrev_i32_e32 v19, 31, v18
	v_mov_b32_e32 v27, v30
	v_mov_b32_e32 v29, v30
	;; [unrolled: 1-line block ×3, first 2 shown]
	s_mov_b64 s[0:1], 0
	v_lshlrev_b64 v[32:33], 2, v[18:19]
	v_lshlrev_b64 v[34:35], 4, v[28:29]
	;; [unrolled: 1-line block ×3, first 2 shown]
	v_add_co_u32 v32, vcc_lo, s10, v32
	v_add_co_ci_u32_e64 v33, null, s11, v33, vcc_lo
	global_load_dword v19, v[32:33], off
	v_lshlrev_b64 v[32:33], 4, v[26:27]
	s_waitcnt vmcnt(0)
	v_subrev_nc_u32_e32 v27, s2, v19
	v_add_co_u32 v19, vcc_lo, s12, v32
	v_add_co_ci_u32_e64 v25, null, s13, v33, vcc_lo
	v_lshlrev_b32_e32 v29, 3, v27
	v_add_co_u32 v27, vcc_lo, s12, v34
	v_add_co_ci_u32_e64 v32, null, s13, v35, vcc_lo
	v_lshlrev_b64 v[38:39], 4, v[29:30]
	v_add_co_u32 v33, vcc_lo, s12, v36
	v_add_co_ci_u32_e64 v34, null, s13, v37, vcc_lo
	v_mov_b32_e32 v29, v24
	v_add_co_u32 v35, vcc_lo, s14, v38
	v_add_co_ci_u32_e64 v36, null, s15, v39, vcc_lo
.LBB142_16:                             ;   Parent Loop BB142_15 Depth=1
                                        ; =>  This Inner Loop Header: Depth=2
	v_add_nc_u32_e32 v51, 16, v29
	v_mov_b32_e32 v52, v30
	v_lshlrev_b64 v[53:54], 4, v[29:30]
	v_add_co_u32 v41, vcc_lo, v35, s0
	v_add_co_ci_u32_e64 v42, null, s1, v36, vcc_lo
	v_lshlrev_b64 v[51:52], 4, v[51:52]
	v_add_co_u32 v49, vcc_lo, v27, s0
	v_add_co_ci_u32_e64 v50, null, s1, v32, vcc_lo
	v_add_co_u32 v53, vcc_lo, s12, v53
	v_add_co_ci_u32_e64 v54, null, s13, v54, vcc_lo
	;; [unrolled: 2-line block ×3, first 2 shown]
	s_clause 0x1
	global_load_dwordx4 v[37:40], v[41:42], off offset:16
	global_load_dwordx4 v[41:44], v[41:42], off
	s_clause 0x3
	global_load_dwordx4 v[45:48], v[49:50], off
	global_load_dwordx4 v[49:52], v[49:50], off offset:16
	global_load_dwordx4 v[53:56], v[53:54], off
	global_load_dwordx4 v[57:60], v[57:58], off
	v_add_co_u32 v61, vcc_lo, v19, s0
	v_add_co_ci_u32_e64 v62, null, s1, v25, vcc_lo
	v_add_co_u32 v65, vcc_lo, v33, s0
	v_add_co_ci_u32_e64 v66, null, s1, v34, vcc_lo
	s_clause 0x1
	global_load_dwordx4 v[61:64], v[61:62], off offset:16
	global_load_dwordx4 v[65:68], v[65:66], off offset:16
	v_add_nc_u32_e32 v29, 2, v29
	s_add_u32 s0, s0, 32
	s_addc_u32 s1, s1, 0
	s_cmpk_eq_i32 s0, 0x80
	s_waitcnt vmcnt(5)
	v_fma_f64 v[20:21], v[45:46], v[41:42], v[20:21]
	v_fma_f64 v[22:23], v[47:48], v[41:42], v[22:23]
	s_waitcnt vmcnt(3)
	v_fma_f64 v[12:13], v[53:54], v[41:42], v[12:13]
	v_fma_f64 v[10:11], v[55:56], v[41:42], v[10:11]
	s_waitcnt vmcnt(2)
	v_fma_f64 v[14:15], v[57:58], v[41:42], v[14:15]
	v_fma_f64 v[16:17], v[59:60], v[41:42], v[16:17]
	v_fma_f64 v[20:21], -v[47:48], v[43:44], v[20:21]
	v_fma_f64 v[22:23], v[45:46], v[43:44], v[22:23]
	v_fma_f64 v[12:13], -v[55:56], v[43:44], v[12:13]
	v_fma_f64 v[10:11], v[53:54], v[43:44], v[10:11]
	;; [unrolled: 2-line block ×3, first 2 shown]
	v_fma_f64 v[20:21], v[49:50], v[37:38], v[20:21]
	v_fma_f64 v[22:23], v[51:52], v[37:38], v[22:23]
	s_waitcnt vmcnt(0)
	v_fma_f64 v[12:13], v[65:66], v[37:38], v[12:13]
	v_fma_f64 v[10:11], v[67:68], v[37:38], v[10:11]
	;; [unrolled: 1-line block ×4, first 2 shown]
	v_fma_f64 v[20:21], -v[51:52], v[39:40], v[20:21]
	v_fma_f64 v[22:23], v[49:50], v[39:40], v[22:23]
	v_fma_f64 v[12:13], -v[67:68], v[39:40], v[12:13]
	v_fma_f64 v[10:11], v[65:66], v[39:40], v[10:11]
	;; [unrolled: 2-line block ×3, first 2 shown]
	s_cbranch_scc0 .LBB142_16
; %bb.17:                               ;   in Loop: Header=BB142_15 Depth=1
	v_add_nc_u32_e32 v18, 8, v18
	v_add_nc_u32_e32 v26, 0xc0, v26
	v_add_nc_u32_e32 v28, 0xc0, v28
	v_add_nc_u32_e32 v24, 0xc0, v24
	v_cmp_ge_i32_e32 vcc_lo, v18, v31
	s_or_b32 s6, vcc_lo, s6
	s_andn2_b32 exec_lo, exec_lo, s6
	s_cbranch_execnz .LBB142_15
; %bb.18:
	s_or_b32 exec_lo, exec_lo, s6
.LBB142_19:
	s_or_b32 exec_lo, exec_lo, s3
.LBB142_20:
	v_mbcnt_lo_u32_b32 v34, -1, 0
	v_xor_b32_e32 v18, 4, v34
	v_cmp_gt_i32_e32 vcc_lo, 32, v18
	v_cndmask_b32_e32 v18, v34, v18, vcc_lo
	v_lshlrev_b32_e32 v33, 2, v18
	ds_bpermute_b32 v18, v33, v12
	ds_bpermute_b32 v19, v33, v13
	ds_bpermute_b32 v24, v33, v10
	ds_bpermute_b32 v25, v33, v11
	ds_bpermute_b32 v26, v33, v20
	ds_bpermute_b32 v27, v33, v21
	ds_bpermute_b32 v28, v33, v22
	ds_bpermute_b32 v29, v33, v23
	ds_bpermute_b32 v30, v33, v14
	ds_bpermute_b32 v31, v33, v15
	ds_bpermute_b32 v32, v33, v16
	ds_bpermute_b32 v33, v33, v17
	s_waitcnt lgkmcnt(10)
	v_add_f64 v[12:13], v[12:13], v[18:19]
	s_waitcnt lgkmcnt(8)
	v_add_f64 v[18:19], v[10:11], v[24:25]
	v_xor_b32_e32 v10, 2, v34
	s_waitcnt lgkmcnt(6)
	v_add_f64 v[24:25], v[20:21], v[26:27]
	s_waitcnt lgkmcnt(4)
	v_add_f64 v[22:23], v[22:23], v[28:29]
	;; [unrolled: 2-line block ×3, first 2 shown]
	v_cmp_gt_i32_e32 vcc_lo, 32, v10
	s_waitcnt lgkmcnt(0)
	v_add_f64 v[16:17], v[16:17], v[32:33]
	v_cndmask_b32_e32 v10, v34, v10, vcc_lo
	v_lshlrev_b32_e32 v33, 2, v10
	ds_bpermute_b32 v10, v33, v12
	ds_bpermute_b32 v11, v33, v13
	;; [unrolled: 1-line block ×12, first 2 shown]
	s_waitcnt lgkmcnt(10)
	v_add_f64 v[10:11], v[12:13], v[10:11]
	s_waitcnt lgkmcnt(8)
	v_add_f64 v[20:21], v[18:19], v[20:21]
	;; [unrolled: 2-line block ×3, first 2 shown]
	v_xor_b32_e32 v24, 1, v34
	s_waitcnt lgkmcnt(4)
	v_add_f64 v[18:19], v[22:23], v[28:29]
	s_waitcnt lgkmcnt(2)
	v_add_f64 v[14:15], v[14:15], v[30:31]
	;; [unrolled: 2-line block ×3, first 2 shown]
	v_cmp_gt_i32_e32 vcc_lo, 32, v24
	v_cndmask_b32_e32 v22, v34, v24, vcc_lo
	v_cmp_eq_u32_e32 vcc_lo, 7, v0
	v_lshlrev_b32_e32 v25, 2, v22
	ds_bpermute_b32 v32, v25, v10
	ds_bpermute_b32 v33, v25, v11
	;; [unrolled: 1-line block ×12, first 2 shown]
	s_and_b32 exec_lo, exec_lo, vcc_lo
	s_cbranch_execz .LBB142_25
; %bb.21:
	v_cmp_eq_f64_e32 vcc_lo, 0, v[5:6]
	v_cmp_eq_f64_e64 s0, 0, v[7:8]
	s_waitcnt lgkmcnt(10)
	v_add_f64 v[10:11], v[10:11], v[32:33]
	s_waitcnt lgkmcnt(8)
	v_add_f64 v[20:21], v[20:21], v[30:31]
	;; [unrolled: 2-line block ×6, first 2 shown]
	s_load_dwordx2 s[2:3], s[4:5], 0x48
	s_and_b32 s0, vcc_lo, s0
	s_and_saveexec_b32 s1, s0
	s_xor_b32 s0, exec_lo, s1
	s_cbranch_execz .LBB142_23
; %bb.22:
	v_mul_f64 v[5:6], v[20:21], -v[3:4]
	v_mul_f64 v[7:8], v[1:2], v[20:21]
	v_mul_f64 v[20:21], v[18:19], -v[3:4]
	v_mul_f64 v[18:19], v[1:2], v[18:19]
	;; [unrolled: 2-line block ×3, first 2 shown]
	v_lshl_add_u32 v24, v9, 1, v9
	v_ashrrev_i32_e32 v25, 31, v24
	v_fma_f64 v[5:6], v[1:2], v[10:11], v[5:6]
	v_fma_f64 v[7:8], v[3:4], v[10:11], v[7:8]
	v_fma_f64 v[9:10], v[1:2], v[12:13], v[20:21]
	v_fma_f64 v[11:12], v[3:4], v[12:13], v[18:19]
	v_fma_f64 v[0:1], v[1:2], v[14:15], v[22:23]
	v_fma_f64 v[2:3], v[3:4], v[14:15], v[16:17]
	v_lshlrev_b64 v[13:14], 4, v[24:25]
                                        ; implicit-def: $vgpr20_vgpr21
                                        ; implicit-def: $vgpr18_vgpr19
                                        ; implicit-def: $vgpr16_vgpr17
	s_waitcnt lgkmcnt(0)
	v_add_co_u32 v13, vcc_lo, s2, v13
	v_add_co_ci_u32_e64 v14, null, s3, v14, vcc_lo
	global_store_dwordx4 v[13:14], v[5:8], off
	global_store_dwordx4 v[13:14], v[9:12], off offset:16
	global_store_dwordx4 v[13:14], v[0:3], off offset:32
                                        ; implicit-def: $vgpr9
                                        ; implicit-def: $vgpr10_vgpr11
                                        ; implicit-def: $vgpr12_vgpr13
                                        ; implicit-def: $vgpr14_vgpr15
                                        ; implicit-def: $vgpr7_vgpr8
                                        ; implicit-def: $vgpr3_vgpr4
.LBB142_23:
	s_andn2_saveexec_b32 s0, s0
	s_cbranch_execz .LBB142_25
; %bb.24:
	v_lshl_add_u32 v22, v9, 1, v9
	v_mul_f64 v[36:37], v[20:21], -v[3:4]
	v_mul_f64 v[20:21], v[1:2], v[20:21]
	v_mul_f64 v[38:39], v[18:19], -v[3:4]
	v_mul_f64 v[18:19], v[1:2], v[18:19]
	v_ashrrev_i32_e32 v23, 31, v22
	v_mul_f64 v[40:41], v[16:17], -v[3:4]
	v_mul_f64 v[16:17], v[1:2], v[16:17]
	v_lshlrev_b64 v[22:23], 4, v[22:23]
	s_waitcnt lgkmcnt(0)
	v_add_co_u32 v34, vcc_lo, s2, v22
	v_add_co_ci_u32_e64 v35, null, s3, v23, vcc_lo
	s_clause 0x2
	global_load_dwordx4 v[22:25], v[34:35], off
	global_load_dwordx4 v[26:29], v[34:35], off offset:16
	global_load_dwordx4 v[30:33], v[34:35], off offset:32
	v_fma_f64 v[36:37], v[1:2], v[10:11], v[36:37]
	v_fma_f64 v[9:10], v[3:4], v[10:11], v[20:21]
	;; [unrolled: 1-line block ×6, first 2 shown]
	s_waitcnt vmcnt(2)
	v_fma_f64 v[13:14], v[5:6], v[22:23], v[36:37]
	v_fma_f64 v[9:10], v[7:8], v[22:23], v[9:10]
	s_waitcnt vmcnt(1)
	v_fma_f64 v[15:16], v[5:6], v[26:27], v[20:21]
	v_fma_f64 v[11:12], v[7:8], v[26:27], v[11:12]
	;; [unrolled: 3-line block ×3, first 2 shown]
	v_fma_f64 v[0:1], -v[7:8], v[24:25], v[13:14]
	v_fma_f64 v[2:3], v[5:6], v[24:25], v[9:10]
	v_fma_f64 v[9:10], -v[7:8], v[28:29], v[15:16]
	v_fma_f64 v[11:12], v[5:6], v[28:29], v[11:12]
	;; [unrolled: 2-line block ×3, first 2 shown]
	global_store_dwordx4 v[34:35], v[0:3], off
	global_store_dwordx4 v[34:35], v[9:12], off offset:16
	global_store_dwordx4 v[34:35], v[13:16], off offset:32
.LBB142_25:
	s_endpgm
	.section	.rodata,"a",@progbits
	.p2align	6, 0x0
	.amdhsa_kernel _ZN9rocsparseL19gebsrmvn_3xn_kernelILj128ELj8ELj8E21rocsparse_complex_numIdEEEvi20rocsparse_direction_NS_24const_host_device_scalarIT2_EEPKiS8_PKS5_SA_S6_PS5_21rocsparse_index_base_b
		.amdhsa_group_segment_fixed_size 0
		.amdhsa_private_segment_fixed_size 0
		.amdhsa_kernarg_size 88
		.amdhsa_user_sgpr_count 6
		.amdhsa_user_sgpr_private_segment_buffer 1
		.amdhsa_user_sgpr_dispatch_ptr 0
		.amdhsa_user_sgpr_queue_ptr 0
		.amdhsa_user_sgpr_kernarg_segment_ptr 1
		.amdhsa_user_sgpr_dispatch_id 0
		.amdhsa_user_sgpr_flat_scratch_init 0
		.amdhsa_user_sgpr_private_segment_size 0
		.amdhsa_wavefront_size32 1
		.amdhsa_uses_dynamic_stack 0
		.amdhsa_system_sgpr_private_segment_wavefront_offset 0
		.amdhsa_system_sgpr_workgroup_id_x 1
		.amdhsa_system_sgpr_workgroup_id_y 0
		.amdhsa_system_sgpr_workgroup_id_z 0
		.amdhsa_system_sgpr_workgroup_info 0
		.amdhsa_system_vgpr_workitem_id 0
		.amdhsa_next_free_vgpr 69
		.amdhsa_next_free_sgpr 16
		.amdhsa_reserve_vcc 1
		.amdhsa_reserve_flat_scratch 0
		.amdhsa_float_round_mode_32 0
		.amdhsa_float_round_mode_16_64 0
		.amdhsa_float_denorm_mode_32 3
		.amdhsa_float_denorm_mode_16_64 3
		.amdhsa_dx10_clamp 1
		.amdhsa_ieee_mode 1
		.amdhsa_fp16_overflow 0
		.amdhsa_workgroup_processor_mode 1
		.amdhsa_memory_ordered 1
		.amdhsa_forward_progress 1
		.amdhsa_shared_vgpr_count 0
		.amdhsa_exception_fp_ieee_invalid_op 0
		.amdhsa_exception_fp_denorm_src 0
		.amdhsa_exception_fp_ieee_div_zero 0
		.amdhsa_exception_fp_ieee_overflow 0
		.amdhsa_exception_fp_ieee_underflow 0
		.amdhsa_exception_fp_ieee_inexact 0
		.amdhsa_exception_int_div_zero 0
	.end_amdhsa_kernel
	.section	.text._ZN9rocsparseL19gebsrmvn_3xn_kernelILj128ELj8ELj8E21rocsparse_complex_numIdEEEvi20rocsparse_direction_NS_24const_host_device_scalarIT2_EEPKiS8_PKS5_SA_S6_PS5_21rocsparse_index_base_b,"axG",@progbits,_ZN9rocsparseL19gebsrmvn_3xn_kernelILj128ELj8ELj8E21rocsparse_complex_numIdEEEvi20rocsparse_direction_NS_24const_host_device_scalarIT2_EEPKiS8_PKS5_SA_S6_PS5_21rocsparse_index_base_b,comdat
.Lfunc_end142:
	.size	_ZN9rocsparseL19gebsrmvn_3xn_kernelILj128ELj8ELj8E21rocsparse_complex_numIdEEEvi20rocsparse_direction_NS_24const_host_device_scalarIT2_EEPKiS8_PKS5_SA_S6_PS5_21rocsparse_index_base_b, .Lfunc_end142-_ZN9rocsparseL19gebsrmvn_3xn_kernelILj128ELj8ELj8E21rocsparse_complex_numIdEEEvi20rocsparse_direction_NS_24const_host_device_scalarIT2_EEPKiS8_PKS5_SA_S6_PS5_21rocsparse_index_base_b
                                        ; -- End function
	.set _ZN9rocsparseL19gebsrmvn_3xn_kernelILj128ELj8ELj8E21rocsparse_complex_numIdEEEvi20rocsparse_direction_NS_24const_host_device_scalarIT2_EEPKiS8_PKS5_SA_S6_PS5_21rocsparse_index_base_b.num_vgpr, 69
	.set _ZN9rocsparseL19gebsrmvn_3xn_kernelILj128ELj8ELj8E21rocsparse_complex_numIdEEEvi20rocsparse_direction_NS_24const_host_device_scalarIT2_EEPKiS8_PKS5_SA_S6_PS5_21rocsparse_index_base_b.num_agpr, 0
	.set _ZN9rocsparseL19gebsrmvn_3xn_kernelILj128ELj8ELj8E21rocsparse_complex_numIdEEEvi20rocsparse_direction_NS_24const_host_device_scalarIT2_EEPKiS8_PKS5_SA_S6_PS5_21rocsparse_index_base_b.numbered_sgpr, 16
	.set _ZN9rocsparseL19gebsrmvn_3xn_kernelILj128ELj8ELj8E21rocsparse_complex_numIdEEEvi20rocsparse_direction_NS_24const_host_device_scalarIT2_EEPKiS8_PKS5_SA_S6_PS5_21rocsparse_index_base_b.num_named_barrier, 0
	.set _ZN9rocsparseL19gebsrmvn_3xn_kernelILj128ELj8ELj8E21rocsparse_complex_numIdEEEvi20rocsparse_direction_NS_24const_host_device_scalarIT2_EEPKiS8_PKS5_SA_S6_PS5_21rocsparse_index_base_b.private_seg_size, 0
	.set _ZN9rocsparseL19gebsrmvn_3xn_kernelILj128ELj8ELj8E21rocsparse_complex_numIdEEEvi20rocsparse_direction_NS_24const_host_device_scalarIT2_EEPKiS8_PKS5_SA_S6_PS5_21rocsparse_index_base_b.uses_vcc, 1
	.set _ZN9rocsparseL19gebsrmvn_3xn_kernelILj128ELj8ELj8E21rocsparse_complex_numIdEEEvi20rocsparse_direction_NS_24const_host_device_scalarIT2_EEPKiS8_PKS5_SA_S6_PS5_21rocsparse_index_base_b.uses_flat_scratch, 0
	.set _ZN9rocsparseL19gebsrmvn_3xn_kernelILj128ELj8ELj8E21rocsparse_complex_numIdEEEvi20rocsparse_direction_NS_24const_host_device_scalarIT2_EEPKiS8_PKS5_SA_S6_PS5_21rocsparse_index_base_b.has_dyn_sized_stack, 0
	.set _ZN9rocsparseL19gebsrmvn_3xn_kernelILj128ELj8ELj8E21rocsparse_complex_numIdEEEvi20rocsparse_direction_NS_24const_host_device_scalarIT2_EEPKiS8_PKS5_SA_S6_PS5_21rocsparse_index_base_b.has_recursion, 0
	.set _ZN9rocsparseL19gebsrmvn_3xn_kernelILj128ELj8ELj8E21rocsparse_complex_numIdEEEvi20rocsparse_direction_NS_24const_host_device_scalarIT2_EEPKiS8_PKS5_SA_S6_PS5_21rocsparse_index_base_b.has_indirect_call, 0
	.section	.AMDGPU.csdata,"",@progbits
; Kernel info:
; codeLenInByte = 2808
; TotalNumSgprs: 18
; NumVgprs: 69
; ScratchSize: 0
; MemoryBound: 0
; FloatMode: 240
; IeeeMode: 1
; LDSByteSize: 0 bytes/workgroup (compile time only)
; SGPRBlocks: 0
; VGPRBlocks: 8
; NumSGPRsForWavesPerEU: 18
; NumVGPRsForWavesPerEU: 69
; Occupancy: 12
; WaveLimiterHint : 1
; COMPUTE_PGM_RSRC2:SCRATCH_EN: 0
; COMPUTE_PGM_RSRC2:USER_SGPR: 6
; COMPUTE_PGM_RSRC2:TRAP_HANDLER: 0
; COMPUTE_PGM_RSRC2:TGID_X_EN: 1
; COMPUTE_PGM_RSRC2:TGID_Y_EN: 0
; COMPUTE_PGM_RSRC2:TGID_Z_EN: 0
; COMPUTE_PGM_RSRC2:TIDIG_COMP_CNT: 0
	.section	.text._ZN9rocsparseL19gebsrmvn_3xn_kernelILj128ELj8ELj16E21rocsparse_complex_numIdEEEvi20rocsparse_direction_NS_24const_host_device_scalarIT2_EEPKiS8_PKS5_SA_S6_PS5_21rocsparse_index_base_b,"axG",@progbits,_ZN9rocsparseL19gebsrmvn_3xn_kernelILj128ELj8ELj16E21rocsparse_complex_numIdEEEvi20rocsparse_direction_NS_24const_host_device_scalarIT2_EEPKiS8_PKS5_SA_S6_PS5_21rocsparse_index_base_b,comdat
	.globl	_ZN9rocsparseL19gebsrmvn_3xn_kernelILj128ELj8ELj16E21rocsparse_complex_numIdEEEvi20rocsparse_direction_NS_24const_host_device_scalarIT2_EEPKiS8_PKS5_SA_S6_PS5_21rocsparse_index_base_b ; -- Begin function _ZN9rocsparseL19gebsrmvn_3xn_kernelILj128ELj8ELj16E21rocsparse_complex_numIdEEEvi20rocsparse_direction_NS_24const_host_device_scalarIT2_EEPKiS8_PKS5_SA_S6_PS5_21rocsparse_index_base_b
	.p2align	8
	.type	_ZN9rocsparseL19gebsrmvn_3xn_kernelILj128ELj8ELj16E21rocsparse_complex_numIdEEEvi20rocsparse_direction_NS_24const_host_device_scalarIT2_EEPKiS8_PKS5_SA_S6_PS5_21rocsparse_index_base_b,@function
_ZN9rocsparseL19gebsrmvn_3xn_kernelILj128ELj8ELj16E21rocsparse_complex_numIdEEEvi20rocsparse_direction_NS_24const_host_device_scalarIT2_EEPKiS8_PKS5_SA_S6_PS5_21rocsparse_index_base_b: ; @_ZN9rocsparseL19gebsrmvn_3xn_kernelILj128ELj8ELj16E21rocsparse_complex_numIdEEEvi20rocsparse_direction_NS_24const_host_device_scalarIT2_EEPKiS8_PKS5_SA_S6_PS5_21rocsparse_index_base_b
; %bb.0:
	s_clause 0x1
	s_load_dwordx2 s[2:3], s[4:5], 0x50
	s_load_dwordx2 s[0:1], s[4:5], 0x8
	s_add_u32 s7, s4, 8
	s_addc_u32 s10, s5, 0
	s_add_u32 s11, s4, 56
	s_addc_u32 s12, s5, 0
	s_load_dwordx2 s[8:9], s[4:5], 0x38
	s_waitcnt lgkmcnt(0)
	s_bitcmp1_b32 s3, 0
	s_cselect_b32 s0, s7, s0
	s_cselect_b32 s1, s10, s1
	v_mov_b32_e32 v1, s0
	v_mov_b32_e32 v2, s1
	s_cselect_b32 s0, s11, s8
	s_cselect_b32 s1, s12, s9
	v_mov_b32_e32 v5, s0
	v_mov_b32_e32 v6, s1
	flat_load_dwordx4 v[1:4], v[1:2]
	flat_load_dwordx4 v[5:8], v[5:6]
	s_waitcnt vmcnt(1) lgkmcnt(1)
	v_cmp_eq_f64_e32 vcc_lo, 0, v[1:2]
	v_cmp_eq_f64_e64 s0, 0, v[3:4]
	s_and_b32 s3, vcc_lo, s0
	s_mov_b32 s0, -1
	s_and_saveexec_b32 s1, s3
	s_cbranch_execz .LBB143_2
; %bb.1:
	s_waitcnt vmcnt(0) lgkmcnt(0)
	v_cmp_neq_f64_e32 vcc_lo, 1.0, v[5:6]
	v_cmp_neq_f64_e64 s0, 0, v[7:8]
	s_or_b32 s0, vcc_lo, s0
	s_orn2_b32 s0, s0, exec_lo
.LBB143_2:
	s_or_b32 exec_lo, exec_lo, s1
	s_and_saveexec_b32 s1, s0
	s_cbranch_execz .LBB143_25
; %bb.3:
	s_load_dwordx2 s[0:1], s[4:5], 0x0
	v_lshrrev_b32_e32 v9, 4, v0
	v_lshl_or_b32 v9, s6, 3, v9
	s_waitcnt lgkmcnt(0)
	v_cmp_gt_i32_e32 vcc_lo, s0, v9
	s_and_b32 exec_lo, exec_lo, vcc_lo
	s_cbranch_execz .LBB143_25
; %bb.4:
	s_load_dwordx8 s[8:15], s[4:5], 0x18
	v_ashrrev_i32_e32 v10, 31, v9
	v_and_b32_e32 v0, 15, v0
	s_cmp_lg_u32 s1, 0
	v_lshlrev_b64 v[10:11], 2, v[9:10]
	s_waitcnt lgkmcnt(0)
	v_add_co_u32 v10, vcc_lo, s8, v10
	v_add_co_ci_u32_e64 v11, null, s9, v11, vcc_lo
	global_load_dwordx2 v[23:24], v[10:11], off
	s_waitcnt vmcnt(0)
	v_subrev_nc_u32_e32 v10, s2, v23
	v_subrev_nc_u32_e32 v31, s2, v24
	v_add_nc_u32_e32 v22, v10, v0
	v_cmp_lt_i32_e64 s0, v22, v31
	s_cbranch_scc0 .LBB143_12
; %bb.5:
	v_mov_b32_e32 v10, 0
	v_mov_b32_e32 v12, 0
	;; [unrolled: 1-line block ×12, first 2 shown]
	s_and_saveexec_b32 s1, s0
	s_cbranch_execz .LBB143_11
; %bb.6:
	v_mul_lo_u32 v14, v23, 24
	s_mul_i32 s3, s2, 24
	v_mov_b32_e32 v10, 0
	v_mov_b32_e32 v12, 0
	;; [unrolled: 1-line block ×6, first 2 shown]
	v_mad_u32_u24 v23, v0, 24, v14
	v_mov_b32_e32 v14, 0
	v_mov_b32_e32 v24, 0
	;; [unrolled: 1-line block ×7, first 2 shown]
	v_subrev_nc_u32_e32 v28, s3, v23
	v_mov_b32_e32 v25, v22
	s_add_u32 s3, s14, 16
	s_addc_u32 s7, s15, 0
	s_mov_b32 s6, 0
.LBB143_7:                              ; =>This Loop Header: Depth=1
                                        ;     Child Loop BB143_8 Depth 2
	v_ashrrev_i32_e32 v26, 31, v25
	s_mov_b32 s8, 0
	v_lshlrev_b64 v[26:27], 2, v[25:26]
	v_add_co_u32 v26, vcc_lo, s10, v26
	v_add_co_ci_u32_e64 v27, null, s11, v27, vcc_lo
	global_load_dword v23, v[26:27], off
	s_waitcnt vmcnt(0)
	v_subrev_nc_u32_e32 v23, s2, v23
	v_lshlrev_b32_e32 v23, 3, v23
	v_lshlrev_b64 v[26:27], 4, v[23:24]
	v_add_co_u32 v26, vcc_lo, s3, v26
	v_add_co_ci_u32_e64 v27, null, s7, v27, vcc_lo
.LBB143_8:                              ;   Parent Loop BB143_7 Depth=1
                                        ; =>  This Inner Loop Header: Depth=2
	v_add_nc_u32_e32 v23, s8, v28
	v_mov_b32_e32 v30, v24
	s_clause 0x1
	global_load_dwordx4 v[32:35], v[26:27], off
	global_load_dwordx4 v[36:39], v[26:27], off offset:-16
	s_add_i32 s8, s8, 6
	s_cmp_eq_u32 s8, 24
	v_add_nc_u32_e32 v29, 2, v23
	v_lshlrev_b64 v[40:41], 4, v[23:24]
	v_add_nc_u32_e32 v23, 4, v23
	v_lshlrev_b64 v[29:30], 4, v[29:30]
	v_add_co_u32 v44, vcc_lo, s12, v40
	v_add_co_ci_u32_e64 v45, null, s13, v41, vcc_lo
	v_add_co_u32 v29, vcc_lo, s12, v29
	v_add_co_ci_u32_e64 v30, null, s13, v30, vcc_lo
	s_clause 0x3
	global_load_dwordx4 v[40:43], v[44:45], off
	global_load_dwordx4 v[44:47], v[44:45], off offset:16
	global_load_dwordx4 v[48:51], v[29:30], off
	global_load_dwordx4 v[52:55], v[29:30], off offset:16
	v_lshlrev_b64 v[29:30], 4, v[23:24]
	v_add_co_u32 v29, vcc_lo, s12, v29
	v_add_co_ci_u32_e64 v30, null, s13, v30, vcc_lo
	v_add_co_u32 v26, vcc_lo, v26, 32
	s_clause 0x1
	global_load_dwordx4 v[56:59], v[29:30], off
	global_load_dwordx4 v[60:63], v[29:30], off offset:16
	v_add_co_ci_u32_e64 v27, null, 0, v27, vcc_lo
	s_waitcnt vmcnt(5)
	v_fma_f64 v[12:13], v[40:41], v[36:37], v[12:13]
	v_fma_f64 v[10:11], v[42:43], v[36:37], v[10:11]
	s_waitcnt vmcnt(4)
	v_fma_f64 v[18:19], v[44:45], v[36:37], v[18:19]
	v_fma_f64 v[20:21], v[46:47], v[36:37], v[20:21]
	;; [unrolled: 3-line block ×3, first 2 shown]
	v_fma_f64 v[12:13], -v[42:43], v[38:39], v[12:13]
	v_fma_f64 v[10:11], v[40:41], v[38:39], v[10:11]
	v_fma_f64 v[18:19], -v[46:47], v[38:39], v[18:19]
	v_fma_f64 v[20:21], v[44:45], v[38:39], v[20:21]
	v_fma_f64 v[14:15], -v[50:51], v[38:39], v[14:15]
	v_fma_f64 v[16:17], v[48:49], v[38:39], v[16:17]
	s_waitcnt vmcnt(2)
	v_fma_f64 v[12:13], v[52:53], v[32:33], v[12:13]
	v_fma_f64 v[10:11], v[54:55], v[32:33], v[10:11]
	s_waitcnt vmcnt(1)
	v_fma_f64 v[18:19], v[56:57], v[32:33], v[18:19]
	v_fma_f64 v[20:21], v[58:59], v[32:33], v[20:21]
	;; [unrolled: 3-line block ×3, first 2 shown]
	v_fma_f64 v[12:13], -v[54:55], v[34:35], v[12:13]
	v_fma_f64 v[10:11], v[52:53], v[34:35], v[10:11]
	v_fma_f64 v[18:19], -v[58:59], v[34:35], v[18:19]
	v_fma_f64 v[20:21], v[56:57], v[34:35], v[20:21]
	;; [unrolled: 2-line block ×3, first 2 shown]
	s_cbranch_scc0 .LBB143_8
; %bb.9:                                ;   in Loop: Header=BB143_7 Depth=1
	v_add_nc_u32_e32 v25, 16, v25
	v_add_nc_u32_e32 v28, 0x180, v28
	v_cmp_ge_i32_e32 vcc_lo, v25, v31
	s_or_b32 s6, vcc_lo, s6
	s_andn2_b32 exec_lo, exec_lo, s6
	s_cbranch_execnz .LBB143_7
; %bb.10:
	s_or_b32 exec_lo, exec_lo, s6
.LBB143_11:
	s_or_b32 exec_lo, exec_lo, s1
	s_cbranch_execz .LBB143_13
	s_branch .LBB143_20
.LBB143_12:
                                        ; implicit-def: $vgpr10_vgpr11
                                        ; implicit-def: $vgpr12_vgpr13
                                        ; implicit-def: $vgpr14_vgpr15
                                        ; implicit-def: $vgpr16_vgpr17
                                        ; implicit-def: $vgpr18_vgpr19
                                        ; implicit-def: $vgpr20_vgpr21
.LBB143_13:
	v_mov_b32_e32 v10, 0
	v_mov_b32_e32 v12, 0
	;; [unrolled: 1-line block ×12, first 2 shown]
	s_and_saveexec_b32 s3, s0
	s_cbranch_execz .LBB143_19
; %bb.14:
	v_mul_lo_u32 v24, v22, 24
	v_mov_b32_e32 v10, 0
	v_mov_b32_e32 v12, 0
	v_mov_b32_e32 v14, 0
	v_mov_b32_e32 v16, 0
	v_mov_b32_e32 v18, 0
	v_mov_b32_e32 v20, 0
	v_mov_b32_e32 v11, 0
	v_mov_b32_e32 v13, 0
	v_mov_b32_e32 v15, 0
	v_mov_b32_e32 v17, 0
	v_mov_b32_e32 v19, 0
	v_mov_b32_e32 v21, 0
	v_add_nc_u32_e32 v26, 16, v24
	v_add_nc_u32_e32 v28, 8, v24
	v_mov_b32_e32 v30, 0
	s_mov_b32 s6, 0
.LBB143_15:                             ; =>This Loop Header: Depth=1
                                        ;     Child Loop BB143_16 Depth 2
	v_ashrrev_i32_e32 v23, 31, v22
	v_mov_b32_e32 v27, v30
	v_mov_b32_e32 v29, v30
	;; [unrolled: 1-line block ×3, first 2 shown]
	s_mov_b64 s[0:1], 0
	v_lshlrev_b64 v[32:33], 2, v[22:23]
	v_lshlrev_b64 v[34:35], 4, v[28:29]
	;; [unrolled: 1-line block ×3, first 2 shown]
	v_add_co_u32 v32, vcc_lo, s10, v32
	v_add_co_ci_u32_e64 v33, null, s11, v33, vcc_lo
	global_load_dword v23, v[32:33], off
	v_lshlrev_b64 v[32:33], 4, v[26:27]
	s_waitcnt vmcnt(0)
	v_subrev_nc_u32_e32 v27, s2, v23
	v_add_co_u32 v23, vcc_lo, s12, v32
	v_add_co_ci_u32_e64 v25, null, s13, v33, vcc_lo
	v_lshlrev_b32_e32 v29, 3, v27
	v_add_co_u32 v27, vcc_lo, s12, v34
	v_add_co_ci_u32_e64 v32, null, s13, v35, vcc_lo
	v_lshlrev_b64 v[38:39], 4, v[29:30]
	v_add_co_u32 v33, vcc_lo, s12, v36
	v_add_co_ci_u32_e64 v34, null, s13, v37, vcc_lo
	v_mov_b32_e32 v29, v24
	v_add_co_u32 v35, vcc_lo, s14, v38
	v_add_co_ci_u32_e64 v36, null, s15, v39, vcc_lo
.LBB143_16:                             ;   Parent Loop BB143_15 Depth=1
                                        ; =>  This Inner Loop Header: Depth=2
	v_add_nc_u32_e32 v51, 16, v29
	v_mov_b32_e32 v52, v30
	v_lshlrev_b64 v[53:54], 4, v[29:30]
	v_add_co_u32 v41, vcc_lo, v35, s0
	v_add_co_ci_u32_e64 v42, null, s1, v36, vcc_lo
	v_lshlrev_b64 v[51:52], 4, v[51:52]
	v_add_co_u32 v49, vcc_lo, v27, s0
	v_add_co_ci_u32_e64 v50, null, s1, v32, vcc_lo
	v_add_co_u32 v53, vcc_lo, s12, v53
	v_add_co_ci_u32_e64 v54, null, s13, v54, vcc_lo
	;; [unrolled: 2-line block ×3, first 2 shown]
	s_clause 0x1
	global_load_dwordx4 v[37:40], v[41:42], off offset:16
	global_load_dwordx4 v[41:44], v[41:42], off
	s_clause 0x3
	global_load_dwordx4 v[45:48], v[49:50], off
	global_load_dwordx4 v[49:52], v[49:50], off offset:16
	global_load_dwordx4 v[53:56], v[53:54], off
	global_load_dwordx4 v[57:60], v[57:58], off
	v_add_co_u32 v61, vcc_lo, v23, s0
	v_add_co_ci_u32_e64 v62, null, s1, v25, vcc_lo
	v_add_co_u32 v65, vcc_lo, v33, s0
	v_add_co_ci_u32_e64 v66, null, s1, v34, vcc_lo
	s_clause 0x1
	global_load_dwordx4 v[61:64], v[61:62], off offset:16
	global_load_dwordx4 v[65:68], v[65:66], off offset:16
	v_add_nc_u32_e32 v29, 2, v29
	s_add_u32 s0, s0, 32
	s_addc_u32 s1, s1, 0
	s_cmpk_eq_i32 s0, 0x80
	s_waitcnt vmcnt(5)
	v_fma_f64 v[18:19], v[45:46], v[41:42], v[18:19]
	v_fma_f64 v[20:21], v[47:48], v[41:42], v[20:21]
	s_waitcnt vmcnt(3)
	v_fma_f64 v[12:13], v[53:54], v[41:42], v[12:13]
	v_fma_f64 v[10:11], v[55:56], v[41:42], v[10:11]
	;; [unrolled: 3-line block ×3, first 2 shown]
	v_fma_f64 v[18:19], -v[47:48], v[43:44], v[18:19]
	v_fma_f64 v[20:21], v[45:46], v[43:44], v[20:21]
	v_fma_f64 v[12:13], -v[55:56], v[43:44], v[12:13]
	v_fma_f64 v[10:11], v[53:54], v[43:44], v[10:11]
	;; [unrolled: 2-line block ×3, first 2 shown]
	v_fma_f64 v[18:19], v[49:50], v[37:38], v[18:19]
	v_fma_f64 v[20:21], v[51:52], v[37:38], v[20:21]
	s_waitcnt vmcnt(0)
	v_fma_f64 v[12:13], v[65:66], v[37:38], v[12:13]
	v_fma_f64 v[10:11], v[67:68], v[37:38], v[10:11]
	;; [unrolled: 1-line block ×4, first 2 shown]
	v_fma_f64 v[18:19], -v[51:52], v[39:40], v[18:19]
	v_fma_f64 v[20:21], v[49:50], v[39:40], v[20:21]
	v_fma_f64 v[12:13], -v[67:68], v[39:40], v[12:13]
	v_fma_f64 v[10:11], v[65:66], v[39:40], v[10:11]
	v_fma_f64 v[14:15], -v[63:64], v[39:40], v[14:15]
	v_fma_f64 v[16:17], v[61:62], v[39:40], v[16:17]
	s_cbranch_scc0 .LBB143_16
; %bb.17:                               ;   in Loop: Header=BB143_15 Depth=1
	v_add_nc_u32_e32 v22, 16, v22
	v_add_nc_u32_e32 v26, 0x180, v26
	;; [unrolled: 1-line block ×4, first 2 shown]
	v_cmp_ge_i32_e32 vcc_lo, v22, v31
	s_or_b32 s6, vcc_lo, s6
	s_andn2_b32 exec_lo, exec_lo, s6
	s_cbranch_execnz .LBB143_15
; %bb.18:
	s_or_b32 exec_lo, exec_lo, s6
.LBB143_19:
	s_or_b32 exec_lo, exec_lo, s3
.LBB143_20:
	v_mbcnt_lo_u32_b32 v34, -1, 0
	v_xor_b32_e32 v22, 8, v34
	v_cmp_gt_i32_e32 vcc_lo, 32, v22
	v_cndmask_b32_e32 v22, v34, v22, vcc_lo
	v_lshlrev_b32_e32 v33, 2, v22
	ds_bpermute_b32 v22, v33, v12
	ds_bpermute_b32 v23, v33, v13
	;; [unrolled: 1-line block ×12, first 2 shown]
	s_waitcnt lgkmcnt(10)
	v_add_f64 v[12:13], v[12:13], v[22:23]
	v_xor_b32_e32 v22, 4, v34
	s_waitcnt lgkmcnt(8)
	v_add_f64 v[10:11], v[10:11], v[24:25]
	s_waitcnt lgkmcnt(6)
	v_add_f64 v[18:19], v[18:19], v[26:27]
	;; [unrolled: 2-line block ×3, first 2 shown]
	v_cmp_gt_i32_e32 vcc_lo, 32, v22
	s_waitcnt lgkmcnt(2)
	v_add_f64 v[14:15], v[14:15], v[30:31]
	s_waitcnt lgkmcnt(0)
	v_add_f64 v[16:17], v[16:17], v[32:33]
	v_cndmask_b32_e32 v22, v34, v22, vcc_lo
	v_lshlrev_b32_e32 v33, 2, v22
	ds_bpermute_b32 v22, v33, v12
	ds_bpermute_b32 v23, v33, v13
	;; [unrolled: 1-line block ×12, first 2 shown]
	s_waitcnt lgkmcnt(10)
	v_add_f64 v[12:13], v[12:13], v[22:23]
	s_waitcnt lgkmcnt(8)
	v_add_f64 v[22:23], v[10:11], v[24:25]
	v_xor_b32_e32 v10, 2, v34
	s_waitcnt lgkmcnt(6)
	v_add_f64 v[18:19], v[18:19], v[26:27]
	s_waitcnt lgkmcnt(4)
	v_add_f64 v[24:25], v[20:21], v[28:29]
	;; [unrolled: 2-line block ×3, first 2 shown]
	v_cmp_gt_i32_e32 vcc_lo, 32, v10
	s_waitcnt lgkmcnt(0)
	v_add_f64 v[16:17], v[16:17], v[32:33]
	v_cndmask_b32_e32 v10, v34, v10, vcc_lo
	v_lshlrev_b32_e32 v33, 2, v10
	ds_bpermute_b32 v10, v33, v12
	ds_bpermute_b32 v11, v33, v13
	;; [unrolled: 1-line block ×12, first 2 shown]
	s_waitcnt lgkmcnt(10)
	v_add_f64 v[10:11], v[12:13], v[10:11]
	s_waitcnt lgkmcnt(8)
	v_add_f64 v[20:21], v[22:23], v[20:21]
	v_xor_b32_e32 v22, 1, v34
	s_waitcnt lgkmcnt(6)
	v_add_f64 v[12:13], v[18:19], v[26:27]
	s_waitcnt lgkmcnt(4)
	v_add_f64 v[18:19], v[24:25], v[28:29]
	;; [unrolled: 2-line block ×3, first 2 shown]
	v_cmp_gt_i32_e32 vcc_lo, 32, v22
	s_waitcnt lgkmcnt(0)
	v_add_f64 v[16:17], v[16:17], v[32:33]
	v_cndmask_b32_e32 v22, v34, v22, vcc_lo
	v_cmp_eq_u32_e32 vcc_lo, 15, v0
	v_lshlrev_b32_e32 v25, 2, v22
	ds_bpermute_b32 v32, v25, v10
	ds_bpermute_b32 v33, v25, v11
	;; [unrolled: 1-line block ×12, first 2 shown]
	s_and_b32 exec_lo, exec_lo, vcc_lo
	s_cbranch_execz .LBB143_25
; %bb.21:
	v_cmp_eq_f64_e32 vcc_lo, 0, v[5:6]
	v_cmp_eq_f64_e64 s0, 0, v[7:8]
	s_waitcnt lgkmcnt(10)
	v_add_f64 v[10:11], v[10:11], v[32:33]
	s_waitcnt lgkmcnt(8)
	v_add_f64 v[20:21], v[20:21], v[30:31]
	;; [unrolled: 2-line block ×6, first 2 shown]
	s_load_dwordx2 s[2:3], s[4:5], 0x48
	s_and_b32 s0, vcc_lo, s0
	s_and_saveexec_b32 s1, s0
	s_xor_b32 s0, exec_lo, s1
	s_cbranch_execz .LBB143_23
; %bb.22:
	v_mul_f64 v[5:6], v[20:21], -v[3:4]
	v_mul_f64 v[7:8], v[1:2], v[20:21]
	v_mul_f64 v[20:21], v[18:19], -v[3:4]
	v_mul_f64 v[18:19], v[1:2], v[18:19]
	;; [unrolled: 2-line block ×3, first 2 shown]
	v_lshl_add_u32 v24, v9, 1, v9
	v_ashrrev_i32_e32 v25, 31, v24
	v_fma_f64 v[5:6], v[1:2], v[10:11], v[5:6]
	v_fma_f64 v[7:8], v[3:4], v[10:11], v[7:8]
	;; [unrolled: 1-line block ×6, first 2 shown]
	v_lshlrev_b64 v[13:14], 4, v[24:25]
                                        ; implicit-def: $vgpr20_vgpr21
                                        ; implicit-def: $vgpr18_vgpr19
                                        ; implicit-def: $vgpr16_vgpr17
	s_waitcnt lgkmcnt(0)
	v_add_co_u32 v13, vcc_lo, s2, v13
	v_add_co_ci_u32_e64 v14, null, s3, v14, vcc_lo
	global_store_dwordx4 v[13:14], v[5:8], off
	global_store_dwordx4 v[13:14], v[9:12], off offset:16
	global_store_dwordx4 v[13:14], v[0:3], off offset:32
                                        ; implicit-def: $vgpr9
                                        ; implicit-def: $vgpr10_vgpr11
                                        ; implicit-def: $vgpr12_vgpr13
                                        ; implicit-def: $vgpr14_vgpr15
                                        ; implicit-def: $vgpr7_vgpr8
                                        ; implicit-def: $vgpr3_vgpr4
.LBB143_23:
	s_andn2_saveexec_b32 s0, s0
	s_cbranch_execz .LBB143_25
; %bb.24:
	v_lshl_add_u32 v22, v9, 1, v9
	v_mul_f64 v[36:37], v[20:21], -v[3:4]
	v_mul_f64 v[20:21], v[1:2], v[20:21]
	v_mul_f64 v[38:39], v[18:19], -v[3:4]
	v_mul_f64 v[18:19], v[1:2], v[18:19]
	v_ashrrev_i32_e32 v23, 31, v22
	v_mul_f64 v[40:41], v[16:17], -v[3:4]
	v_mul_f64 v[16:17], v[1:2], v[16:17]
	v_lshlrev_b64 v[22:23], 4, v[22:23]
	s_waitcnt lgkmcnt(0)
	v_add_co_u32 v34, vcc_lo, s2, v22
	v_add_co_ci_u32_e64 v35, null, s3, v23, vcc_lo
	s_clause 0x2
	global_load_dwordx4 v[22:25], v[34:35], off
	global_load_dwordx4 v[26:29], v[34:35], off offset:16
	global_load_dwordx4 v[30:33], v[34:35], off offset:32
	v_fma_f64 v[36:37], v[1:2], v[10:11], v[36:37]
	v_fma_f64 v[9:10], v[3:4], v[10:11], v[20:21]
	;; [unrolled: 1-line block ×6, first 2 shown]
	s_waitcnt vmcnt(2)
	v_fma_f64 v[13:14], v[5:6], v[22:23], v[36:37]
	v_fma_f64 v[9:10], v[7:8], v[22:23], v[9:10]
	s_waitcnt vmcnt(1)
	v_fma_f64 v[15:16], v[5:6], v[26:27], v[20:21]
	v_fma_f64 v[11:12], v[7:8], v[26:27], v[11:12]
	;; [unrolled: 3-line block ×3, first 2 shown]
	v_fma_f64 v[0:1], -v[7:8], v[24:25], v[13:14]
	v_fma_f64 v[2:3], v[5:6], v[24:25], v[9:10]
	v_fma_f64 v[9:10], -v[7:8], v[28:29], v[15:16]
	v_fma_f64 v[11:12], v[5:6], v[28:29], v[11:12]
	;; [unrolled: 2-line block ×3, first 2 shown]
	global_store_dwordx4 v[34:35], v[0:3], off
	global_store_dwordx4 v[34:35], v[9:12], off offset:16
	global_store_dwordx4 v[34:35], v[13:16], off offset:32
.LBB143_25:
	s_endpgm
	.section	.rodata,"a",@progbits
	.p2align	6, 0x0
	.amdhsa_kernel _ZN9rocsparseL19gebsrmvn_3xn_kernelILj128ELj8ELj16E21rocsparse_complex_numIdEEEvi20rocsparse_direction_NS_24const_host_device_scalarIT2_EEPKiS8_PKS5_SA_S6_PS5_21rocsparse_index_base_b
		.amdhsa_group_segment_fixed_size 0
		.amdhsa_private_segment_fixed_size 0
		.amdhsa_kernarg_size 88
		.amdhsa_user_sgpr_count 6
		.amdhsa_user_sgpr_private_segment_buffer 1
		.amdhsa_user_sgpr_dispatch_ptr 0
		.amdhsa_user_sgpr_queue_ptr 0
		.amdhsa_user_sgpr_kernarg_segment_ptr 1
		.amdhsa_user_sgpr_dispatch_id 0
		.amdhsa_user_sgpr_flat_scratch_init 0
		.amdhsa_user_sgpr_private_segment_size 0
		.amdhsa_wavefront_size32 1
		.amdhsa_uses_dynamic_stack 0
		.amdhsa_system_sgpr_private_segment_wavefront_offset 0
		.amdhsa_system_sgpr_workgroup_id_x 1
		.amdhsa_system_sgpr_workgroup_id_y 0
		.amdhsa_system_sgpr_workgroup_id_z 0
		.amdhsa_system_sgpr_workgroup_info 0
		.amdhsa_system_vgpr_workitem_id 0
		.amdhsa_next_free_vgpr 69
		.amdhsa_next_free_sgpr 16
		.amdhsa_reserve_vcc 1
		.amdhsa_reserve_flat_scratch 0
		.amdhsa_float_round_mode_32 0
		.amdhsa_float_round_mode_16_64 0
		.amdhsa_float_denorm_mode_32 3
		.amdhsa_float_denorm_mode_16_64 3
		.amdhsa_dx10_clamp 1
		.amdhsa_ieee_mode 1
		.amdhsa_fp16_overflow 0
		.amdhsa_workgroup_processor_mode 1
		.amdhsa_memory_ordered 1
		.amdhsa_forward_progress 1
		.amdhsa_shared_vgpr_count 0
		.amdhsa_exception_fp_ieee_invalid_op 0
		.amdhsa_exception_fp_denorm_src 0
		.amdhsa_exception_fp_ieee_div_zero 0
		.amdhsa_exception_fp_ieee_overflow 0
		.amdhsa_exception_fp_ieee_underflow 0
		.amdhsa_exception_fp_ieee_inexact 0
		.amdhsa_exception_int_div_zero 0
	.end_amdhsa_kernel
	.section	.text._ZN9rocsparseL19gebsrmvn_3xn_kernelILj128ELj8ELj16E21rocsparse_complex_numIdEEEvi20rocsparse_direction_NS_24const_host_device_scalarIT2_EEPKiS8_PKS5_SA_S6_PS5_21rocsparse_index_base_b,"axG",@progbits,_ZN9rocsparseL19gebsrmvn_3xn_kernelILj128ELj8ELj16E21rocsparse_complex_numIdEEEvi20rocsparse_direction_NS_24const_host_device_scalarIT2_EEPKiS8_PKS5_SA_S6_PS5_21rocsparse_index_base_b,comdat
.Lfunc_end143:
	.size	_ZN9rocsparseL19gebsrmvn_3xn_kernelILj128ELj8ELj16E21rocsparse_complex_numIdEEEvi20rocsparse_direction_NS_24const_host_device_scalarIT2_EEPKiS8_PKS5_SA_S6_PS5_21rocsparse_index_base_b, .Lfunc_end143-_ZN9rocsparseL19gebsrmvn_3xn_kernelILj128ELj8ELj16E21rocsparse_complex_numIdEEEvi20rocsparse_direction_NS_24const_host_device_scalarIT2_EEPKiS8_PKS5_SA_S6_PS5_21rocsparse_index_base_b
                                        ; -- End function
	.set _ZN9rocsparseL19gebsrmvn_3xn_kernelILj128ELj8ELj16E21rocsparse_complex_numIdEEEvi20rocsparse_direction_NS_24const_host_device_scalarIT2_EEPKiS8_PKS5_SA_S6_PS5_21rocsparse_index_base_b.num_vgpr, 69
	.set _ZN9rocsparseL19gebsrmvn_3xn_kernelILj128ELj8ELj16E21rocsparse_complex_numIdEEEvi20rocsparse_direction_NS_24const_host_device_scalarIT2_EEPKiS8_PKS5_SA_S6_PS5_21rocsparse_index_base_b.num_agpr, 0
	.set _ZN9rocsparseL19gebsrmvn_3xn_kernelILj128ELj8ELj16E21rocsparse_complex_numIdEEEvi20rocsparse_direction_NS_24const_host_device_scalarIT2_EEPKiS8_PKS5_SA_S6_PS5_21rocsparse_index_base_b.numbered_sgpr, 16
	.set _ZN9rocsparseL19gebsrmvn_3xn_kernelILj128ELj8ELj16E21rocsparse_complex_numIdEEEvi20rocsparse_direction_NS_24const_host_device_scalarIT2_EEPKiS8_PKS5_SA_S6_PS5_21rocsparse_index_base_b.num_named_barrier, 0
	.set _ZN9rocsparseL19gebsrmvn_3xn_kernelILj128ELj8ELj16E21rocsparse_complex_numIdEEEvi20rocsparse_direction_NS_24const_host_device_scalarIT2_EEPKiS8_PKS5_SA_S6_PS5_21rocsparse_index_base_b.private_seg_size, 0
	.set _ZN9rocsparseL19gebsrmvn_3xn_kernelILj128ELj8ELj16E21rocsparse_complex_numIdEEEvi20rocsparse_direction_NS_24const_host_device_scalarIT2_EEPKiS8_PKS5_SA_S6_PS5_21rocsparse_index_base_b.uses_vcc, 1
	.set _ZN9rocsparseL19gebsrmvn_3xn_kernelILj128ELj8ELj16E21rocsparse_complex_numIdEEEvi20rocsparse_direction_NS_24const_host_device_scalarIT2_EEPKiS8_PKS5_SA_S6_PS5_21rocsparse_index_base_b.uses_flat_scratch, 0
	.set _ZN9rocsparseL19gebsrmvn_3xn_kernelILj128ELj8ELj16E21rocsparse_complex_numIdEEEvi20rocsparse_direction_NS_24const_host_device_scalarIT2_EEPKiS8_PKS5_SA_S6_PS5_21rocsparse_index_base_b.has_dyn_sized_stack, 0
	.set _ZN9rocsparseL19gebsrmvn_3xn_kernelILj128ELj8ELj16E21rocsparse_complex_numIdEEEvi20rocsparse_direction_NS_24const_host_device_scalarIT2_EEPKiS8_PKS5_SA_S6_PS5_21rocsparse_index_base_b.has_recursion, 0
	.set _ZN9rocsparseL19gebsrmvn_3xn_kernelILj128ELj8ELj16E21rocsparse_complex_numIdEEEvi20rocsparse_direction_NS_24const_host_device_scalarIT2_EEPKiS8_PKS5_SA_S6_PS5_21rocsparse_index_base_b.has_indirect_call, 0
	.section	.AMDGPU.csdata,"",@progbits
; Kernel info:
; codeLenInByte = 2992
; TotalNumSgprs: 18
; NumVgprs: 69
; ScratchSize: 0
; MemoryBound: 0
; FloatMode: 240
; IeeeMode: 1
; LDSByteSize: 0 bytes/workgroup (compile time only)
; SGPRBlocks: 0
; VGPRBlocks: 8
; NumSGPRsForWavesPerEU: 18
; NumVGPRsForWavesPerEU: 69
; Occupancy: 12
; WaveLimiterHint : 1
; COMPUTE_PGM_RSRC2:SCRATCH_EN: 0
; COMPUTE_PGM_RSRC2:USER_SGPR: 6
; COMPUTE_PGM_RSRC2:TRAP_HANDLER: 0
; COMPUTE_PGM_RSRC2:TGID_X_EN: 1
; COMPUTE_PGM_RSRC2:TGID_Y_EN: 0
; COMPUTE_PGM_RSRC2:TGID_Z_EN: 0
; COMPUTE_PGM_RSRC2:TIDIG_COMP_CNT: 0
	.section	.text._ZN9rocsparseL19gebsrmvn_3xn_kernelILj128ELj8ELj32E21rocsparse_complex_numIdEEEvi20rocsparse_direction_NS_24const_host_device_scalarIT2_EEPKiS8_PKS5_SA_S6_PS5_21rocsparse_index_base_b,"axG",@progbits,_ZN9rocsparseL19gebsrmvn_3xn_kernelILj128ELj8ELj32E21rocsparse_complex_numIdEEEvi20rocsparse_direction_NS_24const_host_device_scalarIT2_EEPKiS8_PKS5_SA_S6_PS5_21rocsparse_index_base_b,comdat
	.globl	_ZN9rocsparseL19gebsrmvn_3xn_kernelILj128ELj8ELj32E21rocsparse_complex_numIdEEEvi20rocsparse_direction_NS_24const_host_device_scalarIT2_EEPKiS8_PKS5_SA_S6_PS5_21rocsparse_index_base_b ; -- Begin function _ZN9rocsparseL19gebsrmvn_3xn_kernelILj128ELj8ELj32E21rocsparse_complex_numIdEEEvi20rocsparse_direction_NS_24const_host_device_scalarIT2_EEPKiS8_PKS5_SA_S6_PS5_21rocsparse_index_base_b
	.p2align	8
	.type	_ZN9rocsparseL19gebsrmvn_3xn_kernelILj128ELj8ELj32E21rocsparse_complex_numIdEEEvi20rocsparse_direction_NS_24const_host_device_scalarIT2_EEPKiS8_PKS5_SA_S6_PS5_21rocsparse_index_base_b,@function
_ZN9rocsparseL19gebsrmvn_3xn_kernelILj128ELj8ELj32E21rocsparse_complex_numIdEEEvi20rocsparse_direction_NS_24const_host_device_scalarIT2_EEPKiS8_PKS5_SA_S6_PS5_21rocsparse_index_base_b: ; @_ZN9rocsparseL19gebsrmvn_3xn_kernelILj128ELj8ELj32E21rocsparse_complex_numIdEEEvi20rocsparse_direction_NS_24const_host_device_scalarIT2_EEPKiS8_PKS5_SA_S6_PS5_21rocsparse_index_base_b
; %bb.0:
	s_clause 0x1
	s_load_dwordx2 s[2:3], s[4:5], 0x50
	s_load_dwordx2 s[0:1], s[4:5], 0x8
	s_add_u32 s7, s4, 8
	s_addc_u32 s10, s5, 0
	s_add_u32 s11, s4, 56
	s_addc_u32 s12, s5, 0
	s_load_dwordx2 s[8:9], s[4:5], 0x38
	s_waitcnt lgkmcnt(0)
	s_bitcmp1_b32 s3, 0
	s_cselect_b32 s0, s7, s0
	s_cselect_b32 s1, s10, s1
	v_mov_b32_e32 v1, s0
	v_mov_b32_e32 v2, s1
	s_cselect_b32 s0, s11, s8
	s_cselect_b32 s1, s12, s9
	v_mov_b32_e32 v5, s0
	v_mov_b32_e32 v6, s1
	flat_load_dwordx4 v[1:4], v[1:2]
	flat_load_dwordx4 v[5:8], v[5:6]
	s_waitcnt vmcnt(1) lgkmcnt(1)
	v_cmp_eq_f64_e32 vcc_lo, 0, v[1:2]
	v_cmp_eq_f64_e64 s0, 0, v[3:4]
	s_and_b32 s3, vcc_lo, s0
	s_mov_b32 s0, -1
	s_and_saveexec_b32 s1, s3
	s_cbranch_execz .LBB144_2
; %bb.1:
	s_waitcnt vmcnt(0) lgkmcnt(0)
	v_cmp_neq_f64_e32 vcc_lo, 1.0, v[5:6]
	v_cmp_neq_f64_e64 s0, 0, v[7:8]
	s_or_b32 s0, vcc_lo, s0
	s_orn2_b32 s0, s0, exec_lo
.LBB144_2:
	s_or_b32 exec_lo, exec_lo, s1
	s_and_saveexec_b32 s1, s0
	s_cbranch_execz .LBB144_25
; %bb.3:
	s_load_dwordx2 s[0:1], s[4:5], 0x0
	v_lshrrev_b32_e32 v9, 5, v0
	v_lshl_or_b32 v9, s6, 2, v9
	s_waitcnt lgkmcnt(0)
	v_cmp_gt_i32_e32 vcc_lo, s0, v9
	s_and_b32 exec_lo, exec_lo, vcc_lo
	s_cbranch_execz .LBB144_25
; %bb.4:
	s_load_dwordx8 s[8:15], s[4:5], 0x18
	v_ashrrev_i32_e32 v10, 31, v9
	v_and_b32_e32 v0, 31, v0
	s_cmp_lg_u32 s1, 0
	v_lshlrev_b64 v[10:11], 2, v[9:10]
	s_waitcnt lgkmcnt(0)
	v_add_co_u32 v10, vcc_lo, s8, v10
	v_add_co_ci_u32_e64 v11, null, s9, v11, vcc_lo
	global_load_dwordx2 v[23:24], v[10:11], off
	s_waitcnt vmcnt(0)
	v_subrev_nc_u32_e32 v10, s2, v23
	v_subrev_nc_u32_e32 v31, s2, v24
	v_add_nc_u32_e32 v22, v10, v0
	v_cmp_lt_i32_e64 s0, v22, v31
	s_cbranch_scc0 .LBB144_12
; %bb.5:
	v_mov_b32_e32 v10, 0
	v_mov_b32_e32 v12, 0
	;; [unrolled: 1-line block ×12, first 2 shown]
	s_and_saveexec_b32 s1, s0
	s_cbranch_execz .LBB144_11
; %bb.6:
	v_mul_lo_u32 v14, v23, 24
	s_mul_i32 s3, s2, 24
	v_mov_b32_e32 v10, 0
	v_mov_b32_e32 v12, 0
	;; [unrolled: 1-line block ×6, first 2 shown]
	v_mad_u32_u24 v23, v0, 24, v14
	v_mov_b32_e32 v14, 0
	v_mov_b32_e32 v24, 0
	;; [unrolled: 1-line block ×7, first 2 shown]
	v_subrev_nc_u32_e32 v28, s3, v23
	v_mov_b32_e32 v25, v22
	s_add_u32 s3, s14, 16
	s_addc_u32 s7, s15, 0
	s_mov_b32 s6, 0
.LBB144_7:                              ; =>This Loop Header: Depth=1
                                        ;     Child Loop BB144_8 Depth 2
	v_ashrrev_i32_e32 v26, 31, v25
	s_mov_b32 s8, 0
	v_lshlrev_b64 v[26:27], 2, v[25:26]
	v_add_co_u32 v26, vcc_lo, s10, v26
	v_add_co_ci_u32_e64 v27, null, s11, v27, vcc_lo
	global_load_dword v23, v[26:27], off
	s_waitcnt vmcnt(0)
	v_subrev_nc_u32_e32 v23, s2, v23
	v_lshlrev_b32_e32 v23, 3, v23
	v_lshlrev_b64 v[26:27], 4, v[23:24]
	v_add_co_u32 v26, vcc_lo, s3, v26
	v_add_co_ci_u32_e64 v27, null, s7, v27, vcc_lo
.LBB144_8:                              ;   Parent Loop BB144_7 Depth=1
                                        ; =>  This Inner Loop Header: Depth=2
	v_add_nc_u32_e32 v23, s8, v28
	v_mov_b32_e32 v30, v24
	s_clause 0x1
	global_load_dwordx4 v[32:35], v[26:27], off
	global_load_dwordx4 v[36:39], v[26:27], off offset:-16
	s_add_i32 s8, s8, 6
	s_cmp_eq_u32 s8, 24
	v_add_nc_u32_e32 v29, 2, v23
	v_lshlrev_b64 v[40:41], 4, v[23:24]
	v_add_nc_u32_e32 v23, 4, v23
	v_lshlrev_b64 v[29:30], 4, v[29:30]
	v_add_co_u32 v44, vcc_lo, s12, v40
	v_add_co_ci_u32_e64 v45, null, s13, v41, vcc_lo
	v_add_co_u32 v29, vcc_lo, s12, v29
	v_add_co_ci_u32_e64 v30, null, s13, v30, vcc_lo
	s_clause 0x3
	global_load_dwordx4 v[40:43], v[44:45], off
	global_load_dwordx4 v[44:47], v[44:45], off offset:16
	global_load_dwordx4 v[48:51], v[29:30], off
	global_load_dwordx4 v[52:55], v[29:30], off offset:16
	v_lshlrev_b64 v[29:30], 4, v[23:24]
	v_add_co_u32 v29, vcc_lo, s12, v29
	v_add_co_ci_u32_e64 v30, null, s13, v30, vcc_lo
	v_add_co_u32 v26, vcc_lo, v26, 32
	s_clause 0x1
	global_load_dwordx4 v[56:59], v[29:30], off
	global_load_dwordx4 v[60:63], v[29:30], off offset:16
	v_add_co_ci_u32_e64 v27, null, 0, v27, vcc_lo
	s_waitcnt vmcnt(5)
	v_fma_f64 v[12:13], v[40:41], v[36:37], v[12:13]
	v_fma_f64 v[10:11], v[42:43], v[36:37], v[10:11]
	s_waitcnt vmcnt(4)
	v_fma_f64 v[18:19], v[44:45], v[36:37], v[18:19]
	v_fma_f64 v[20:21], v[46:47], v[36:37], v[20:21]
	;; [unrolled: 3-line block ×3, first 2 shown]
	v_fma_f64 v[12:13], -v[42:43], v[38:39], v[12:13]
	v_fma_f64 v[10:11], v[40:41], v[38:39], v[10:11]
	v_fma_f64 v[18:19], -v[46:47], v[38:39], v[18:19]
	v_fma_f64 v[20:21], v[44:45], v[38:39], v[20:21]
	;; [unrolled: 2-line block ×3, first 2 shown]
	s_waitcnt vmcnt(2)
	v_fma_f64 v[12:13], v[52:53], v[32:33], v[12:13]
	v_fma_f64 v[10:11], v[54:55], v[32:33], v[10:11]
	s_waitcnt vmcnt(1)
	v_fma_f64 v[18:19], v[56:57], v[32:33], v[18:19]
	v_fma_f64 v[20:21], v[58:59], v[32:33], v[20:21]
	;; [unrolled: 3-line block ×3, first 2 shown]
	v_fma_f64 v[12:13], -v[54:55], v[34:35], v[12:13]
	v_fma_f64 v[10:11], v[52:53], v[34:35], v[10:11]
	v_fma_f64 v[18:19], -v[58:59], v[34:35], v[18:19]
	v_fma_f64 v[20:21], v[56:57], v[34:35], v[20:21]
	;; [unrolled: 2-line block ×3, first 2 shown]
	s_cbranch_scc0 .LBB144_8
; %bb.9:                                ;   in Loop: Header=BB144_7 Depth=1
	v_add_nc_u32_e32 v25, 32, v25
	v_add_nc_u32_e32 v28, 0x300, v28
	v_cmp_ge_i32_e32 vcc_lo, v25, v31
	s_or_b32 s6, vcc_lo, s6
	s_andn2_b32 exec_lo, exec_lo, s6
	s_cbranch_execnz .LBB144_7
; %bb.10:
	s_or_b32 exec_lo, exec_lo, s6
.LBB144_11:
	s_or_b32 exec_lo, exec_lo, s1
	s_cbranch_execz .LBB144_13
	s_branch .LBB144_20
.LBB144_12:
                                        ; implicit-def: $vgpr10_vgpr11
                                        ; implicit-def: $vgpr12_vgpr13
                                        ; implicit-def: $vgpr14_vgpr15
                                        ; implicit-def: $vgpr16_vgpr17
                                        ; implicit-def: $vgpr18_vgpr19
                                        ; implicit-def: $vgpr20_vgpr21
.LBB144_13:
	v_mov_b32_e32 v10, 0
	v_mov_b32_e32 v12, 0
	;; [unrolled: 1-line block ×12, first 2 shown]
	s_and_saveexec_b32 s3, s0
	s_cbranch_execz .LBB144_19
; %bb.14:
	v_mul_lo_u32 v24, v22, 24
	v_mov_b32_e32 v10, 0
	v_mov_b32_e32 v12, 0
	;; [unrolled: 1-line block ×12, first 2 shown]
	v_add_nc_u32_e32 v26, 16, v24
	v_add_nc_u32_e32 v28, 8, v24
	v_mov_b32_e32 v30, 0
	s_mov_b32 s6, 0
.LBB144_15:                             ; =>This Loop Header: Depth=1
                                        ;     Child Loop BB144_16 Depth 2
	v_ashrrev_i32_e32 v23, 31, v22
	v_mov_b32_e32 v27, v30
	v_mov_b32_e32 v29, v30
	;; [unrolled: 1-line block ×3, first 2 shown]
	s_mov_b64 s[0:1], 0
	v_lshlrev_b64 v[32:33], 2, v[22:23]
	v_lshlrev_b64 v[34:35], 4, v[28:29]
	;; [unrolled: 1-line block ×3, first 2 shown]
	v_add_co_u32 v32, vcc_lo, s10, v32
	v_add_co_ci_u32_e64 v33, null, s11, v33, vcc_lo
	global_load_dword v23, v[32:33], off
	v_lshlrev_b64 v[32:33], 4, v[26:27]
	s_waitcnt vmcnt(0)
	v_subrev_nc_u32_e32 v27, s2, v23
	v_add_co_u32 v23, vcc_lo, s12, v32
	v_add_co_ci_u32_e64 v25, null, s13, v33, vcc_lo
	v_lshlrev_b32_e32 v29, 3, v27
	v_add_co_u32 v27, vcc_lo, s12, v34
	v_add_co_ci_u32_e64 v32, null, s13, v35, vcc_lo
	v_lshlrev_b64 v[38:39], 4, v[29:30]
	v_add_co_u32 v33, vcc_lo, s12, v36
	v_add_co_ci_u32_e64 v34, null, s13, v37, vcc_lo
	v_mov_b32_e32 v29, v24
	v_add_co_u32 v35, vcc_lo, s14, v38
	v_add_co_ci_u32_e64 v36, null, s15, v39, vcc_lo
.LBB144_16:                             ;   Parent Loop BB144_15 Depth=1
                                        ; =>  This Inner Loop Header: Depth=2
	v_add_nc_u32_e32 v51, 16, v29
	v_mov_b32_e32 v52, v30
	v_lshlrev_b64 v[53:54], 4, v[29:30]
	v_add_co_u32 v41, vcc_lo, v35, s0
	v_add_co_ci_u32_e64 v42, null, s1, v36, vcc_lo
	v_lshlrev_b64 v[51:52], 4, v[51:52]
	v_add_co_u32 v49, vcc_lo, v27, s0
	v_add_co_ci_u32_e64 v50, null, s1, v32, vcc_lo
	v_add_co_u32 v53, vcc_lo, s12, v53
	v_add_co_ci_u32_e64 v54, null, s13, v54, vcc_lo
	;; [unrolled: 2-line block ×3, first 2 shown]
	s_clause 0x1
	global_load_dwordx4 v[37:40], v[41:42], off offset:16
	global_load_dwordx4 v[41:44], v[41:42], off
	s_clause 0x3
	global_load_dwordx4 v[45:48], v[49:50], off
	global_load_dwordx4 v[49:52], v[49:50], off offset:16
	global_load_dwordx4 v[53:56], v[53:54], off
	global_load_dwordx4 v[57:60], v[57:58], off
	v_add_co_u32 v61, vcc_lo, v23, s0
	v_add_co_ci_u32_e64 v62, null, s1, v25, vcc_lo
	v_add_co_u32 v65, vcc_lo, v33, s0
	v_add_co_ci_u32_e64 v66, null, s1, v34, vcc_lo
	s_clause 0x1
	global_load_dwordx4 v[61:64], v[61:62], off offset:16
	global_load_dwordx4 v[65:68], v[65:66], off offset:16
	v_add_nc_u32_e32 v29, 2, v29
	s_add_u32 s0, s0, 32
	s_addc_u32 s1, s1, 0
	s_cmpk_eq_i32 s0, 0x80
	s_waitcnt vmcnt(5)
	v_fma_f64 v[18:19], v[45:46], v[41:42], v[18:19]
	v_fma_f64 v[20:21], v[47:48], v[41:42], v[20:21]
	s_waitcnt vmcnt(3)
	v_fma_f64 v[12:13], v[53:54], v[41:42], v[12:13]
	v_fma_f64 v[10:11], v[55:56], v[41:42], v[10:11]
	;; [unrolled: 3-line block ×3, first 2 shown]
	v_fma_f64 v[18:19], -v[47:48], v[43:44], v[18:19]
	v_fma_f64 v[20:21], v[45:46], v[43:44], v[20:21]
	v_fma_f64 v[12:13], -v[55:56], v[43:44], v[12:13]
	v_fma_f64 v[10:11], v[53:54], v[43:44], v[10:11]
	;; [unrolled: 2-line block ×3, first 2 shown]
	v_fma_f64 v[18:19], v[49:50], v[37:38], v[18:19]
	v_fma_f64 v[20:21], v[51:52], v[37:38], v[20:21]
	s_waitcnt vmcnt(0)
	v_fma_f64 v[12:13], v[65:66], v[37:38], v[12:13]
	v_fma_f64 v[10:11], v[67:68], v[37:38], v[10:11]
	;; [unrolled: 1-line block ×4, first 2 shown]
	v_fma_f64 v[18:19], -v[51:52], v[39:40], v[18:19]
	v_fma_f64 v[20:21], v[49:50], v[39:40], v[20:21]
	v_fma_f64 v[12:13], -v[67:68], v[39:40], v[12:13]
	v_fma_f64 v[10:11], v[65:66], v[39:40], v[10:11]
	;; [unrolled: 2-line block ×3, first 2 shown]
	s_cbranch_scc0 .LBB144_16
; %bb.17:                               ;   in Loop: Header=BB144_15 Depth=1
	v_add_nc_u32_e32 v22, 32, v22
	v_add_nc_u32_e32 v26, 0x300, v26
	;; [unrolled: 1-line block ×4, first 2 shown]
	v_cmp_ge_i32_e32 vcc_lo, v22, v31
	s_or_b32 s6, vcc_lo, s6
	s_andn2_b32 exec_lo, exec_lo, s6
	s_cbranch_execnz .LBB144_15
; %bb.18:
	s_or_b32 exec_lo, exec_lo, s6
.LBB144_19:
	s_or_b32 exec_lo, exec_lo, s3
.LBB144_20:
	v_mbcnt_lo_u32_b32 v34, -1, 0
	v_xor_b32_e32 v22, 16, v34
	v_cmp_gt_i32_e32 vcc_lo, 32, v22
	v_cndmask_b32_e32 v22, v34, v22, vcc_lo
	v_lshlrev_b32_e32 v33, 2, v22
	ds_bpermute_b32 v22, v33, v12
	ds_bpermute_b32 v23, v33, v13
	ds_bpermute_b32 v24, v33, v10
	ds_bpermute_b32 v25, v33, v11
	ds_bpermute_b32 v26, v33, v18
	ds_bpermute_b32 v27, v33, v19
	ds_bpermute_b32 v28, v33, v20
	ds_bpermute_b32 v29, v33, v21
	ds_bpermute_b32 v30, v33, v14
	ds_bpermute_b32 v31, v33, v15
	ds_bpermute_b32 v32, v33, v16
	ds_bpermute_b32 v33, v33, v17
	s_waitcnt lgkmcnt(10)
	v_add_f64 v[12:13], v[12:13], v[22:23]
	v_xor_b32_e32 v22, 8, v34
	s_waitcnt lgkmcnt(8)
	v_add_f64 v[10:11], v[10:11], v[24:25]
	s_waitcnt lgkmcnt(6)
	v_add_f64 v[18:19], v[18:19], v[26:27]
	;; [unrolled: 2-line block ×3, first 2 shown]
	v_cmp_gt_i32_e32 vcc_lo, 32, v22
	s_waitcnt lgkmcnt(2)
	v_add_f64 v[14:15], v[14:15], v[30:31]
	s_waitcnt lgkmcnt(0)
	v_add_f64 v[16:17], v[16:17], v[32:33]
	v_cndmask_b32_e32 v22, v34, v22, vcc_lo
	v_lshlrev_b32_e32 v33, 2, v22
	ds_bpermute_b32 v22, v33, v12
	ds_bpermute_b32 v23, v33, v13
	;; [unrolled: 1-line block ×12, first 2 shown]
	s_waitcnt lgkmcnt(10)
	v_add_f64 v[12:13], v[12:13], v[22:23]
	v_xor_b32_e32 v22, 4, v34
	s_waitcnt lgkmcnt(8)
	v_add_f64 v[10:11], v[10:11], v[24:25]
	s_waitcnt lgkmcnt(6)
	v_add_f64 v[18:19], v[18:19], v[26:27]
	;; [unrolled: 2-line block ×3, first 2 shown]
	v_cmp_gt_i32_e32 vcc_lo, 32, v22
	s_waitcnt lgkmcnt(2)
	v_add_f64 v[14:15], v[14:15], v[30:31]
	s_waitcnt lgkmcnt(0)
	v_add_f64 v[16:17], v[16:17], v[32:33]
	v_cndmask_b32_e32 v22, v34, v22, vcc_lo
	v_lshlrev_b32_e32 v33, 2, v22
	ds_bpermute_b32 v22, v33, v12
	ds_bpermute_b32 v23, v33, v13
	;; [unrolled: 1-line block ×12, first 2 shown]
	s_waitcnt lgkmcnt(10)
	v_add_f64 v[12:13], v[12:13], v[22:23]
	s_waitcnt lgkmcnt(8)
	v_add_f64 v[22:23], v[10:11], v[24:25]
	v_xor_b32_e32 v10, 2, v34
	s_waitcnt lgkmcnt(6)
	v_add_f64 v[18:19], v[18:19], v[26:27]
	s_waitcnt lgkmcnt(4)
	v_add_f64 v[24:25], v[20:21], v[28:29]
	;; [unrolled: 2-line block ×3, first 2 shown]
	v_cmp_gt_i32_e32 vcc_lo, 32, v10
	s_waitcnt lgkmcnt(0)
	v_add_f64 v[16:17], v[16:17], v[32:33]
	v_cndmask_b32_e32 v10, v34, v10, vcc_lo
	v_lshlrev_b32_e32 v33, 2, v10
	ds_bpermute_b32 v10, v33, v12
	ds_bpermute_b32 v11, v33, v13
	;; [unrolled: 1-line block ×12, first 2 shown]
	s_waitcnt lgkmcnt(10)
	v_add_f64 v[10:11], v[12:13], v[10:11]
	s_waitcnt lgkmcnt(8)
	v_add_f64 v[20:21], v[22:23], v[20:21]
	v_xor_b32_e32 v22, 1, v34
	s_waitcnt lgkmcnt(6)
	v_add_f64 v[12:13], v[18:19], v[26:27]
	s_waitcnt lgkmcnt(4)
	v_add_f64 v[18:19], v[24:25], v[28:29]
	;; [unrolled: 2-line block ×3, first 2 shown]
	v_cmp_gt_i32_e32 vcc_lo, 32, v22
	s_waitcnt lgkmcnt(0)
	v_add_f64 v[16:17], v[16:17], v[32:33]
	v_cndmask_b32_e32 v22, v34, v22, vcc_lo
	v_cmp_eq_u32_e32 vcc_lo, 31, v0
	v_lshlrev_b32_e32 v25, 2, v22
	ds_bpermute_b32 v32, v25, v10
	ds_bpermute_b32 v33, v25, v11
	;; [unrolled: 1-line block ×12, first 2 shown]
	s_and_b32 exec_lo, exec_lo, vcc_lo
	s_cbranch_execz .LBB144_25
; %bb.21:
	v_cmp_eq_f64_e32 vcc_lo, 0, v[5:6]
	v_cmp_eq_f64_e64 s0, 0, v[7:8]
	s_waitcnt lgkmcnt(10)
	v_add_f64 v[10:11], v[10:11], v[32:33]
	s_waitcnt lgkmcnt(8)
	v_add_f64 v[20:21], v[20:21], v[30:31]
	;; [unrolled: 2-line block ×6, first 2 shown]
	s_load_dwordx2 s[2:3], s[4:5], 0x48
	s_and_b32 s0, vcc_lo, s0
	s_and_saveexec_b32 s1, s0
	s_xor_b32 s0, exec_lo, s1
	s_cbranch_execz .LBB144_23
; %bb.22:
	v_mul_f64 v[5:6], v[20:21], -v[3:4]
	v_mul_f64 v[7:8], v[1:2], v[20:21]
	v_mul_f64 v[20:21], v[18:19], -v[3:4]
	v_mul_f64 v[18:19], v[1:2], v[18:19]
	;; [unrolled: 2-line block ×3, first 2 shown]
	v_lshl_add_u32 v24, v9, 1, v9
	v_ashrrev_i32_e32 v25, 31, v24
	v_fma_f64 v[5:6], v[1:2], v[10:11], v[5:6]
	v_fma_f64 v[7:8], v[3:4], v[10:11], v[7:8]
	;; [unrolled: 1-line block ×6, first 2 shown]
	v_lshlrev_b64 v[13:14], 4, v[24:25]
                                        ; implicit-def: $vgpr20_vgpr21
                                        ; implicit-def: $vgpr18_vgpr19
                                        ; implicit-def: $vgpr16_vgpr17
	s_waitcnt lgkmcnt(0)
	v_add_co_u32 v13, vcc_lo, s2, v13
	v_add_co_ci_u32_e64 v14, null, s3, v14, vcc_lo
	global_store_dwordx4 v[13:14], v[5:8], off
	global_store_dwordx4 v[13:14], v[9:12], off offset:16
	global_store_dwordx4 v[13:14], v[0:3], off offset:32
                                        ; implicit-def: $vgpr9
                                        ; implicit-def: $vgpr10_vgpr11
                                        ; implicit-def: $vgpr12_vgpr13
                                        ; implicit-def: $vgpr14_vgpr15
                                        ; implicit-def: $vgpr7_vgpr8
                                        ; implicit-def: $vgpr3_vgpr4
.LBB144_23:
	s_andn2_saveexec_b32 s0, s0
	s_cbranch_execz .LBB144_25
; %bb.24:
	v_lshl_add_u32 v22, v9, 1, v9
	v_mul_f64 v[36:37], v[20:21], -v[3:4]
	v_mul_f64 v[20:21], v[1:2], v[20:21]
	v_mul_f64 v[38:39], v[18:19], -v[3:4]
	v_mul_f64 v[18:19], v[1:2], v[18:19]
	v_ashrrev_i32_e32 v23, 31, v22
	v_mul_f64 v[40:41], v[16:17], -v[3:4]
	v_mul_f64 v[16:17], v[1:2], v[16:17]
	v_lshlrev_b64 v[22:23], 4, v[22:23]
	s_waitcnt lgkmcnt(0)
	v_add_co_u32 v34, vcc_lo, s2, v22
	v_add_co_ci_u32_e64 v35, null, s3, v23, vcc_lo
	s_clause 0x2
	global_load_dwordx4 v[22:25], v[34:35], off
	global_load_dwordx4 v[26:29], v[34:35], off offset:16
	global_load_dwordx4 v[30:33], v[34:35], off offset:32
	v_fma_f64 v[36:37], v[1:2], v[10:11], v[36:37]
	v_fma_f64 v[9:10], v[3:4], v[10:11], v[20:21]
	;; [unrolled: 1-line block ×6, first 2 shown]
	s_waitcnt vmcnt(2)
	v_fma_f64 v[13:14], v[5:6], v[22:23], v[36:37]
	v_fma_f64 v[9:10], v[7:8], v[22:23], v[9:10]
	s_waitcnt vmcnt(1)
	v_fma_f64 v[15:16], v[5:6], v[26:27], v[20:21]
	v_fma_f64 v[11:12], v[7:8], v[26:27], v[11:12]
	;; [unrolled: 3-line block ×3, first 2 shown]
	v_fma_f64 v[0:1], -v[7:8], v[24:25], v[13:14]
	v_fma_f64 v[2:3], v[5:6], v[24:25], v[9:10]
	v_fma_f64 v[9:10], -v[7:8], v[28:29], v[15:16]
	v_fma_f64 v[11:12], v[5:6], v[28:29], v[11:12]
	;; [unrolled: 2-line block ×3, first 2 shown]
	global_store_dwordx4 v[34:35], v[0:3], off
	global_store_dwordx4 v[34:35], v[9:12], off offset:16
	global_store_dwordx4 v[34:35], v[13:16], off offset:32
.LBB144_25:
	s_endpgm
	.section	.rodata,"a",@progbits
	.p2align	6, 0x0
	.amdhsa_kernel _ZN9rocsparseL19gebsrmvn_3xn_kernelILj128ELj8ELj32E21rocsparse_complex_numIdEEEvi20rocsparse_direction_NS_24const_host_device_scalarIT2_EEPKiS8_PKS5_SA_S6_PS5_21rocsparse_index_base_b
		.amdhsa_group_segment_fixed_size 0
		.amdhsa_private_segment_fixed_size 0
		.amdhsa_kernarg_size 88
		.amdhsa_user_sgpr_count 6
		.amdhsa_user_sgpr_private_segment_buffer 1
		.amdhsa_user_sgpr_dispatch_ptr 0
		.amdhsa_user_sgpr_queue_ptr 0
		.amdhsa_user_sgpr_kernarg_segment_ptr 1
		.amdhsa_user_sgpr_dispatch_id 0
		.amdhsa_user_sgpr_flat_scratch_init 0
		.amdhsa_user_sgpr_private_segment_size 0
		.amdhsa_wavefront_size32 1
		.amdhsa_uses_dynamic_stack 0
		.amdhsa_system_sgpr_private_segment_wavefront_offset 0
		.amdhsa_system_sgpr_workgroup_id_x 1
		.amdhsa_system_sgpr_workgroup_id_y 0
		.amdhsa_system_sgpr_workgroup_id_z 0
		.amdhsa_system_sgpr_workgroup_info 0
		.amdhsa_system_vgpr_workitem_id 0
		.amdhsa_next_free_vgpr 69
		.amdhsa_next_free_sgpr 16
		.amdhsa_reserve_vcc 1
		.amdhsa_reserve_flat_scratch 0
		.amdhsa_float_round_mode_32 0
		.amdhsa_float_round_mode_16_64 0
		.amdhsa_float_denorm_mode_32 3
		.amdhsa_float_denorm_mode_16_64 3
		.amdhsa_dx10_clamp 1
		.amdhsa_ieee_mode 1
		.amdhsa_fp16_overflow 0
		.amdhsa_workgroup_processor_mode 1
		.amdhsa_memory_ordered 1
		.amdhsa_forward_progress 1
		.amdhsa_shared_vgpr_count 0
		.amdhsa_exception_fp_ieee_invalid_op 0
		.amdhsa_exception_fp_denorm_src 0
		.amdhsa_exception_fp_ieee_div_zero 0
		.amdhsa_exception_fp_ieee_overflow 0
		.amdhsa_exception_fp_ieee_underflow 0
		.amdhsa_exception_fp_ieee_inexact 0
		.amdhsa_exception_int_div_zero 0
	.end_amdhsa_kernel
	.section	.text._ZN9rocsparseL19gebsrmvn_3xn_kernelILj128ELj8ELj32E21rocsparse_complex_numIdEEEvi20rocsparse_direction_NS_24const_host_device_scalarIT2_EEPKiS8_PKS5_SA_S6_PS5_21rocsparse_index_base_b,"axG",@progbits,_ZN9rocsparseL19gebsrmvn_3xn_kernelILj128ELj8ELj32E21rocsparse_complex_numIdEEEvi20rocsparse_direction_NS_24const_host_device_scalarIT2_EEPKiS8_PKS5_SA_S6_PS5_21rocsparse_index_base_b,comdat
.Lfunc_end144:
	.size	_ZN9rocsparseL19gebsrmvn_3xn_kernelILj128ELj8ELj32E21rocsparse_complex_numIdEEEvi20rocsparse_direction_NS_24const_host_device_scalarIT2_EEPKiS8_PKS5_SA_S6_PS5_21rocsparse_index_base_b, .Lfunc_end144-_ZN9rocsparseL19gebsrmvn_3xn_kernelILj128ELj8ELj32E21rocsparse_complex_numIdEEEvi20rocsparse_direction_NS_24const_host_device_scalarIT2_EEPKiS8_PKS5_SA_S6_PS5_21rocsparse_index_base_b
                                        ; -- End function
	.set _ZN9rocsparseL19gebsrmvn_3xn_kernelILj128ELj8ELj32E21rocsparse_complex_numIdEEEvi20rocsparse_direction_NS_24const_host_device_scalarIT2_EEPKiS8_PKS5_SA_S6_PS5_21rocsparse_index_base_b.num_vgpr, 69
	.set _ZN9rocsparseL19gebsrmvn_3xn_kernelILj128ELj8ELj32E21rocsparse_complex_numIdEEEvi20rocsparse_direction_NS_24const_host_device_scalarIT2_EEPKiS8_PKS5_SA_S6_PS5_21rocsparse_index_base_b.num_agpr, 0
	.set _ZN9rocsparseL19gebsrmvn_3xn_kernelILj128ELj8ELj32E21rocsparse_complex_numIdEEEvi20rocsparse_direction_NS_24const_host_device_scalarIT2_EEPKiS8_PKS5_SA_S6_PS5_21rocsparse_index_base_b.numbered_sgpr, 16
	.set _ZN9rocsparseL19gebsrmvn_3xn_kernelILj128ELj8ELj32E21rocsparse_complex_numIdEEEvi20rocsparse_direction_NS_24const_host_device_scalarIT2_EEPKiS8_PKS5_SA_S6_PS5_21rocsparse_index_base_b.num_named_barrier, 0
	.set _ZN9rocsparseL19gebsrmvn_3xn_kernelILj128ELj8ELj32E21rocsparse_complex_numIdEEEvi20rocsparse_direction_NS_24const_host_device_scalarIT2_EEPKiS8_PKS5_SA_S6_PS5_21rocsparse_index_base_b.private_seg_size, 0
	.set _ZN9rocsparseL19gebsrmvn_3xn_kernelILj128ELj8ELj32E21rocsparse_complex_numIdEEEvi20rocsparse_direction_NS_24const_host_device_scalarIT2_EEPKiS8_PKS5_SA_S6_PS5_21rocsparse_index_base_b.uses_vcc, 1
	.set _ZN9rocsparseL19gebsrmvn_3xn_kernelILj128ELj8ELj32E21rocsparse_complex_numIdEEEvi20rocsparse_direction_NS_24const_host_device_scalarIT2_EEPKiS8_PKS5_SA_S6_PS5_21rocsparse_index_base_b.uses_flat_scratch, 0
	.set _ZN9rocsparseL19gebsrmvn_3xn_kernelILj128ELj8ELj32E21rocsparse_complex_numIdEEEvi20rocsparse_direction_NS_24const_host_device_scalarIT2_EEPKiS8_PKS5_SA_S6_PS5_21rocsparse_index_base_b.has_dyn_sized_stack, 0
	.set _ZN9rocsparseL19gebsrmvn_3xn_kernelILj128ELj8ELj32E21rocsparse_complex_numIdEEEvi20rocsparse_direction_NS_24const_host_device_scalarIT2_EEPKiS8_PKS5_SA_S6_PS5_21rocsparse_index_base_b.has_recursion, 0
	.set _ZN9rocsparseL19gebsrmvn_3xn_kernelILj128ELj8ELj32E21rocsparse_complex_numIdEEEvi20rocsparse_direction_NS_24const_host_device_scalarIT2_EEPKiS8_PKS5_SA_S6_PS5_21rocsparse_index_base_b.has_indirect_call, 0
	.section	.AMDGPU.csdata,"",@progbits
; Kernel info:
; codeLenInByte = 3176
; TotalNumSgprs: 18
; NumVgprs: 69
; ScratchSize: 0
; MemoryBound: 0
; FloatMode: 240
; IeeeMode: 1
; LDSByteSize: 0 bytes/workgroup (compile time only)
; SGPRBlocks: 0
; VGPRBlocks: 8
; NumSGPRsForWavesPerEU: 18
; NumVGPRsForWavesPerEU: 69
; Occupancy: 12
; WaveLimiterHint : 1
; COMPUTE_PGM_RSRC2:SCRATCH_EN: 0
; COMPUTE_PGM_RSRC2:USER_SGPR: 6
; COMPUTE_PGM_RSRC2:TRAP_HANDLER: 0
; COMPUTE_PGM_RSRC2:TGID_X_EN: 1
; COMPUTE_PGM_RSRC2:TGID_Y_EN: 0
; COMPUTE_PGM_RSRC2:TGID_Z_EN: 0
; COMPUTE_PGM_RSRC2:TIDIG_COMP_CNT: 0
	.section	.text._ZN9rocsparseL19gebsrmvn_3xn_kernelILj128ELj8ELj64E21rocsparse_complex_numIdEEEvi20rocsparse_direction_NS_24const_host_device_scalarIT2_EEPKiS8_PKS5_SA_S6_PS5_21rocsparse_index_base_b,"axG",@progbits,_ZN9rocsparseL19gebsrmvn_3xn_kernelILj128ELj8ELj64E21rocsparse_complex_numIdEEEvi20rocsparse_direction_NS_24const_host_device_scalarIT2_EEPKiS8_PKS5_SA_S6_PS5_21rocsparse_index_base_b,comdat
	.globl	_ZN9rocsparseL19gebsrmvn_3xn_kernelILj128ELj8ELj64E21rocsparse_complex_numIdEEEvi20rocsparse_direction_NS_24const_host_device_scalarIT2_EEPKiS8_PKS5_SA_S6_PS5_21rocsparse_index_base_b ; -- Begin function _ZN9rocsparseL19gebsrmvn_3xn_kernelILj128ELj8ELj64E21rocsparse_complex_numIdEEEvi20rocsparse_direction_NS_24const_host_device_scalarIT2_EEPKiS8_PKS5_SA_S6_PS5_21rocsparse_index_base_b
	.p2align	8
	.type	_ZN9rocsparseL19gebsrmvn_3xn_kernelILj128ELj8ELj64E21rocsparse_complex_numIdEEEvi20rocsparse_direction_NS_24const_host_device_scalarIT2_EEPKiS8_PKS5_SA_S6_PS5_21rocsparse_index_base_b,@function
_ZN9rocsparseL19gebsrmvn_3xn_kernelILj128ELj8ELj64E21rocsparse_complex_numIdEEEvi20rocsparse_direction_NS_24const_host_device_scalarIT2_EEPKiS8_PKS5_SA_S6_PS5_21rocsparse_index_base_b: ; @_ZN9rocsparseL19gebsrmvn_3xn_kernelILj128ELj8ELj64E21rocsparse_complex_numIdEEEvi20rocsparse_direction_NS_24const_host_device_scalarIT2_EEPKiS8_PKS5_SA_S6_PS5_21rocsparse_index_base_b
; %bb.0:
	s_clause 0x1
	s_load_dwordx2 s[2:3], s[4:5], 0x50
	s_load_dwordx2 s[0:1], s[4:5], 0x8
	s_add_u32 s7, s4, 8
	s_addc_u32 s10, s5, 0
	s_add_u32 s11, s4, 56
	s_addc_u32 s12, s5, 0
	s_load_dwordx2 s[8:9], s[4:5], 0x38
	s_waitcnt lgkmcnt(0)
	s_bitcmp1_b32 s3, 0
	s_cselect_b32 s0, s7, s0
	s_cselect_b32 s1, s10, s1
	v_mov_b32_e32 v1, s0
	v_mov_b32_e32 v2, s1
	s_cselect_b32 s0, s11, s8
	s_cselect_b32 s1, s12, s9
	v_mov_b32_e32 v5, s0
	v_mov_b32_e32 v6, s1
	flat_load_dwordx4 v[1:4], v[1:2]
	flat_load_dwordx4 v[5:8], v[5:6]
	s_waitcnt vmcnt(1) lgkmcnt(1)
	v_cmp_eq_f64_e32 vcc_lo, 0, v[1:2]
	v_cmp_eq_f64_e64 s0, 0, v[3:4]
	s_and_b32 s3, vcc_lo, s0
	s_mov_b32 s0, -1
	s_and_saveexec_b32 s1, s3
	s_cbranch_execz .LBB145_2
; %bb.1:
	s_waitcnt vmcnt(0) lgkmcnt(0)
	v_cmp_neq_f64_e32 vcc_lo, 1.0, v[5:6]
	v_cmp_neq_f64_e64 s0, 0, v[7:8]
	s_or_b32 s0, vcc_lo, s0
	s_orn2_b32 s0, s0, exec_lo
.LBB145_2:
	s_or_b32 exec_lo, exec_lo, s1
	s_and_saveexec_b32 s1, s0
	s_cbranch_execz .LBB145_25
; %bb.3:
	s_load_dwordx2 s[0:1], s[4:5], 0x0
	v_lshrrev_b32_e32 v9, 6, v0
	v_lshl_or_b32 v9, s6, 1, v9
	s_waitcnt lgkmcnt(0)
	v_cmp_gt_i32_e32 vcc_lo, s0, v9
	s_and_b32 exec_lo, exec_lo, vcc_lo
	s_cbranch_execz .LBB145_25
; %bb.4:
	s_load_dwordx8 s[8:15], s[4:5], 0x18
	v_ashrrev_i32_e32 v10, 31, v9
	v_and_b32_e32 v0, 63, v0
	s_cmp_lg_u32 s1, 0
	v_lshlrev_b64 v[10:11], 2, v[9:10]
	s_waitcnt lgkmcnt(0)
	v_add_co_u32 v10, vcc_lo, s8, v10
	v_add_co_ci_u32_e64 v11, null, s9, v11, vcc_lo
	global_load_dwordx2 v[23:24], v[10:11], off
	s_waitcnt vmcnt(0)
	v_subrev_nc_u32_e32 v10, s2, v23
	v_subrev_nc_u32_e32 v31, s2, v24
	v_add_nc_u32_e32 v22, v10, v0
	v_cmp_lt_i32_e64 s0, v22, v31
	s_cbranch_scc0 .LBB145_12
; %bb.5:
	v_mov_b32_e32 v10, 0
	v_mov_b32_e32 v12, 0
	v_mov_b32_e32 v14, 0
	v_mov_b32_e32 v16, 0
	v_mov_b32_e32 v18, 0
	v_mov_b32_e32 v20, 0
	v_mov_b32_e32 v11, 0
	v_mov_b32_e32 v13, 0
	v_mov_b32_e32 v15, 0
	v_mov_b32_e32 v17, 0
	v_mov_b32_e32 v19, 0
	v_mov_b32_e32 v21, 0
	s_and_saveexec_b32 s1, s0
	s_cbranch_execz .LBB145_11
; %bb.6:
	v_mul_lo_u32 v14, v23, 24
	s_mul_i32 s3, s2, 24
	v_mov_b32_e32 v10, 0
	v_mov_b32_e32 v12, 0
	;; [unrolled: 1-line block ×6, first 2 shown]
	v_mad_u32_u24 v23, v0, 24, v14
	v_mov_b32_e32 v14, 0
	v_mov_b32_e32 v24, 0
	;; [unrolled: 1-line block ×7, first 2 shown]
	v_subrev_nc_u32_e32 v28, s3, v23
	v_mov_b32_e32 v25, v22
	s_add_u32 s3, s14, 16
	s_addc_u32 s7, s15, 0
	s_mov_b32 s6, 0
.LBB145_7:                              ; =>This Loop Header: Depth=1
                                        ;     Child Loop BB145_8 Depth 2
	v_ashrrev_i32_e32 v26, 31, v25
	s_mov_b32 s8, 0
	v_lshlrev_b64 v[26:27], 2, v[25:26]
	v_add_co_u32 v26, vcc_lo, s10, v26
	v_add_co_ci_u32_e64 v27, null, s11, v27, vcc_lo
	global_load_dword v23, v[26:27], off
	s_waitcnt vmcnt(0)
	v_subrev_nc_u32_e32 v23, s2, v23
	v_lshlrev_b32_e32 v23, 3, v23
	v_lshlrev_b64 v[26:27], 4, v[23:24]
	v_add_co_u32 v26, vcc_lo, s3, v26
	v_add_co_ci_u32_e64 v27, null, s7, v27, vcc_lo
.LBB145_8:                              ;   Parent Loop BB145_7 Depth=1
                                        ; =>  This Inner Loop Header: Depth=2
	v_add_nc_u32_e32 v23, s8, v28
	v_mov_b32_e32 v30, v24
	s_clause 0x1
	global_load_dwordx4 v[32:35], v[26:27], off
	global_load_dwordx4 v[36:39], v[26:27], off offset:-16
	s_add_i32 s8, s8, 6
	s_cmp_eq_u32 s8, 24
	v_add_nc_u32_e32 v29, 2, v23
	v_lshlrev_b64 v[40:41], 4, v[23:24]
	v_add_nc_u32_e32 v23, 4, v23
	v_lshlrev_b64 v[29:30], 4, v[29:30]
	v_add_co_u32 v44, vcc_lo, s12, v40
	v_add_co_ci_u32_e64 v45, null, s13, v41, vcc_lo
	v_add_co_u32 v29, vcc_lo, s12, v29
	v_add_co_ci_u32_e64 v30, null, s13, v30, vcc_lo
	s_clause 0x3
	global_load_dwordx4 v[40:43], v[44:45], off
	global_load_dwordx4 v[44:47], v[44:45], off offset:16
	global_load_dwordx4 v[48:51], v[29:30], off
	global_load_dwordx4 v[52:55], v[29:30], off offset:16
	v_lshlrev_b64 v[29:30], 4, v[23:24]
	v_add_co_u32 v29, vcc_lo, s12, v29
	v_add_co_ci_u32_e64 v30, null, s13, v30, vcc_lo
	v_add_co_u32 v26, vcc_lo, v26, 32
	s_clause 0x1
	global_load_dwordx4 v[56:59], v[29:30], off
	global_load_dwordx4 v[60:63], v[29:30], off offset:16
	v_add_co_ci_u32_e64 v27, null, 0, v27, vcc_lo
	s_waitcnt vmcnt(5)
	v_fma_f64 v[12:13], v[40:41], v[36:37], v[12:13]
	v_fma_f64 v[10:11], v[42:43], v[36:37], v[10:11]
	s_waitcnt vmcnt(4)
	v_fma_f64 v[18:19], v[44:45], v[36:37], v[18:19]
	v_fma_f64 v[20:21], v[46:47], v[36:37], v[20:21]
	;; [unrolled: 3-line block ×3, first 2 shown]
	v_fma_f64 v[12:13], -v[42:43], v[38:39], v[12:13]
	v_fma_f64 v[10:11], v[40:41], v[38:39], v[10:11]
	v_fma_f64 v[18:19], -v[46:47], v[38:39], v[18:19]
	v_fma_f64 v[20:21], v[44:45], v[38:39], v[20:21]
	;; [unrolled: 2-line block ×3, first 2 shown]
	s_waitcnt vmcnt(2)
	v_fma_f64 v[12:13], v[52:53], v[32:33], v[12:13]
	v_fma_f64 v[10:11], v[54:55], v[32:33], v[10:11]
	s_waitcnt vmcnt(1)
	v_fma_f64 v[18:19], v[56:57], v[32:33], v[18:19]
	v_fma_f64 v[20:21], v[58:59], v[32:33], v[20:21]
	;; [unrolled: 3-line block ×3, first 2 shown]
	v_fma_f64 v[12:13], -v[54:55], v[34:35], v[12:13]
	v_fma_f64 v[10:11], v[52:53], v[34:35], v[10:11]
	v_fma_f64 v[18:19], -v[58:59], v[34:35], v[18:19]
	v_fma_f64 v[20:21], v[56:57], v[34:35], v[20:21]
	v_fma_f64 v[14:15], -v[62:63], v[34:35], v[14:15]
	v_fma_f64 v[16:17], v[60:61], v[34:35], v[16:17]
	s_cbranch_scc0 .LBB145_8
; %bb.9:                                ;   in Loop: Header=BB145_7 Depth=1
	v_add_nc_u32_e32 v25, 64, v25
	v_add_nc_u32_e32 v28, 0x600, v28
	v_cmp_ge_i32_e32 vcc_lo, v25, v31
	s_or_b32 s6, vcc_lo, s6
	s_andn2_b32 exec_lo, exec_lo, s6
	s_cbranch_execnz .LBB145_7
; %bb.10:
	s_or_b32 exec_lo, exec_lo, s6
.LBB145_11:
	s_or_b32 exec_lo, exec_lo, s1
	s_cbranch_execz .LBB145_13
	s_branch .LBB145_20
.LBB145_12:
                                        ; implicit-def: $vgpr10_vgpr11
                                        ; implicit-def: $vgpr12_vgpr13
                                        ; implicit-def: $vgpr14_vgpr15
                                        ; implicit-def: $vgpr16_vgpr17
                                        ; implicit-def: $vgpr18_vgpr19
                                        ; implicit-def: $vgpr20_vgpr21
.LBB145_13:
	v_mov_b32_e32 v10, 0
	v_mov_b32_e32 v12, 0
	;; [unrolled: 1-line block ×12, first 2 shown]
	s_and_saveexec_b32 s3, s0
	s_cbranch_execz .LBB145_19
; %bb.14:
	v_mul_lo_u32 v24, v22, 24
	v_mov_b32_e32 v10, 0
	v_mov_b32_e32 v12, 0
	;; [unrolled: 1-line block ×12, first 2 shown]
	v_add_nc_u32_e32 v26, 16, v24
	v_add_nc_u32_e32 v28, 8, v24
	v_mov_b32_e32 v30, 0
	s_mov_b32 s6, 0
.LBB145_15:                             ; =>This Loop Header: Depth=1
                                        ;     Child Loop BB145_16 Depth 2
	v_ashrrev_i32_e32 v23, 31, v22
	v_mov_b32_e32 v27, v30
	v_mov_b32_e32 v29, v30
	;; [unrolled: 1-line block ×3, first 2 shown]
	s_mov_b64 s[0:1], 0
	v_lshlrev_b64 v[32:33], 2, v[22:23]
	v_lshlrev_b64 v[34:35], 4, v[28:29]
	;; [unrolled: 1-line block ×3, first 2 shown]
	v_add_co_u32 v32, vcc_lo, s10, v32
	v_add_co_ci_u32_e64 v33, null, s11, v33, vcc_lo
	global_load_dword v23, v[32:33], off
	v_lshlrev_b64 v[32:33], 4, v[26:27]
	s_waitcnt vmcnt(0)
	v_subrev_nc_u32_e32 v27, s2, v23
	v_add_co_u32 v23, vcc_lo, s12, v32
	v_add_co_ci_u32_e64 v25, null, s13, v33, vcc_lo
	v_lshlrev_b32_e32 v29, 3, v27
	v_add_co_u32 v27, vcc_lo, s12, v34
	v_add_co_ci_u32_e64 v32, null, s13, v35, vcc_lo
	v_lshlrev_b64 v[38:39], 4, v[29:30]
	v_add_co_u32 v33, vcc_lo, s12, v36
	v_add_co_ci_u32_e64 v34, null, s13, v37, vcc_lo
	v_mov_b32_e32 v29, v24
	v_add_co_u32 v35, vcc_lo, s14, v38
	v_add_co_ci_u32_e64 v36, null, s15, v39, vcc_lo
.LBB145_16:                             ;   Parent Loop BB145_15 Depth=1
                                        ; =>  This Inner Loop Header: Depth=2
	v_add_nc_u32_e32 v51, 16, v29
	v_mov_b32_e32 v52, v30
	v_lshlrev_b64 v[53:54], 4, v[29:30]
	v_add_co_u32 v41, vcc_lo, v35, s0
	v_add_co_ci_u32_e64 v42, null, s1, v36, vcc_lo
	v_lshlrev_b64 v[51:52], 4, v[51:52]
	v_add_co_u32 v49, vcc_lo, v27, s0
	v_add_co_ci_u32_e64 v50, null, s1, v32, vcc_lo
	v_add_co_u32 v53, vcc_lo, s12, v53
	v_add_co_ci_u32_e64 v54, null, s13, v54, vcc_lo
	;; [unrolled: 2-line block ×3, first 2 shown]
	s_clause 0x1
	global_load_dwordx4 v[37:40], v[41:42], off offset:16
	global_load_dwordx4 v[41:44], v[41:42], off
	s_clause 0x3
	global_load_dwordx4 v[45:48], v[49:50], off
	global_load_dwordx4 v[49:52], v[49:50], off offset:16
	global_load_dwordx4 v[53:56], v[53:54], off
	global_load_dwordx4 v[57:60], v[57:58], off
	v_add_co_u32 v61, vcc_lo, v23, s0
	v_add_co_ci_u32_e64 v62, null, s1, v25, vcc_lo
	v_add_co_u32 v65, vcc_lo, v33, s0
	v_add_co_ci_u32_e64 v66, null, s1, v34, vcc_lo
	s_clause 0x1
	global_load_dwordx4 v[61:64], v[61:62], off offset:16
	global_load_dwordx4 v[65:68], v[65:66], off offset:16
	v_add_nc_u32_e32 v29, 2, v29
	s_add_u32 s0, s0, 32
	s_addc_u32 s1, s1, 0
	s_cmpk_eq_i32 s0, 0x80
	s_waitcnt vmcnt(5)
	v_fma_f64 v[18:19], v[45:46], v[41:42], v[18:19]
	v_fma_f64 v[20:21], v[47:48], v[41:42], v[20:21]
	s_waitcnt vmcnt(3)
	v_fma_f64 v[12:13], v[53:54], v[41:42], v[12:13]
	v_fma_f64 v[10:11], v[55:56], v[41:42], v[10:11]
	;; [unrolled: 3-line block ×3, first 2 shown]
	v_fma_f64 v[18:19], -v[47:48], v[43:44], v[18:19]
	v_fma_f64 v[20:21], v[45:46], v[43:44], v[20:21]
	v_fma_f64 v[12:13], -v[55:56], v[43:44], v[12:13]
	v_fma_f64 v[10:11], v[53:54], v[43:44], v[10:11]
	;; [unrolled: 2-line block ×3, first 2 shown]
	v_fma_f64 v[18:19], v[49:50], v[37:38], v[18:19]
	v_fma_f64 v[20:21], v[51:52], v[37:38], v[20:21]
	s_waitcnt vmcnt(0)
	v_fma_f64 v[12:13], v[65:66], v[37:38], v[12:13]
	v_fma_f64 v[10:11], v[67:68], v[37:38], v[10:11]
	;; [unrolled: 1-line block ×4, first 2 shown]
	v_fma_f64 v[18:19], -v[51:52], v[39:40], v[18:19]
	v_fma_f64 v[20:21], v[49:50], v[39:40], v[20:21]
	v_fma_f64 v[12:13], -v[67:68], v[39:40], v[12:13]
	v_fma_f64 v[10:11], v[65:66], v[39:40], v[10:11]
	;; [unrolled: 2-line block ×3, first 2 shown]
	s_cbranch_scc0 .LBB145_16
; %bb.17:                               ;   in Loop: Header=BB145_15 Depth=1
	v_add_nc_u32_e32 v22, 64, v22
	v_add_nc_u32_e32 v26, 0x600, v26
	;; [unrolled: 1-line block ×4, first 2 shown]
	v_cmp_ge_i32_e32 vcc_lo, v22, v31
	s_or_b32 s6, vcc_lo, s6
	s_andn2_b32 exec_lo, exec_lo, s6
	s_cbranch_execnz .LBB145_15
; %bb.18:
	s_or_b32 exec_lo, exec_lo, s6
.LBB145_19:
	s_or_b32 exec_lo, exec_lo, s3
.LBB145_20:
	v_mbcnt_lo_u32_b32 v34, -1, 0
	v_or_b32_e32 v22, 32, v34
	v_cmp_gt_i32_e32 vcc_lo, 32, v22
	v_cndmask_b32_e32 v22, v34, v22, vcc_lo
	v_lshlrev_b32_e32 v33, 2, v22
	ds_bpermute_b32 v22, v33, v12
	ds_bpermute_b32 v23, v33, v13
	ds_bpermute_b32 v24, v33, v10
	ds_bpermute_b32 v25, v33, v11
	ds_bpermute_b32 v26, v33, v18
	ds_bpermute_b32 v27, v33, v19
	ds_bpermute_b32 v28, v33, v20
	ds_bpermute_b32 v29, v33, v21
	ds_bpermute_b32 v30, v33, v14
	ds_bpermute_b32 v31, v33, v15
	ds_bpermute_b32 v32, v33, v16
	ds_bpermute_b32 v33, v33, v17
	s_waitcnt lgkmcnt(10)
	v_add_f64 v[12:13], v[12:13], v[22:23]
	v_xor_b32_e32 v22, 16, v34
	s_waitcnt lgkmcnt(8)
	v_add_f64 v[10:11], v[10:11], v[24:25]
	s_waitcnt lgkmcnt(6)
	v_add_f64 v[18:19], v[18:19], v[26:27]
	s_waitcnt lgkmcnt(4)
	v_add_f64 v[20:21], v[20:21], v[28:29]
	v_cmp_gt_i32_e32 vcc_lo, 32, v22
	s_waitcnt lgkmcnt(2)
	v_add_f64 v[14:15], v[14:15], v[30:31]
	s_waitcnt lgkmcnt(0)
	v_add_f64 v[16:17], v[16:17], v[32:33]
	v_cndmask_b32_e32 v22, v34, v22, vcc_lo
	v_lshlrev_b32_e32 v33, 2, v22
	ds_bpermute_b32 v22, v33, v12
	ds_bpermute_b32 v23, v33, v13
	ds_bpermute_b32 v24, v33, v10
	ds_bpermute_b32 v25, v33, v11
	ds_bpermute_b32 v26, v33, v18
	ds_bpermute_b32 v27, v33, v19
	ds_bpermute_b32 v28, v33, v20
	ds_bpermute_b32 v29, v33, v21
	ds_bpermute_b32 v30, v33, v14
	ds_bpermute_b32 v31, v33, v15
	ds_bpermute_b32 v32, v33, v16
	ds_bpermute_b32 v33, v33, v17
	s_waitcnt lgkmcnt(10)
	v_add_f64 v[12:13], v[12:13], v[22:23]
	v_xor_b32_e32 v22, 8, v34
	s_waitcnt lgkmcnt(8)
	v_add_f64 v[10:11], v[10:11], v[24:25]
	s_waitcnt lgkmcnt(6)
	v_add_f64 v[18:19], v[18:19], v[26:27]
	s_waitcnt lgkmcnt(4)
	v_add_f64 v[20:21], v[20:21], v[28:29]
	v_cmp_gt_i32_e32 vcc_lo, 32, v22
	s_waitcnt lgkmcnt(2)
	v_add_f64 v[14:15], v[14:15], v[30:31]
	s_waitcnt lgkmcnt(0)
	v_add_f64 v[16:17], v[16:17], v[32:33]
	;; [unrolled: 28-line block ×3, first 2 shown]
	v_cndmask_b32_e32 v22, v34, v22, vcc_lo
	v_lshlrev_b32_e32 v33, 2, v22
	ds_bpermute_b32 v22, v33, v12
	ds_bpermute_b32 v23, v33, v13
	;; [unrolled: 1-line block ×12, first 2 shown]
	s_waitcnt lgkmcnt(10)
	v_add_f64 v[12:13], v[12:13], v[22:23]
	s_waitcnt lgkmcnt(8)
	v_add_f64 v[22:23], v[10:11], v[24:25]
	v_xor_b32_e32 v10, 2, v34
	s_waitcnt lgkmcnt(6)
	v_add_f64 v[18:19], v[18:19], v[26:27]
	s_waitcnt lgkmcnt(4)
	v_add_f64 v[24:25], v[20:21], v[28:29]
	;; [unrolled: 2-line block ×3, first 2 shown]
	v_cmp_gt_i32_e32 vcc_lo, 32, v10
	s_waitcnt lgkmcnt(0)
	v_add_f64 v[16:17], v[16:17], v[32:33]
	v_cndmask_b32_e32 v10, v34, v10, vcc_lo
	v_lshlrev_b32_e32 v33, 2, v10
	ds_bpermute_b32 v10, v33, v12
	ds_bpermute_b32 v11, v33, v13
	;; [unrolled: 1-line block ×12, first 2 shown]
	s_waitcnt lgkmcnt(10)
	v_add_f64 v[10:11], v[12:13], v[10:11]
	s_waitcnt lgkmcnt(8)
	v_add_f64 v[20:21], v[22:23], v[20:21]
	v_xor_b32_e32 v22, 1, v34
	s_waitcnt lgkmcnt(6)
	v_add_f64 v[12:13], v[18:19], v[26:27]
	s_waitcnt lgkmcnt(4)
	v_add_f64 v[18:19], v[24:25], v[28:29]
	;; [unrolled: 2-line block ×3, first 2 shown]
	v_cmp_gt_i32_e32 vcc_lo, 32, v22
	s_waitcnt lgkmcnt(0)
	v_add_f64 v[16:17], v[16:17], v[32:33]
	v_cndmask_b32_e32 v22, v34, v22, vcc_lo
	v_cmp_eq_u32_e32 vcc_lo, 63, v0
	v_lshlrev_b32_e32 v25, 2, v22
	ds_bpermute_b32 v32, v25, v10
	ds_bpermute_b32 v33, v25, v11
	;; [unrolled: 1-line block ×12, first 2 shown]
	s_and_b32 exec_lo, exec_lo, vcc_lo
	s_cbranch_execz .LBB145_25
; %bb.21:
	v_cmp_eq_f64_e32 vcc_lo, 0, v[5:6]
	v_cmp_eq_f64_e64 s0, 0, v[7:8]
	s_waitcnt lgkmcnt(10)
	v_add_f64 v[10:11], v[10:11], v[32:33]
	s_waitcnt lgkmcnt(8)
	v_add_f64 v[20:21], v[20:21], v[30:31]
	;; [unrolled: 2-line block ×6, first 2 shown]
	s_load_dwordx2 s[2:3], s[4:5], 0x48
	s_and_b32 s0, vcc_lo, s0
	s_and_saveexec_b32 s1, s0
	s_xor_b32 s0, exec_lo, s1
	s_cbranch_execz .LBB145_23
; %bb.22:
	v_mul_f64 v[5:6], v[20:21], -v[3:4]
	v_mul_f64 v[7:8], v[1:2], v[20:21]
	v_mul_f64 v[20:21], v[18:19], -v[3:4]
	v_mul_f64 v[18:19], v[1:2], v[18:19]
	;; [unrolled: 2-line block ×3, first 2 shown]
	v_lshl_add_u32 v24, v9, 1, v9
	v_ashrrev_i32_e32 v25, 31, v24
	v_fma_f64 v[5:6], v[1:2], v[10:11], v[5:6]
	v_fma_f64 v[7:8], v[3:4], v[10:11], v[7:8]
	;; [unrolled: 1-line block ×6, first 2 shown]
	v_lshlrev_b64 v[13:14], 4, v[24:25]
                                        ; implicit-def: $vgpr20_vgpr21
                                        ; implicit-def: $vgpr18_vgpr19
                                        ; implicit-def: $vgpr16_vgpr17
	s_waitcnt lgkmcnt(0)
	v_add_co_u32 v13, vcc_lo, s2, v13
	v_add_co_ci_u32_e64 v14, null, s3, v14, vcc_lo
	global_store_dwordx4 v[13:14], v[5:8], off
	global_store_dwordx4 v[13:14], v[9:12], off offset:16
	global_store_dwordx4 v[13:14], v[0:3], off offset:32
                                        ; implicit-def: $vgpr9
                                        ; implicit-def: $vgpr10_vgpr11
                                        ; implicit-def: $vgpr12_vgpr13
                                        ; implicit-def: $vgpr14_vgpr15
                                        ; implicit-def: $vgpr7_vgpr8
                                        ; implicit-def: $vgpr3_vgpr4
.LBB145_23:
	s_andn2_saveexec_b32 s0, s0
	s_cbranch_execz .LBB145_25
; %bb.24:
	v_lshl_add_u32 v22, v9, 1, v9
	v_mul_f64 v[36:37], v[20:21], -v[3:4]
	v_mul_f64 v[20:21], v[1:2], v[20:21]
	v_mul_f64 v[38:39], v[18:19], -v[3:4]
	v_mul_f64 v[18:19], v[1:2], v[18:19]
	v_ashrrev_i32_e32 v23, 31, v22
	v_mul_f64 v[40:41], v[16:17], -v[3:4]
	v_mul_f64 v[16:17], v[1:2], v[16:17]
	v_lshlrev_b64 v[22:23], 4, v[22:23]
	s_waitcnt lgkmcnt(0)
	v_add_co_u32 v34, vcc_lo, s2, v22
	v_add_co_ci_u32_e64 v35, null, s3, v23, vcc_lo
	s_clause 0x2
	global_load_dwordx4 v[22:25], v[34:35], off
	global_load_dwordx4 v[26:29], v[34:35], off offset:16
	global_load_dwordx4 v[30:33], v[34:35], off offset:32
	v_fma_f64 v[36:37], v[1:2], v[10:11], v[36:37]
	v_fma_f64 v[9:10], v[3:4], v[10:11], v[20:21]
	;; [unrolled: 1-line block ×6, first 2 shown]
	s_waitcnt vmcnt(2)
	v_fma_f64 v[13:14], v[5:6], v[22:23], v[36:37]
	v_fma_f64 v[9:10], v[7:8], v[22:23], v[9:10]
	s_waitcnt vmcnt(1)
	v_fma_f64 v[15:16], v[5:6], v[26:27], v[20:21]
	v_fma_f64 v[11:12], v[7:8], v[26:27], v[11:12]
	;; [unrolled: 3-line block ×3, first 2 shown]
	v_fma_f64 v[0:1], -v[7:8], v[24:25], v[13:14]
	v_fma_f64 v[2:3], v[5:6], v[24:25], v[9:10]
	v_fma_f64 v[9:10], -v[7:8], v[28:29], v[15:16]
	v_fma_f64 v[11:12], v[5:6], v[28:29], v[11:12]
	v_fma_f64 v[13:14], -v[7:8], v[32:33], v[17:18]
	v_fma_f64 v[15:16], v[5:6], v[32:33], v[19:20]
	global_store_dwordx4 v[34:35], v[0:3], off
	global_store_dwordx4 v[34:35], v[9:12], off offset:16
	global_store_dwordx4 v[34:35], v[13:16], off offset:32
.LBB145_25:
	s_endpgm
	.section	.rodata,"a",@progbits
	.p2align	6, 0x0
	.amdhsa_kernel _ZN9rocsparseL19gebsrmvn_3xn_kernelILj128ELj8ELj64E21rocsparse_complex_numIdEEEvi20rocsparse_direction_NS_24const_host_device_scalarIT2_EEPKiS8_PKS5_SA_S6_PS5_21rocsparse_index_base_b
		.amdhsa_group_segment_fixed_size 0
		.amdhsa_private_segment_fixed_size 0
		.amdhsa_kernarg_size 88
		.amdhsa_user_sgpr_count 6
		.amdhsa_user_sgpr_private_segment_buffer 1
		.amdhsa_user_sgpr_dispatch_ptr 0
		.amdhsa_user_sgpr_queue_ptr 0
		.amdhsa_user_sgpr_kernarg_segment_ptr 1
		.amdhsa_user_sgpr_dispatch_id 0
		.amdhsa_user_sgpr_flat_scratch_init 0
		.amdhsa_user_sgpr_private_segment_size 0
		.amdhsa_wavefront_size32 1
		.amdhsa_uses_dynamic_stack 0
		.amdhsa_system_sgpr_private_segment_wavefront_offset 0
		.amdhsa_system_sgpr_workgroup_id_x 1
		.amdhsa_system_sgpr_workgroup_id_y 0
		.amdhsa_system_sgpr_workgroup_id_z 0
		.amdhsa_system_sgpr_workgroup_info 0
		.amdhsa_system_vgpr_workitem_id 0
		.amdhsa_next_free_vgpr 69
		.amdhsa_next_free_sgpr 16
		.amdhsa_reserve_vcc 1
		.amdhsa_reserve_flat_scratch 0
		.amdhsa_float_round_mode_32 0
		.amdhsa_float_round_mode_16_64 0
		.amdhsa_float_denorm_mode_32 3
		.amdhsa_float_denorm_mode_16_64 3
		.amdhsa_dx10_clamp 1
		.amdhsa_ieee_mode 1
		.amdhsa_fp16_overflow 0
		.amdhsa_workgroup_processor_mode 1
		.amdhsa_memory_ordered 1
		.amdhsa_forward_progress 1
		.amdhsa_shared_vgpr_count 0
		.amdhsa_exception_fp_ieee_invalid_op 0
		.amdhsa_exception_fp_denorm_src 0
		.amdhsa_exception_fp_ieee_div_zero 0
		.amdhsa_exception_fp_ieee_overflow 0
		.amdhsa_exception_fp_ieee_underflow 0
		.amdhsa_exception_fp_ieee_inexact 0
		.amdhsa_exception_int_div_zero 0
	.end_amdhsa_kernel
	.section	.text._ZN9rocsparseL19gebsrmvn_3xn_kernelILj128ELj8ELj64E21rocsparse_complex_numIdEEEvi20rocsparse_direction_NS_24const_host_device_scalarIT2_EEPKiS8_PKS5_SA_S6_PS5_21rocsparse_index_base_b,"axG",@progbits,_ZN9rocsparseL19gebsrmvn_3xn_kernelILj128ELj8ELj64E21rocsparse_complex_numIdEEEvi20rocsparse_direction_NS_24const_host_device_scalarIT2_EEPKiS8_PKS5_SA_S6_PS5_21rocsparse_index_base_b,comdat
.Lfunc_end145:
	.size	_ZN9rocsparseL19gebsrmvn_3xn_kernelILj128ELj8ELj64E21rocsparse_complex_numIdEEEvi20rocsparse_direction_NS_24const_host_device_scalarIT2_EEPKiS8_PKS5_SA_S6_PS5_21rocsparse_index_base_b, .Lfunc_end145-_ZN9rocsparseL19gebsrmvn_3xn_kernelILj128ELj8ELj64E21rocsparse_complex_numIdEEEvi20rocsparse_direction_NS_24const_host_device_scalarIT2_EEPKiS8_PKS5_SA_S6_PS5_21rocsparse_index_base_b
                                        ; -- End function
	.set _ZN9rocsparseL19gebsrmvn_3xn_kernelILj128ELj8ELj64E21rocsparse_complex_numIdEEEvi20rocsparse_direction_NS_24const_host_device_scalarIT2_EEPKiS8_PKS5_SA_S6_PS5_21rocsparse_index_base_b.num_vgpr, 69
	.set _ZN9rocsparseL19gebsrmvn_3xn_kernelILj128ELj8ELj64E21rocsparse_complex_numIdEEEvi20rocsparse_direction_NS_24const_host_device_scalarIT2_EEPKiS8_PKS5_SA_S6_PS5_21rocsparse_index_base_b.num_agpr, 0
	.set _ZN9rocsparseL19gebsrmvn_3xn_kernelILj128ELj8ELj64E21rocsparse_complex_numIdEEEvi20rocsparse_direction_NS_24const_host_device_scalarIT2_EEPKiS8_PKS5_SA_S6_PS5_21rocsparse_index_base_b.numbered_sgpr, 16
	.set _ZN9rocsparseL19gebsrmvn_3xn_kernelILj128ELj8ELj64E21rocsparse_complex_numIdEEEvi20rocsparse_direction_NS_24const_host_device_scalarIT2_EEPKiS8_PKS5_SA_S6_PS5_21rocsparse_index_base_b.num_named_barrier, 0
	.set _ZN9rocsparseL19gebsrmvn_3xn_kernelILj128ELj8ELj64E21rocsparse_complex_numIdEEEvi20rocsparse_direction_NS_24const_host_device_scalarIT2_EEPKiS8_PKS5_SA_S6_PS5_21rocsparse_index_base_b.private_seg_size, 0
	.set _ZN9rocsparseL19gebsrmvn_3xn_kernelILj128ELj8ELj64E21rocsparse_complex_numIdEEEvi20rocsparse_direction_NS_24const_host_device_scalarIT2_EEPKiS8_PKS5_SA_S6_PS5_21rocsparse_index_base_b.uses_vcc, 1
	.set _ZN9rocsparseL19gebsrmvn_3xn_kernelILj128ELj8ELj64E21rocsparse_complex_numIdEEEvi20rocsparse_direction_NS_24const_host_device_scalarIT2_EEPKiS8_PKS5_SA_S6_PS5_21rocsparse_index_base_b.uses_flat_scratch, 0
	.set _ZN9rocsparseL19gebsrmvn_3xn_kernelILj128ELj8ELj64E21rocsparse_complex_numIdEEEvi20rocsparse_direction_NS_24const_host_device_scalarIT2_EEPKiS8_PKS5_SA_S6_PS5_21rocsparse_index_base_b.has_dyn_sized_stack, 0
	.set _ZN9rocsparseL19gebsrmvn_3xn_kernelILj128ELj8ELj64E21rocsparse_complex_numIdEEEvi20rocsparse_direction_NS_24const_host_device_scalarIT2_EEPKiS8_PKS5_SA_S6_PS5_21rocsparse_index_base_b.has_recursion, 0
	.set _ZN9rocsparseL19gebsrmvn_3xn_kernelILj128ELj8ELj64E21rocsparse_complex_numIdEEEvi20rocsparse_direction_NS_24const_host_device_scalarIT2_EEPKiS8_PKS5_SA_S6_PS5_21rocsparse_index_base_b.has_indirect_call, 0
	.section	.AMDGPU.csdata,"",@progbits
; Kernel info:
; codeLenInByte = 3360
; TotalNumSgprs: 18
; NumVgprs: 69
; ScratchSize: 0
; MemoryBound: 0
; FloatMode: 240
; IeeeMode: 1
; LDSByteSize: 0 bytes/workgroup (compile time only)
; SGPRBlocks: 0
; VGPRBlocks: 8
; NumSGPRsForWavesPerEU: 18
; NumVGPRsForWavesPerEU: 69
; Occupancy: 12
; WaveLimiterHint : 1
; COMPUTE_PGM_RSRC2:SCRATCH_EN: 0
; COMPUTE_PGM_RSRC2:USER_SGPR: 6
; COMPUTE_PGM_RSRC2:TRAP_HANDLER: 0
; COMPUTE_PGM_RSRC2:TGID_X_EN: 1
; COMPUTE_PGM_RSRC2:TGID_Y_EN: 0
; COMPUTE_PGM_RSRC2:TGID_Z_EN: 0
; COMPUTE_PGM_RSRC2:TIDIG_COMP_CNT: 0
	.section	.text._ZN9rocsparseL23gebsrmvn_general_kernelILj48ELj16E21rocsparse_complex_numIdEEEvi20rocsparse_direction_NS_24const_host_device_scalarIT1_EEPKiS8_PKS5_iiSA_S6_PS5_21rocsparse_index_base_b,"axG",@progbits,_ZN9rocsparseL23gebsrmvn_general_kernelILj48ELj16E21rocsparse_complex_numIdEEEvi20rocsparse_direction_NS_24const_host_device_scalarIT1_EEPKiS8_PKS5_iiSA_S6_PS5_21rocsparse_index_base_b,comdat
	.globl	_ZN9rocsparseL23gebsrmvn_general_kernelILj48ELj16E21rocsparse_complex_numIdEEEvi20rocsparse_direction_NS_24const_host_device_scalarIT1_EEPKiS8_PKS5_iiSA_S6_PS5_21rocsparse_index_base_b ; -- Begin function _ZN9rocsparseL23gebsrmvn_general_kernelILj48ELj16E21rocsparse_complex_numIdEEEvi20rocsparse_direction_NS_24const_host_device_scalarIT1_EEPKiS8_PKS5_iiSA_S6_PS5_21rocsparse_index_base_b
	.p2align	8
	.type	_ZN9rocsparseL23gebsrmvn_general_kernelILj48ELj16E21rocsparse_complex_numIdEEEvi20rocsparse_direction_NS_24const_host_device_scalarIT1_EEPKiS8_PKS5_iiSA_S6_PS5_21rocsparse_index_base_b,@function
_ZN9rocsparseL23gebsrmvn_general_kernelILj48ELj16E21rocsparse_complex_numIdEEEvi20rocsparse_direction_NS_24const_host_device_scalarIT1_EEPKiS8_PKS5_iiSA_S6_PS5_21rocsparse_index_base_b: ; @_ZN9rocsparseL23gebsrmvn_general_kernelILj48ELj16E21rocsparse_complex_numIdEEEvi20rocsparse_direction_NS_24const_host_device_scalarIT1_EEPKiS8_PKS5_iiSA_S6_PS5_21rocsparse_index_base_b
; %bb.0:
	s_clause 0x1
	s_load_dwordx2 s[12:13], s[4:5], 0x58
	s_load_dwordx2 s[0:1], s[4:5], 0x8
	s_add_u32 s7, s4, 8
	s_addc_u32 s8, s5, 0
	s_add_u32 s9, s4, 64
	s_addc_u32 s10, s5, 0
	s_load_dwordx2 s[2:3], s[4:5], 0x40
	s_waitcnt lgkmcnt(0)
	s_bitcmp1_b32 s13, 0
	s_cselect_b32 s0, s7, s0
	s_cselect_b32 s1, s8, s1
	v_mov_b32_e32 v1, s0
	v_mov_b32_e32 v2, s1
	s_cselect_b32 s0, s9, s2
	s_cselect_b32 s1, s10, s3
	v_mov_b32_e32 v5, s0
	v_mov_b32_e32 v6, s1
	flat_load_dwordx4 v[1:4], v[1:2]
	flat_load_dwordx4 v[5:8], v[5:6]
	s_waitcnt vmcnt(1) lgkmcnt(1)
	v_cmp_eq_f64_e32 vcc_lo, 0, v[1:2]
	v_cmp_eq_f64_e64 s0, 0, v[3:4]
	s_and_b32 s2, vcc_lo, s0
	s_mov_b32 s0, -1
	s_and_saveexec_b32 s1, s2
	s_cbranch_execz .LBB146_2
; %bb.1:
	s_waitcnt vmcnt(0) lgkmcnt(0)
	v_cmp_neq_f64_e32 vcc_lo, 1.0, v[5:6]
	v_cmp_neq_f64_e64 s0, 0, v[7:8]
	s_or_b32 s0, vcc_lo, s0
	s_orn2_b32 s0, s0, exec_lo
.LBB146_2:
	s_or_b32 exec_lo, exec_lo, s1
	s_and_saveexec_b32 s1, s0
	s_cbranch_execz .LBB146_22
; %bb.3:
	s_load_dwordx2 s[14:15], s[4:5], 0x30
	v_lshrrev_b32_e32 v13, 4, v0
	s_waitcnt lgkmcnt(0)
	v_cmp_gt_i32_e32 vcc_lo, s14, v13
	s_and_b32 exec_lo, exec_lo, vcc_lo
	s_cbranch_execz .LBB146_22
; %bb.4:
	s_clause 0x1
	s_load_dwordx4 s[8:11], s[4:5], 0x18
	s_load_dword s3, s[4:5], 0x4
	s_ashr_i32 s7, s6, 31
	v_mbcnt_lo_u32_b32 v11, -1, 0
	s_lshl_b64 s[0:1], s[6:7], 2
	s_waitcnt vmcnt(0)
	v_cmp_eq_f64_e32 vcc_lo, 0, v[5:6]
	v_cmp_eq_f64_e64 s2, 0, v[7:8]
	v_and_b32_e32 v0, 15, v0
	v_xor_b32_e32 v9, 8, v11
	v_xor_b32_e32 v10, 4, v11
	;; [unrolled: 1-line block ×4, first 2 shown]
	s_mov_b32 s7, 0
	s_mul_i32 s6, s14, s6
	s_mul_i32 s22, s15, 3
	;; [unrolled: 1-line block ×3, first 2 shown]
	s_waitcnt lgkmcnt(0)
	s_add_u32 s0, s8, s0
	s_addc_u32 s1, s9, s1
	s_load_dwordx2 s[20:21], s[0:1], 0x0
	s_clause 0x2
	s_load_dwordx2 s[8:9], s[4:5], 0x50
	s_load_dwordx2 s[16:17], s[4:5], 0x28
	;; [unrolled: 1-line block ×3, first 2 shown]
	v_cmp_gt_i32_e64 s1, 32, v9
	v_cmp_gt_i32_e64 s0, s15, v0
	v_cndmask_b32_e64 v15, v11, v9, s1
	v_cmp_gt_i32_e64 s1, 32, v10
	v_lshlrev_b32_e32 v18, 2, v15
	v_cndmask_b32_e64 v16, v11, v10, s1
	v_cmp_gt_i32_e64 s1, 32, v12
	v_lshlrev_b32_e32 v19, 2, v16
	s_waitcnt lgkmcnt(0)
	s_sub_i32 s13, s20, s12
	v_cndmask_b32_e64 v12, v11, v12, s1
	v_mad_u64_u32 v[9:10], null, s14, s13, v[13:14]
	v_cmp_gt_i32_e64 s1, 32, v14
	s_sub_i32 s18, s21, s12
	s_cmp_lt_i32 s20, s21
	v_lshlrev_b32_e32 v20, 2, v12
	s_cselect_b32 s19, -1, 0
	v_cndmask_b32_e64 v10, v11, v14, s1
	v_mul_lo_u32 v22, s15, v9
	v_cmp_eq_u32_e64 s1, 15, v0
	s_cmp_lg_u32 s3, 0
	v_lshlrev_b32_e32 v21, 2, v10
	s_cselect_b32 s20, -1, 0
	s_and_b32 s21, vcc_lo, s2
	s_branch .LBB146_6
.LBB146_5:                              ;   in Loop: Header=BB146_6 Depth=1
	s_or_b32 exec_lo, exec_lo, s2
	v_add_nc_u32_e32 v13, 3, v13
	v_add_nc_u32_e32 v22, s22, v22
	v_cmp_le_i32_e32 vcc_lo, s14, v13
	s_or_b32 s7, vcc_lo, s7
	s_andn2_b32 exec_lo, exec_lo, s7
	s_cbranch_execz .LBB146_22
.LBB146_6:                              ; =>This Loop Header: Depth=1
                                        ;     Child Loop BB146_10 Depth 2
                                        ;       Child Loop BB146_13 Depth 3
	v_mov_b32_e32 v9, 0
	v_mov_b32_e32 v11, 0
	;; [unrolled: 1-line block ×4, first 2 shown]
	s_andn2_b32 vcc_lo, exec_lo, s19
	s_cbranch_vccnz .LBB146_17
; %bb.7:                                ;   in Loop: Header=BB146_6 Depth=1
	v_mov_b32_e32 v9, 0
	v_mov_b32_e32 v11, 0
	;; [unrolled: 1-line block ×4, first 2 shown]
	s_waitcnt lgkmcnt(1)
	v_mov_b32_e32 v16, v22
	s_mov_b32 s2, s13
	s_branch .LBB146_10
.LBB146_8:                              ;   in Loop: Header=BB146_10 Depth=2
	s_inst_prefetch 0x2
	s_or_b32 exec_lo, exec_lo, s25
.LBB146_9:                              ;   in Loop: Header=BB146_10 Depth=2
	s_or_b32 exec_lo, exec_lo, s24
	v_add_nc_u32_e32 v16, s23, v16
	s_add_i32 s2, s2, 1
	s_cmp_ge_i32 s2, s18
	s_cbranch_scc1 .LBB146_17
.LBB146_10:                             ;   Parent Loop BB146_6 Depth=1
                                        ; =>  This Loop Header: Depth=2
                                        ;       Child Loop BB146_13 Depth 3
	s_and_saveexec_b32 s24, s0
	s_cbranch_execz .LBB146_9
; %bb.11:                               ;   in Loop: Header=BB146_10 Depth=2
	s_ashr_i32 s3, s2, 31
	s_waitcnt lgkmcnt(0)
	v_mov_b32_e32 v17, v0
	s_lshl_b64 s[26:27], s[2:3], 2
	s_mov_b32 s25, 0
	s_add_u32 s26, s10, s26
	s_addc_u32 s27, s11, s27
	s_load_dword s3, s[26:27], 0x0
	s_waitcnt lgkmcnt(0)
	s_sub_i32 s26, s3, s12
	s_mul_i32 s3, s2, s15
	s_mul_i32 s26, s26, s15
	s_inst_prefetch 0x1
	s_branch .LBB146_13
	.p2align	6
.LBB146_12:                             ;   in Loop: Header=BB146_13 Depth=3
	v_add_nc_u32_e32 v23, s26, v17
	v_ashrrev_i32_e32 v15, 31, v14
	v_add_nc_u32_e32 v17, 16, v17
	v_ashrrev_i32_e32 v24, 31, v23
	v_lshlrev_b64 v[14:15], 4, v[14:15]
	v_lshlrev_b64 v[23:24], 4, v[23:24]
	v_add_co_u32 v14, vcc_lo, s16, v14
	v_add_co_ci_u32_e64 v15, null, s17, v15, vcc_lo
	v_add_co_u32 v27, vcc_lo, s4, v23
	v_add_co_ci_u32_e64 v28, null, s5, v24, vcc_lo
	v_cmp_le_i32_e32 vcc_lo, s15, v17
	global_load_dwordx4 v[23:26], v[14:15], off
	global_load_dwordx4 v[27:30], v[27:28], off
	s_or_b32 s25, vcc_lo, s25
	s_waitcnt vmcnt(0)
	v_fma_f64 v[11:12], v[23:24], v[27:28], v[11:12]
	v_fma_f64 v[9:10], v[25:26], v[27:28], v[9:10]
	v_fma_f64 v[11:12], -v[25:26], v[29:30], v[11:12]
	v_fma_f64 v[9:10], v[23:24], v[29:30], v[9:10]
	s_andn2_b32 exec_lo, exec_lo, s25
	s_cbranch_execz .LBB146_8
.LBB146_13:                             ;   Parent Loop BB146_6 Depth=1
                                        ;     Parent Loop BB146_10 Depth=2
                                        ; =>    This Inner Loop Header: Depth=3
	s_and_b32 vcc_lo, exec_lo, s20
	s_cbranch_vccz .LBB146_15
; %bb.14:                               ;   in Loop: Header=BB146_13 Depth=3
	v_add_nc_u32_e32 v14, s3, v17
	v_mad_u64_u32 v[14:15], null, v14, s14, v[13:14]
	s_cbranch_execnz .LBB146_12
	s_branch .LBB146_16
.LBB146_15:                             ;   in Loop: Header=BB146_13 Depth=3
                                        ; implicit-def: $vgpr14
.LBB146_16:                             ;   in Loop: Header=BB146_13 Depth=3
	v_add_nc_u32_e32 v14, v16, v17
	s_branch .LBB146_12
.LBB146_17:                             ;   in Loop: Header=BB146_6 Depth=1
	s_waitcnt lgkmcnt(3)
	ds_bpermute_b32 v14, v18, v11
	s_waitcnt lgkmcnt(3)
	ds_bpermute_b32 v15, v18, v12
	;; [unrolled: 2-line block ×4, first 2 shown]
	s_waitcnt lgkmcnt(2)
	v_add_f64 v[11:12], v[11:12], v[14:15]
	s_waitcnt lgkmcnt(0)
	v_add_f64 v[9:10], v[9:10], v[16:17]
	ds_bpermute_b32 v14, v19, v11
	ds_bpermute_b32 v15, v19, v12
	ds_bpermute_b32 v16, v19, v9
	ds_bpermute_b32 v17, v19, v10
	s_waitcnt lgkmcnt(2)
	v_add_f64 v[11:12], v[11:12], v[14:15]
	s_waitcnt lgkmcnt(0)
	v_add_f64 v[14:15], v[9:10], v[16:17]
	ds_bpermute_b32 v9, v20, v11
	ds_bpermute_b32 v10, v20, v12
	ds_bpermute_b32 v16, v20, v14
	ds_bpermute_b32 v17, v20, v15
	;; [unrolled: 8-line block ×3, first 2 shown]
	s_and_saveexec_b32 s2, s1
	s_cbranch_execz .LBB146_5
; %bb.18:                               ;   in Loop: Header=BB146_6 Depth=1
	s_waitcnt lgkmcnt(0)
	v_add_f64 v[11:12], v[11:12], v[16:17]
	v_add_f64 v[14:15], v[9:10], v[14:15]
	v_mul_f64 v[9:10], v[11:12], -v[3:4]
	v_mul_f64 v[11:12], v[1:2], v[11:12]
	v_fma_f64 v[9:10], v[1:2], v[14:15], v[9:10]
	v_fma_f64 v[11:12], v[3:4], v[14:15], v[11:12]
	v_add_nc_u32_e32 v14, s6, v13
	v_ashrrev_i32_e32 v15, 31, v14
	s_and_saveexec_b32 s3, s21
	s_xor_b32 s3, exec_lo, s3
	s_cbranch_execz .LBB146_20
; %bb.19:                               ;   in Loop: Header=BB146_6 Depth=1
	v_lshlrev_b64 v[14:15], 4, v[14:15]
	v_add_co_u32 v14, vcc_lo, s8, v14
	v_add_co_ci_u32_e64 v15, null, s9, v15, vcc_lo
	global_store_dwordx4 v[14:15], v[9:12], off
                                        ; implicit-def: $vgpr14
                                        ; implicit-def: $vgpr9_vgpr10
.LBB146_20:                             ;   in Loop: Header=BB146_6 Depth=1
	s_andn2_saveexec_b32 s3, s3
	s_cbranch_execz .LBB146_5
; %bb.21:                               ;   in Loop: Header=BB146_6 Depth=1
	v_lshlrev_b64 v[14:15], 4, v[14:15]
	v_add_co_u32 v23, vcc_lo, s8, v14
	v_add_co_ci_u32_e64 v24, null, s9, v15, vcc_lo
	global_load_dwordx4 v[14:17], v[23:24], off
	s_waitcnt vmcnt(0)
	v_fma_f64 v[9:10], v[5:6], v[14:15], v[9:10]
	v_fma_f64 v[11:12], v[7:8], v[14:15], v[11:12]
	v_fma_f64 v[9:10], -v[7:8], v[16:17], v[9:10]
	v_fma_f64 v[11:12], v[5:6], v[16:17], v[11:12]
	global_store_dwordx4 v[23:24], v[9:12], off
	s_branch .LBB146_5
.LBB146_22:
	s_endpgm
	.section	.rodata,"a",@progbits
	.p2align	6, 0x0
	.amdhsa_kernel _ZN9rocsparseL23gebsrmvn_general_kernelILj48ELj16E21rocsparse_complex_numIdEEEvi20rocsparse_direction_NS_24const_host_device_scalarIT1_EEPKiS8_PKS5_iiSA_S6_PS5_21rocsparse_index_base_b
		.amdhsa_group_segment_fixed_size 0
		.amdhsa_private_segment_fixed_size 0
		.amdhsa_kernarg_size 96
		.amdhsa_user_sgpr_count 6
		.amdhsa_user_sgpr_private_segment_buffer 1
		.amdhsa_user_sgpr_dispatch_ptr 0
		.amdhsa_user_sgpr_queue_ptr 0
		.amdhsa_user_sgpr_kernarg_segment_ptr 1
		.amdhsa_user_sgpr_dispatch_id 0
		.amdhsa_user_sgpr_flat_scratch_init 0
		.amdhsa_user_sgpr_private_segment_size 0
		.amdhsa_wavefront_size32 1
		.amdhsa_uses_dynamic_stack 0
		.amdhsa_system_sgpr_private_segment_wavefront_offset 0
		.amdhsa_system_sgpr_workgroup_id_x 1
		.amdhsa_system_sgpr_workgroup_id_y 0
		.amdhsa_system_sgpr_workgroup_id_z 0
		.amdhsa_system_sgpr_workgroup_info 0
		.amdhsa_system_vgpr_workitem_id 0
		.amdhsa_next_free_vgpr 31
		.amdhsa_next_free_sgpr 28
		.amdhsa_reserve_vcc 1
		.amdhsa_reserve_flat_scratch 0
		.amdhsa_float_round_mode_32 0
		.amdhsa_float_round_mode_16_64 0
		.amdhsa_float_denorm_mode_32 3
		.amdhsa_float_denorm_mode_16_64 3
		.amdhsa_dx10_clamp 1
		.amdhsa_ieee_mode 1
		.amdhsa_fp16_overflow 0
		.amdhsa_workgroup_processor_mode 1
		.amdhsa_memory_ordered 1
		.amdhsa_forward_progress 1
		.amdhsa_shared_vgpr_count 0
		.amdhsa_exception_fp_ieee_invalid_op 0
		.amdhsa_exception_fp_denorm_src 0
		.amdhsa_exception_fp_ieee_div_zero 0
		.amdhsa_exception_fp_ieee_overflow 0
		.amdhsa_exception_fp_ieee_underflow 0
		.amdhsa_exception_fp_ieee_inexact 0
		.amdhsa_exception_int_div_zero 0
	.end_amdhsa_kernel
	.section	.text._ZN9rocsparseL23gebsrmvn_general_kernelILj48ELj16E21rocsparse_complex_numIdEEEvi20rocsparse_direction_NS_24const_host_device_scalarIT1_EEPKiS8_PKS5_iiSA_S6_PS5_21rocsparse_index_base_b,"axG",@progbits,_ZN9rocsparseL23gebsrmvn_general_kernelILj48ELj16E21rocsparse_complex_numIdEEEvi20rocsparse_direction_NS_24const_host_device_scalarIT1_EEPKiS8_PKS5_iiSA_S6_PS5_21rocsparse_index_base_b,comdat
.Lfunc_end146:
	.size	_ZN9rocsparseL23gebsrmvn_general_kernelILj48ELj16E21rocsparse_complex_numIdEEEvi20rocsparse_direction_NS_24const_host_device_scalarIT1_EEPKiS8_PKS5_iiSA_S6_PS5_21rocsparse_index_base_b, .Lfunc_end146-_ZN9rocsparseL23gebsrmvn_general_kernelILj48ELj16E21rocsparse_complex_numIdEEEvi20rocsparse_direction_NS_24const_host_device_scalarIT1_EEPKiS8_PKS5_iiSA_S6_PS5_21rocsparse_index_base_b
                                        ; -- End function
	.set _ZN9rocsparseL23gebsrmvn_general_kernelILj48ELj16E21rocsparse_complex_numIdEEEvi20rocsparse_direction_NS_24const_host_device_scalarIT1_EEPKiS8_PKS5_iiSA_S6_PS5_21rocsparse_index_base_b.num_vgpr, 31
	.set _ZN9rocsparseL23gebsrmvn_general_kernelILj48ELj16E21rocsparse_complex_numIdEEEvi20rocsparse_direction_NS_24const_host_device_scalarIT1_EEPKiS8_PKS5_iiSA_S6_PS5_21rocsparse_index_base_b.num_agpr, 0
	.set _ZN9rocsparseL23gebsrmvn_general_kernelILj48ELj16E21rocsparse_complex_numIdEEEvi20rocsparse_direction_NS_24const_host_device_scalarIT1_EEPKiS8_PKS5_iiSA_S6_PS5_21rocsparse_index_base_b.numbered_sgpr, 28
	.set _ZN9rocsparseL23gebsrmvn_general_kernelILj48ELj16E21rocsparse_complex_numIdEEEvi20rocsparse_direction_NS_24const_host_device_scalarIT1_EEPKiS8_PKS5_iiSA_S6_PS5_21rocsparse_index_base_b.num_named_barrier, 0
	.set _ZN9rocsparseL23gebsrmvn_general_kernelILj48ELj16E21rocsparse_complex_numIdEEEvi20rocsparse_direction_NS_24const_host_device_scalarIT1_EEPKiS8_PKS5_iiSA_S6_PS5_21rocsparse_index_base_b.private_seg_size, 0
	.set _ZN9rocsparseL23gebsrmvn_general_kernelILj48ELj16E21rocsparse_complex_numIdEEEvi20rocsparse_direction_NS_24const_host_device_scalarIT1_EEPKiS8_PKS5_iiSA_S6_PS5_21rocsparse_index_base_b.uses_vcc, 1
	.set _ZN9rocsparseL23gebsrmvn_general_kernelILj48ELj16E21rocsparse_complex_numIdEEEvi20rocsparse_direction_NS_24const_host_device_scalarIT1_EEPKiS8_PKS5_iiSA_S6_PS5_21rocsparse_index_base_b.uses_flat_scratch, 0
	.set _ZN9rocsparseL23gebsrmvn_general_kernelILj48ELj16E21rocsparse_complex_numIdEEEvi20rocsparse_direction_NS_24const_host_device_scalarIT1_EEPKiS8_PKS5_iiSA_S6_PS5_21rocsparse_index_base_b.has_dyn_sized_stack, 0
	.set _ZN9rocsparseL23gebsrmvn_general_kernelILj48ELj16E21rocsparse_complex_numIdEEEvi20rocsparse_direction_NS_24const_host_device_scalarIT1_EEPKiS8_PKS5_iiSA_S6_PS5_21rocsparse_index_base_b.has_recursion, 0
	.set _ZN9rocsparseL23gebsrmvn_general_kernelILj48ELj16E21rocsparse_complex_numIdEEEvi20rocsparse_direction_NS_24const_host_device_scalarIT1_EEPKiS8_PKS5_iiSA_S6_PS5_21rocsparse_index_base_b.has_indirect_call, 0
	.section	.AMDGPU.csdata,"",@progbits
; Kernel info:
; codeLenInByte = 1292
; TotalNumSgprs: 30
; NumVgprs: 31
; ScratchSize: 0
; MemoryBound: 0
; FloatMode: 240
; IeeeMode: 1
; LDSByteSize: 0 bytes/workgroup (compile time only)
; SGPRBlocks: 0
; VGPRBlocks: 3
; NumSGPRsForWavesPerEU: 30
; NumVGPRsForWavesPerEU: 31
; Occupancy: 16
; WaveLimiterHint : 1
; COMPUTE_PGM_RSRC2:SCRATCH_EN: 0
; COMPUTE_PGM_RSRC2:USER_SGPR: 6
; COMPUTE_PGM_RSRC2:TRAP_HANDLER: 0
; COMPUTE_PGM_RSRC2:TGID_X_EN: 1
; COMPUTE_PGM_RSRC2:TGID_Y_EN: 0
; COMPUTE_PGM_RSRC2:TGID_Z_EN: 0
; COMPUTE_PGM_RSRC2:TIDIG_COMP_CNT: 0
	.section	.text._ZN9rocsparseL23gebsrmvn_general_kernelILj96ELj32E21rocsparse_complex_numIdEEEvi20rocsparse_direction_NS_24const_host_device_scalarIT1_EEPKiS8_PKS5_iiSA_S6_PS5_21rocsparse_index_base_b,"axG",@progbits,_ZN9rocsparseL23gebsrmvn_general_kernelILj96ELj32E21rocsparse_complex_numIdEEEvi20rocsparse_direction_NS_24const_host_device_scalarIT1_EEPKiS8_PKS5_iiSA_S6_PS5_21rocsparse_index_base_b,comdat
	.globl	_ZN9rocsparseL23gebsrmvn_general_kernelILj96ELj32E21rocsparse_complex_numIdEEEvi20rocsparse_direction_NS_24const_host_device_scalarIT1_EEPKiS8_PKS5_iiSA_S6_PS5_21rocsparse_index_base_b ; -- Begin function _ZN9rocsparseL23gebsrmvn_general_kernelILj96ELj32E21rocsparse_complex_numIdEEEvi20rocsparse_direction_NS_24const_host_device_scalarIT1_EEPKiS8_PKS5_iiSA_S6_PS5_21rocsparse_index_base_b
	.p2align	8
	.type	_ZN9rocsparseL23gebsrmvn_general_kernelILj96ELj32E21rocsparse_complex_numIdEEEvi20rocsparse_direction_NS_24const_host_device_scalarIT1_EEPKiS8_PKS5_iiSA_S6_PS5_21rocsparse_index_base_b,@function
_ZN9rocsparseL23gebsrmvn_general_kernelILj96ELj32E21rocsparse_complex_numIdEEEvi20rocsparse_direction_NS_24const_host_device_scalarIT1_EEPKiS8_PKS5_iiSA_S6_PS5_21rocsparse_index_base_b: ; @_ZN9rocsparseL23gebsrmvn_general_kernelILj96ELj32E21rocsparse_complex_numIdEEEvi20rocsparse_direction_NS_24const_host_device_scalarIT1_EEPKiS8_PKS5_iiSA_S6_PS5_21rocsparse_index_base_b
; %bb.0:
	s_clause 0x1
	s_load_dwordx2 s[12:13], s[4:5], 0x58
	s_load_dwordx2 s[0:1], s[4:5], 0x8
	s_add_u32 s7, s4, 8
	s_addc_u32 s8, s5, 0
	s_add_u32 s9, s4, 64
	s_addc_u32 s10, s5, 0
	s_load_dwordx2 s[2:3], s[4:5], 0x40
	s_waitcnt lgkmcnt(0)
	s_bitcmp1_b32 s13, 0
	s_cselect_b32 s0, s7, s0
	s_cselect_b32 s1, s8, s1
	v_mov_b32_e32 v1, s0
	v_mov_b32_e32 v2, s1
	s_cselect_b32 s0, s9, s2
	s_cselect_b32 s1, s10, s3
	v_mov_b32_e32 v5, s0
	v_mov_b32_e32 v6, s1
	flat_load_dwordx4 v[1:4], v[1:2]
	flat_load_dwordx4 v[5:8], v[5:6]
	s_waitcnt vmcnt(1) lgkmcnt(1)
	v_cmp_eq_f64_e32 vcc_lo, 0, v[1:2]
	v_cmp_eq_f64_e64 s0, 0, v[3:4]
	s_and_b32 s2, vcc_lo, s0
	s_mov_b32 s0, -1
	s_and_saveexec_b32 s1, s2
	s_cbranch_execz .LBB147_2
; %bb.1:
	s_waitcnt vmcnt(0) lgkmcnt(0)
	v_cmp_neq_f64_e32 vcc_lo, 1.0, v[5:6]
	v_cmp_neq_f64_e64 s0, 0, v[7:8]
	s_or_b32 s0, vcc_lo, s0
	s_orn2_b32 s0, s0, exec_lo
.LBB147_2:
	s_or_b32 exec_lo, exec_lo, s1
	s_and_saveexec_b32 s1, s0
	s_cbranch_execz .LBB147_22
; %bb.3:
	s_load_dwordx2 s[14:15], s[4:5], 0x30
	v_lshrrev_b32_e32 v13, 5, v0
	s_waitcnt lgkmcnt(0)
	v_cmp_gt_i32_e32 vcc_lo, s14, v13
	s_and_b32 exec_lo, exec_lo, vcc_lo
	s_cbranch_execz .LBB147_22
; %bb.4:
	s_clause 0x1
	s_load_dwordx4 s[8:11], s[4:5], 0x18
	s_load_dword s3, s[4:5], 0x4
	v_mbcnt_lo_u32_b32 v11, -1, 0
	s_ashr_i32 s7, s6, 31
	s_waitcnt vmcnt(0)
	v_cmp_eq_f64_e32 vcc_lo, 0, v[5:6]
	s_lshl_b64 s[0:1], s[6:7], 2
	v_cmp_eq_f64_e64 s2, 0, v[7:8]
	v_xor_b32_e32 v9, 16, v11
	v_xor_b32_e32 v10, 8, v11
	;; [unrolled: 1-line block ×5, first 2 shown]
	v_and_b32_e32 v0, 31, v0
	s_mov_b32 s7, 0
	s_mul_i32 s6, s14, s6
	s_mul_i32 s22, s15, 3
	;; [unrolled: 1-line block ×3, first 2 shown]
	s_waitcnt lgkmcnt(0)
	s_add_u32 s0, s8, s0
	s_addc_u32 s1, s9, s1
	s_clause 0x2
	s_load_dwordx2 s[8:9], s[4:5], 0x50
	s_load_dwordx2 s[16:17], s[4:5], 0x28
	;; [unrolled: 1-line block ×4, first 2 shown]
	v_cmp_gt_i32_e64 s1, 32, v9
	v_cmp_gt_i32_e64 s0, s15, v0
	v_cndmask_b32_e64 v16, v11, v9, s1
	v_cmp_gt_i32_e64 s1, 32, v10
	v_lshlrev_b32_e32 v18, 2, v16
	v_cndmask_b32_e64 v17, v11, v10, s1
	v_cmp_gt_i32_e64 s1, 32, v12
	v_lshlrev_b32_e32 v19, 2, v17
	v_cndmask_b32_e64 v12, v11, v12, s1
	v_cmp_gt_i32_e64 s1, 32, v14
	s_waitcnt lgkmcnt(0)
	s_sub_i32 s13, s20, s12
	s_sub_i32 s18, s21, s12
	s_cmp_lt_i32 s20, s21
	v_lshlrev_b32_e32 v20, 2, v12
	v_cndmask_b32_e64 v14, v11, v14, s1
	v_cmp_gt_i32_e64 s1, 32, v15
	s_cselect_b32 s19, -1, 0
	s_cmp_lg_u32 s3, 0
	v_mad_u64_u32 v[9:10], null, s14, s13, v[13:14]
	v_cndmask_b32_e64 v10, v11, v15, s1
	v_lshlrev_b32_e32 v21, 2, v14
	v_cmp_eq_u32_e64 s1, 31, v0
	s_cselect_b32 s20, -1, 0
	s_and_b32 s21, vcc_lo, s2
	v_lshlrev_b32_e32 v22, 2, v10
	v_mul_lo_u32 v23, s15, v9
	s_branch .LBB147_6
.LBB147_5:                              ;   in Loop: Header=BB147_6 Depth=1
	s_or_b32 exec_lo, exec_lo, s2
	v_add_nc_u32_e32 v13, 3, v13
	v_add_nc_u32_e32 v23, s22, v23
	v_cmp_le_i32_e32 vcc_lo, s14, v13
	s_or_b32 s7, vcc_lo, s7
	s_andn2_b32 exec_lo, exec_lo, s7
	s_cbranch_execz .LBB147_22
.LBB147_6:                              ; =>This Loop Header: Depth=1
                                        ;     Child Loop BB147_10 Depth 2
                                        ;       Child Loop BB147_13 Depth 3
	v_mov_b32_e32 v9, 0
	v_mov_b32_e32 v11, 0
	;; [unrolled: 1-line block ×4, first 2 shown]
	s_andn2_b32 vcc_lo, exec_lo, s19
	s_cbranch_vccnz .LBB147_17
; %bb.7:                                ;   in Loop: Header=BB147_6 Depth=1
	v_mov_b32_e32 v9, 0
	v_mov_b32_e32 v11, 0
	;; [unrolled: 1-line block ×4, first 2 shown]
	s_waitcnt lgkmcnt(1)
	v_mov_b32_e32 v16, v23
	s_mov_b32 s2, s13
	s_branch .LBB147_10
.LBB147_8:                              ;   in Loop: Header=BB147_10 Depth=2
	s_inst_prefetch 0x2
	s_or_b32 exec_lo, exec_lo, s25
.LBB147_9:                              ;   in Loop: Header=BB147_10 Depth=2
	s_or_b32 exec_lo, exec_lo, s24
	v_add_nc_u32_e32 v16, s23, v16
	s_add_i32 s2, s2, 1
	s_cmp_ge_i32 s2, s18
	s_cbranch_scc1 .LBB147_17
.LBB147_10:                             ;   Parent Loop BB147_6 Depth=1
                                        ; =>  This Loop Header: Depth=2
                                        ;       Child Loop BB147_13 Depth 3
	s_and_saveexec_b32 s24, s0
	s_cbranch_execz .LBB147_9
; %bb.11:                               ;   in Loop: Header=BB147_10 Depth=2
	s_ashr_i32 s3, s2, 31
	s_waitcnt lgkmcnt(0)
	v_mov_b32_e32 v17, v0
	s_lshl_b64 s[26:27], s[2:3], 2
	s_mov_b32 s25, 0
	s_add_u32 s26, s10, s26
	s_addc_u32 s27, s11, s27
	s_load_dword s3, s[26:27], 0x0
	s_waitcnt lgkmcnt(0)
	s_sub_i32 s26, s3, s12
	s_mul_i32 s3, s2, s15
	s_mul_i32 s26, s26, s15
	s_inst_prefetch 0x1
	s_branch .LBB147_13
	.p2align	6
.LBB147_12:                             ;   in Loop: Header=BB147_13 Depth=3
	v_add_nc_u32_e32 v24, s26, v17
	v_ashrrev_i32_e32 v15, 31, v14
	v_add_nc_u32_e32 v17, 32, v17
	v_ashrrev_i32_e32 v25, 31, v24
	v_lshlrev_b64 v[14:15], 4, v[14:15]
	v_lshlrev_b64 v[24:25], 4, v[24:25]
	v_add_co_u32 v14, vcc_lo, s16, v14
	v_add_co_ci_u32_e64 v15, null, s17, v15, vcc_lo
	v_add_co_u32 v28, vcc_lo, s4, v24
	v_add_co_ci_u32_e64 v29, null, s5, v25, vcc_lo
	v_cmp_le_i32_e32 vcc_lo, s15, v17
	global_load_dwordx4 v[24:27], v[14:15], off
	global_load_dwordx4 v[28:31], v[28:29], off
	s_or_b32 s25, vcc_lo, s25
	s_waitcnt vmcnt(0)
	v_fma_f64 v[11:12], v[24:25], v[28:29], v[11:12]
	v_fma_f64 v[9:10], v[26:27], v[28:29], v[9:10]
	v_fma_f64 v[11:12], -v[26:27], v[30:31], v[11:12]
	v_fma_f64 v[9:10], v[24:25], v[30:31], v[9:10]
	s_andn2_b32 exec_lo, exec_lo, s25
	s_cbranch_execz .LBB147_8
.LBB147_13:                             ;   Parent Loop BB147_6 Depth=1
                                        ;     Parent Loop BB147_10 Depth=2
                                        ; =>    This Inner Loop Header: Depth=3
	s_and_b32 vcc_lo, exec_lo, s20
	s_cbranch_vccz .LBB147_15
; %bb.14:                               ;   in Loop: Header=BB147_13 Depth=3
	v_add_nc_u32_e32 v14, s3, v17
	v_mad_u64_u32 v[14:15], null, v14, s14, v[13:14]
	s_cbranch_execnz .LBB147_12
	s_branch .LBB147_16
.LBB147_15:                             ;   in Loop: Header=BB147_13 Depth=3
                                        ; implicit-def: $vgpr14
.LBB147_16:                             ;   in Loop: Header=BB147_13 Depth=3
	v_add_nc_u32_e32 v14, v16, v17
	s_branch .LBB147_12
.LBB147_17:                             ;   in Loop: Header=BB147_6 Depth=1
	s_waitcnt lgkmcnt(3)
	ds_bpermute_b32 v14, v18, v11
	s_waitcnt lgkmcnt(3)
	ds_bpermute_b32 v15, v18, v12
	;; [unrolled: 2-line block ×4, first 2 shown]
	s_waitcnt lgkmcnt(2)
	v_add_f64 v[11:12], v[11:12], v[14:15]
	s_waitcnt lgkmcnt(0)
	v_add_f64 v[9:10], v[9:10], v[16:17]
	ds_bpermute_b32 v14, v19, v11
	ds_bpermute_b32 v15, v19, v12
	ds_bpermute_b32 v16, v19, v9
	ds_bpermute_b32 v17, v19, v10
	s_waitcnt lgkmcnt(2)
	v_add_f64 v[11:12], v[11:12], v[14:15]
	s_waitcnt lgkmcnt(0)
	v_add_f64 v[9:10], v[9:10], v[16:17]
	ds_bpermute_b32 v14, v20, v11
	ds_bpermute_b32 v15, v20, v12
	ds_bpermute_b32 v16, v20, v9
	ds_bpermute_b32 v17, v20, v10
	;; [unrolled: 8-line block ×4, first 2 shown]
	s_and_saveexec_b32 s2, s1
	s_cbranch_execz .LBB147_5
; %bb.18:                               ;   in Loop: Header=BB147_6 Depth=1
	s_waitcnt lgkmcnt(0)
	v_add_f64 v[11:12], v[11:12], v[16:17]
	v_add_f64 v[14:15], v[9:10], v[14:15]
	v_mul_f64 v[9:10], v[11:12], -v[3:4]
	v_mul_f64 v[11:12], v[1:2], v[11:12]
	v_fma_f64 v[9:10], v[1:2], v[14:15], v[9:10]
	v_fma_f64 v[11:12], v[3:4], v[14:15], v[11:12]
	v_add_nc_u32_e32 v14, s6, v13
	v_ashrrev_i32_e32 v15, 31, v14
	s_and_saveexec_b32 s3, s21
	s_xor_b32 s3, exec_lo, s3
	s_cbranch_execz .LBB147_20
; %bb.19:                               ;   in Loop: Header=BB147_6 Depth=1
	v_lshlrev_b64 v[14:15], 4, v[14:15]
	v_add_co_u32 v14, vcc_lo, s8, v14
	v_add_co_ci_u32_e64 v15, null, s9, v15, vcc_lo
	global_store_dwordx4 v[14:15], v[9:12], off
                                        ; implicit-def: $vgpr14
                                        ; implicit-def: $vgpr9_vgpr10
.LBB147_20:                             ;   in Loop: Header=BB147_6 Depth=1
	s_andn2_saveexec_b32 s3, s3
	s_cbranch_execz .LBB147_5
; %bb.21:                               ;   in Loop: Header=BB147_6 Depth=1
	v_lshlrev_b64 v[14:15], 4, v[14:15]
	v_add_co_u32 v24, vcc_lo, s8, v14
	v_add_co_ci_u32_e64 v25, null, s9, v15, vcc_lo
	global_load_dwordx4 v[14:17], v[24:25], off
	s_waitcnt vmcnt(0)
	v_fma_f64 v[9:10], v[5:6], v[14:15], v[9:10]
	v_fma_f64 v[11:12], v[7:8], v[14:15], v[11:12]
	v_fma_f64 v[9:10], -v[7:8], v[16:17], v[9:10]
	v_fma_f64 v[11:12], v[5:6], v[16:17], v[11:12]
	global_store_dwordx4 v[24:25], v[9:12], off
	s_branch .LBB147_5
.LBB147_22:
	s_endpgm
	.section	.rodata,"a",@progbits
	.p2align	6, 0x0
	.amdhsa_kernel _ZN9rocsparseL23gebsrmvn_general_kernelILj96ELj32E21rocsparse_complex_numIdEEEvi20rocsparse_direction_NS_24const_host_device_scalarIT1_EEPKiS8_PKS5_iiSA_S6_PS5_21rocsparse_index_base_b
		.amdhsa_group_segment_fixed_size 0
		.amdhsa_private_segment_fixed_size 0
		.amdhsa_kernarg_size 96
		.amdhsa_user_sgpr_count 6
		.amdhsa_user_sgpr_private_segment_buffer 1
		.amdhsa_user_sgpr_dispatch_ptr 0
		.amdhsa_user_sgpr_queue_ptr 0
		.amdhsa_user_sgpr_kernarg_segment_ptr 1
		.amdhsa_user_sgpr_dispatch_id 0
		.amdhsa_user_sgpr_flat_scratch_init 0
		.amdhsa_user_sgpr_private_segment_size 0
		.amdhsa_wavefront_size32 1
		.amdhsa_uses_dynamic_stack 0
		.amdhsa_system_sgpr_private_segment_wavefront_offset 0
		.amdhsa_system_sgpr_workgroup_id_x 1
		.amdhsa_system_sgpr_workgroup_id_y 0
		.amdhsa_system_sgpr_workgroup_id_z 0
		.amdhsa_system_sgpr_workgroup_info 0
		.amdhsa_system_vgpr_workitem_id 0
		.amdhsa_next_free_vgpr 32
		.amdhsa_next_free_sgpr 28
		.amdhsa_reserve_vcc 1
		.amdhsa_reserve_flat_scratch 0
		.amdhsa_float_round_mode_32 0
		.amdhsa_float_round_mode_16_64 0
		.amdhsa_float_denorm_mode_32 3
		.amdhsa_float_denorm_mode_16_64 3
		.amdhsa_dx10_clamp 1
		.amdhsa_ieee_mode 1
		.amdhsa_fp16_overflow 0
		.amdhsa_workgroup_processor_mode 1
		.amdhsa_memory_ordered 1
		.amdhsa_forward_progress 1
		.amdhsa_shared_vgpr_count 0
		.amdhsa_exception_fp_ieee_invalid_op 0
		.amdhsa_exception_fp_denorm_src 0
		.amdhsa_exception_fp_ieee_div_zero 0
		.amdhsa_exception_fp_ieee_overflow 0
		.amdhsa_exception_fp_ieee_underflow 0
		.amdhsa_exception_fp_ieee_inexact 0
		.amdhsa_exception_int_div_zero 0
	.end_amdhsa_kernel
	.section	.text._ZN9rocsparseL23gebsrmvn_general_kernelILj96ELj32E21rocsparse_complex_numIdEEEvi20rocsparse_direction_NS_24const_host_device_scalarIT1_EEPKiS8_PKS5_iiSA_S6_PS5_21rocsparse_index_base_b,"axG",@progbits,_ZN9rocsparseL23gebsrmvn_general_kernelILj96ELj32E21rocsparse_complex_numIdEEEvi20rocsparse_direction_NS_24const_host_device_scalarIT1_EEPKiS8_PKS5_iiSA_S6_PS5_21rocsparse_index_base_b,comdat
.Lfunc_end147:
	.size	_ZN9rocsparseL23gebsrmvn_general_kernelILj96ELj32E21rocsparse_complex_numIdEEEvi20rocsparse_direction_NS_24const_host_device_scalarIT1_EEPKiS8_PKS5_iiSA_S6_PS5_21rocsparse_index_base_b, .Lfunc_end147-_ZN9rocsparseL23gebsrmvn_general_kernelILj96ELj32E21rocsparse_complex_numIdEEEvi20rocsparse_direction_NS_24const_host_device_scalarIT1_EEPKiS8_PKS5_iiSA_S6_PS5_21rocsparse_index_base_b
                                        ; -- End function
	.set _ZN9rocsparseL23gebsrmvn_general_kernelILj96ELj32E21rocsparse_complex_numIdEEEvi20rocsparse_direction_NS_24const_host_device_scalarIT1_EEPKiS8_PKS5_iiSA_S6_PS5_21rocsparse_index_base_b.num_vgpr, 32
	.set _ZN9rocsparseL23gebsrmvn_general_kernelILj96ELj32E21rocsparse_complex_numIdEEEvi20rocsparse_direction_NS_24const_host_device_scalarIT1_EEPKiS8_PKS5_iiSA_S6_PS5_21rocsparse_index_base_b.num_agpr, 0
	.set _ZN9rocsparseL23gebsrmvn_general_kernelILj96ELj32E21rocsparse_complex_numIdEEEvi20rocsparse_direction_NS_24const_host_device_scalarIT1_EEPKiS8_PKS5_iiSA_S6_PS5_21rocsparse_index_base_b.numbered_sgpr, 28
	.set _ZN9rocsparseL23gebsrmvn_general_kernelILj96ELj32E21rocsparse_complex_numIdEEEvi20rocsparse_direction_NS_24const_host_device_scalarIT1_EEPKiS8_PKS5_iiSA_S6_PS5_21rocsparse_index_base_b.num_named_barrier, 0
	.set _ZN9rocsparseL23gebsrmvn_general_kernelILj96ELj32E21rocsparse_complex_numIdEEEvi20rocsparse_direction_NS_24const_host_device_scalarIT1_EEPKiS8_PKS5_iiSA_S6_PS5_21rocsparse_index_base_b.private_seg_size, 0
	.set _ZN9rocsparseL23gebsrmvn_general_kernelILj96ELj32E21rocsparse_complex_numIdEEEvi20rocsparse_direction_NS_24const_host_device_scalarIT1_EEPKiS8_PKS5_iiSA_S6_PS5_21rocsparse_index_base_b.uses_vcc, 1
	.set _ZN9rocsparseL23gebsrmvn_general_kernelILj96ELj32E21rocsparse_complex_numIdEEEvi20rocsparse_direction_NS_24const_host_device_scalarIT1_EEPKiS8_PKS5_iiSA_S6_PS5_21rocsparse_index_base_b.uses_flat_scratch, 0
	.set _ZN9rocsparseL23gebsrmvn_general_kernelILj96ELj32E21rocsparse_complex_numIdEEEvi20rocsparse_direction_NS_24const_host_device_scalarIT1_EEPKiS8_PKS5_iiSA_S6_PS5_21rocsparse_index_base_b.has_dyn_sized_stack, 0
	.set _ZN9rocsparseL23gebsrmvn_general_kernelILj96ELj32E21rocsparse_complex_numIdEEEvi20rocsparse_direction_NS_24const_host_device_scalarIT1_EEPKiS8_PKS5_iiSA_S6_PS5_21rocsparse_index_base_b.has_recursion, 0
	.set _ZN9rocsparseL23gebsrmvn_general_kernelILj96ELj32E21rocsparse_complex_numIdEEEvi20rocsparse_direction_NS_24const_host_device_scalarIT1_EEPKiS8_PKS5_iiSA_S6_PS5_21rocsparse_index_base_b.has_indirect_call, 0
	.section	.AMDGPU.csdata,"",@progbits
; Kernel info:
; codeLenInByte = 1348
; TotalNumSgprs: 30
; NumVgprs: 32
; ScratchSize: 0
; MemoryBound: 0
; FloatMode: 240
; IeeeMode: 1
; LDSByteSize: 0 bytes/workgroup (compile time only)
; SGPRBlocks: 0
; VGPRBlocks: 3
; NumSGPRsForWavesPerEU: 30
; NumVGPRsForWavesPerEU: 32
; Occupancy: 16
; WaveLimiterHint : 1
; COMPUTE_PGM_RSRC2:SCRATCH_EN: 0
; COMPUTE_PGM_RSRC2:USER_SGPR: 6
; COMPUTE_PGM_RSRC2:TRAP_HANDLER: 0
; COMPUTE_PGM_RSRC2:TGID_X_EN: 1
; COMPUTE_PGM_RSRC2:TGID_Y_EN: 0
; COMPUTE_PGM_RSRC2:TGID_Z_EN: 0
; COMPUTE_PGM_RSRC2:TIDIG_COMP_CNT: 0
	.section	.AMDGPU.gpr_maximums,"",@progbits
	.set amdgpu.max_num_vgpr, 0
	.set amdgpu.max_num_agpr, 0
	.set amdgpu.max_num_sgpr, 0
	.section	.AMDGPU.csdata,"",@progbits
	.type	__hip_cuid_f4c2799f79e0e3d2,@object ; @__hip_cuid_f4c2799f79e0e3d2
	.section	.bss,"aw",@nobits
	.globl	__hip_cuid_f4c2799f79e0e3d2
__hip_cuid_f4c2799f79e0e3d2:
	.byte	0                               ; 0x0
	.size	__hip_cuid_f4c2799f79e0e3d2, 1

	.ident	"AMD clang version 22.0.0git (https://github.com/RadeonOpenCompute/llvm-project roc-7.2.4 26084 f58b06dce1f9c15707c5f808fd002e18c2accf7e)"
	.section	".note.GNU-stack","",@progbits
	.addrsig
	.addrsig_sym __hip_cuid_f4c2799f79e0e3d2
	.amdgpu_metadata
---
amdhsa.kernels:
  - .args:
      - .offset:         0
        .size:           4
        .value_kind:     by_value
      - .offset:         4
        .size:           4
        .value_kind:     by_value
      - .offset:         8
        .size:           8
        .value_kind:     by_value
      - .actual_access:  read_only
        .address_space:  global
        .offset:         16
        .size:           8
        .value_kind:     global_buffer
      - .actual_access:  read_only
        .address_space:  global
        .offset:         24
        .size:           8
        .value_kind:     global_buffer
      - .actual_access:  read_only
        .address_space:  global
        .offset:         32
        .size:           8
        .value_kind:     global_buffer
      - .actual_access:  read_only
        .address_space:  global
        .offset:         40
        .size:           8
        .value_kind:     global_buffer
      - .offset:         48
        .size:           8
        .value_kind:     by_value
      - .address_space:  global
        .offset:         56
        .size:           8
        .value_kind:     global_buffer
      - .offset:         64
        .size:           4
        .value_kind:     by_value
      - .offset:         68
        .size:           1
        .value_kind:     by_value
    .group_segment_fixed_size: 0
    .kernarg_segment_align: 8
    .kernarg_segment_size: 72
    .language:       OpenCL C
    .language_version:
      - 2
      - 0
    .max_flat_workgroup_size: 128
    .name:           _ZN9rocsparseL19gebsrmvn_3xn_kernelILj128ELj1ELj4EfEEvi20rocsparse_direction_NS_24const_host_device_scalarIT2_EEPKiS6_PKS3_S8_S4_PS3_21rocsparse_index_base_b
    .private_segment_fixed_size: 0
    .sgpr_count:     22
    .sgpr_spill_count: 0
    .symbol:         _ZN9rocsparseL19gebsrmvn_3xn_kernelILj128ELj1ELj4EfEEvi20rocsparse_direction_NS_24const_host_device_scalarIT2_EEPKiS6_PKS3_S8_S4_PS3_21rocsparse_index_base_b.kd
    .uniform_work_group_size: 1
    .uses_dynamic_stack: false
    .vgpr_count:     19
    .vgpr_spill_count: 0
    .wavefront_size: 32
    .workgroup_processor_mode: 1
  - .args:
      - .offset:         0
        .size:           4
        .value_kind:     by_value
      - .offset:         4
        .size:           4
        .value_kind:     by_value
      - .offset:         8
        .size:           8
        .value_kind:     by_value
      - .actual_access:  read_only
        .address_space:  global
        .offset:         16
        .size:           8
        .value_kind:     global_buffer
      - .actual_access:  read_only
        .address_space:  global
        .offset:         24
        .size:           8
        .value_kind:     global_buffer
      - .actual_access:  read_only
        .address_space:  global
        .offset:         32
        .size:           8
        .value_kind:     global_buffer
      - .actual_access:  read_only
        .address_space:  global
        .offset:         40
        .size:           8
        .value_kind:     global_buffer
      - .offset:         48
        .size:           8
        .value_kind:     by_value
      - .address_space:  global
        .offset:         56
        .size:           8
        .value_kind:     global_buffer
      - .offset:         64
        .size:           4
        .value_kind:     by_value
      - .offset:         68
        .size:           1
        .value_kind:     by_value
    .group_segment_fixed_size: 0
    .kernarg_segment_align: 8
    .kernarg_segment_size: 72
    .language:       OpenCL C
    .language_version:
      - 2
      - 0
    .max_flat_workgroup_size: 128
    .name:           _ZN9rocsparseL19gebsrmvn_3xn_kernelILj128ELj1ELj8EfEEvi20rocsparse_direction_NS_24const_host_device_scalarIT2_EEPKiS6_PKS3_S8_S4_PS3_21rocsparse_index_base_b
    .private_segment_fixed_size: 0
    .sgpr_count:     22
    .sgpr_spill_count: 0
    .symbol:         _ZN9rocsparseL19gebsrmvn_3xn_kernelILj128ELj1ELj8EfEEvi20rocsparse_direction_NS_24const_host_device_scalarIT2_EEPKiS6_PKS3_S8_S4_PS3_21rocsparse_index_base_b.kd
    .uniform_work_group_size: 1
    .uses_dynamic_stack: false
    .vgpr_count:     19
    .vgpr_spill_count: 0
    .wavefront_size: 32
    .workgroup_processor_mode: 1
  - .args:
      - .offset:         0
        .size:           4
        .value_kind:     by_value
      - .offset:         4
        .size:           4
        .value_kind:     by_value
      - .offset:         8
        .size:           8
        .value_kind:     by_value
      - .actual_access:  read_only
        .address_space:  global
        .offset:         16
        .size:           8
        .value_kind:     global_buffer
      - .actual_access:  read_only
        .address_space:  global
        .offset:         24
        .size:           8
        .value_kind:     global_buffer
      - .actual_access:  read_only
        .address_space:  global
        .offset:         32
        .size:           8
        .value_kind:     global_buffer
      - .actual_access:  read_only
        .address_space:  global
        .offset:         40
        .size:           8
        .value_kind:     global_buffer
      - .offset:         48
        .size:           8
        .value_kind:     by_value
      - .address_space:  global
        .offset:         56
        .size:           8
        .value_kind:     global_buffer
      - .offset:         64
        .size:           4
        .value_kind:     by_value
      - .offset:         68
        .size:           1
        .value_kind:     by_value
    .group_segment_fixed_size: 0
    .kernarg_segment_align: 8
    .kernarg_segment_size: 72
    .language:       OpenCL C
    .language_version:
      - 2
      - 0
    .max_flat_workgroup_size: 128
    .name:           _ZN9rocsparseL19gebsrmvn_3xn_kernelILj128ELj1ELj16EfEEvi20rocsparse_direction_NS_24const_host_device_scalarIT2_EEPKiS6_PKS3_S8_S4_PS3_21rocsparse_index_base_b
    .private_segment_fixed_size: 0
    .sgpr_count:     22
    .sgpr_spill_count: 0
    .symbol:         _ZN9rocsparseL19gebsrmvn_3xn_kernelILj128ELj1ELj16EfEEvi20rocsparse_direction_NS_24const_host_device_scalarIT2_EEPKiS6_PKS3_S8_S4_PS3_21rocsparse_index_base_b.kd
    .uniform_work_group_size: 1
    .uses_dynamic_stack: false
    .vgpr_count:     19
    .vgpr_spill_count: 0
    .wavefront_size: 32
    .workgroup_processor_mode: 1
  - .args:
      - .offset:         0
        .size:           4
        .value_kind:     by_value
      - .offset:         4
        .size:           4
        .value_kind:     by_value
      - .offset:         8
        .size:           8
        .value_kind:     by_value
      - .actual_access:  read_only
        .address_space:  global
        .offset:         16
        .size:           8
        .value_kind:     global_buffer
      - .actual_access:  read_only
        .address_space:  global
        .offset:         24
        .size:           8
        .value_kind:     global_buffer
      - .actual_access:  read_only
        .address_space:  global
        .offset:         32
        .size:           8
        .value_kind:     global_buffer
      - .actual_access:  read_only
        .address_space:  global
        .offset:         40
        .size:           8
        .value_kind:     global_buffer
      - .offset:         48
        .size:           8
        .value_kind:     by_value
      - .address_space:  global
        .offset:         56
        .size:           8
        .value_kind:     global_buffer
      - .offset:         64
        .size:           4
        .value_kind:     by_value
      - .offset:         68
        .size:           1
        .value_kind:     by_value
    .group_segment_fixed_size: 0
    .kernarg_segment_align: 8
    .kernarg_segment_size: 72
    .language:       OpenCL C
    .language_version:
      - 2
      - 0
    .max_flat_workgroup_size: 128
    .name:           _ZN9rocsparseL19gebsrmvn_3xn_kernelILj128ELj1ELj32EfEEvi20rocsparse_direction_NS_24const_host_device_scalarIT2_EEPKiS6_PKS3_S8_S4_PS3_21rocsparse_index_base_b
    .private_segment_fixed_size: 0
    .sgpr_count:     22
    .sgpr_spill_count: 0
    .symbol:         _ZN9rocsparseL19gebsrmvn_3xn_kernelILj128ELj1ELj32EfEEvi20rocsparse_direction_NS_24const_host_device_scalarIT2_EEPKiS6_PKS3_S8_S4_PS3_21rocsparse_index_base_b.kd
    .uniform_work_group_size: 1
    .uses_dynamic_stack: false
    .vgpr_count:     19
    .vgpr_spill_count: 0
    .wavefront_size: 32
    .workgroup_processor_mode: 1
  - .args:
      - .offset:         0
        .size:           4
        .value_kind:     by_value
      - .offset:         4
        .size:           4
        .value_kind:     by_value
      - .offset:         8
        .size:           8
        .value_kind:     by_value
      - .actual_access:  read_only
        .address_space:  global
        .offset:         16
        .size:           8
        .value_kind:     global_buffer
      - .actual_access:  read_only
        .address_space:  global
        .offset:         24
        .size:           8
        .value_kind:     global_buffer
      - .actual_access:  read_only
        .address_space:  global
        .offset:         32
        .size:           8
        .value_kind:     global_buffer
      - .actual_access:  read_only
        .address_space:  global
        .offset:         40
        .size:           8
        .value_kind:     global_buffer
      - .offset:         48
        .size:           8
        .value_kind:     by_value
      - .address_space:  global
        .offset:         56
        .size:           8
        .value_kind:     global_buffer
      - .offset:         64
        .size:           4
        .value_kind:     by_value
      - .offset:         68
        .size:           1
        .value_kind:     by_value
    .group_segment_fixed_size: 0
    .kernarg_segment_align: 8
    .kernarg_segment_size: 72
    .language:       OpenCL C
    .language_version:
      - 2
      - 0
    .max_flat_workgroup_size: 128
    .name:           _ZN9rocsparseL19gebsrmvn_3xn_kernelILj128ELj1ELj64EfEEvi20rocsparse_direction_NS_24const_host_device_scalarIT2_EEPKiS6_PKS3_S8_S4_PS3_21rocsparse_index_base_b
    .private_segment_fixed_size: 0
    .sgpr_count:     22
    .sgpr_spill_count: 0
    .symbol:         _ZN9rocsparseL19gebsrmvn_3xn_kernelILj128ELj1ELj64EfEEvi20rocsparse_direction_NS_24const_host_device_scalarIT2_EEPKiS6_PKS3_S8_S4_PS3_21rocsparse_index_base_b.kd
    .uniform_work_group_size: 1
    .uses_dynamic_stack: false
    .vgpr_count:     19
    .vgpr_spill_count: 0
    .wavefront_size: 32
    .workgroup_processor_mode: 1
  - .args:
      - .offset:         0
        .size:           4
        .value_kind:     by_value
      - .offset:         4
        .size:           4
        .value_kind:     by_value
      - .offset:         8
        .size:           8
        .value_kind:     by_value
      - .actual_access:  read_only
        .address_space:  global
        .offset:         16
        .size:           8
        .value_kind:     global_buffer
      - .actual_access:  read_only
        .address_space:  global
        .offset:         24
        .size:           8
        .value_kind:     global_buffer
      - .actual_access:  read_only
        .address_space:  global
        .offset:         32
        .size:           8
        .value_kind:     global_buffer
      - .actual_access:  read_only
        .address_space:  global
        .offset:         40
        .size:           8
        .value_kind:     global_buffer
      - .offset:         48
        .size:           8
        .value_kind:     by_value
      - .address_space:  global
        .offset:         56
        .size:           8
        .value_kind:     global_buffer
      - .offset:         64
        .size:           4
        .value_kind:     by_value
      - .offset:         68
        .size:           1
        .value_kind:     by_value
    .group_segment_fixed_size: 0
    .kernarg_segment_align: 8
    .kernarg_segment_size: 72
    .language:       OpenCL C
    .language_version:
      - 2
      - 0
    .max_flat_workgroup_size: 128
    .name:           _ZN9rocsparseL19gebsrmvn_3xn_kernelILj128ELj2ELj4EfEEvi20rocsparse_direction_NS_24const_host_device_scalarIT2_EEPKiS6_PKS3_S8_S4_PS3_21rocsparse_index_base_b
    .private_segment_fixed_size: 0
    .sgpr_count:     22
    .sgpr_spill_count: 0
    .symbol:         _ZN9rocsparseL19gebsrmvn_3xn_kernelILj128ELj2ELj4EfEEvi20rocsparse_direction_NS_24const_host_device_scalarIT2_EEPKiS6_PKS3_S8_S4_PS3_21rocsparse_index_base_b.kd
    .uniform_work_group_size: 1
    .uses_dynamic_stack: false
    .vgpr_count:     24
    .vgpr_spill_count: 0
    .wavefront_size: 32
    .workgroup_processor_mode: 1
  - .args:
      - .offset:         0
        .size:           4
        .value_kind:     by_value
      - .offset:         4
        .size:           4
        .value_kind:     by_value
      - .offset:         8
        .size:           8
        .value_kind:     by_value
      - .actual_access:  read_only
        .address_space:  global
        .offset:         16
        .size:           8
        .value_kind:     global_buffer
      - .actual_access:  read_only
        .address_space:  global
        .offset:         24
        .size:           8
        .value_kind:     global_buffer
      - .actual_access:  read_only
        .address_space:  global
        .offset:         32
        .size:           8
        .value_kind:     global_buffer
      - .actual_access:  read_only
        .address_space:  global
        .offset:         40
        .size:           8
        .value_kind:     global_buffer
      - .offset:         48
        .size:           8
        .value_kind:     by_value
      - .address_space:  global
        .offset:         56
        .size:           8
        .value_kind:     global_buffer
      - .offset:         64
        .size:           4
        .value_kind:     by_value
      - .offset:         68
        .size:           1
        .value_kind:     by_value
    .group_segment_fixed_size: 0
    .kernarg_segment_align: 8
    .kernarg_segment_size: 72
    .language:       OpenCL C
    .language_version:
      - 2
      - 0
    .max_flat_workgroup_size: 128
    .name:           _ZN9rocsparseL19gebsrmvn_3xn_kernelILj128ELj2ELj8EfEEvi20rocsparse_direction_NS_24const_host_device_scalarIT2_EEPKiS6_PKS3_S8_S4_PS3_21rocsparse_index_base_b
    .private_segment_fixed_size: 0
    .sgpr_count:     22
    .sgpr_spill_count: 0
    .symbol:         _ZN9rocsparseL19gebsrmvn_3xn_kernelILj128ELj2ELj8EfEEvi20rocsparse_direction_NS_24const_host_device_scalarIT2_EEPKiS6_PKS3_S8_S4_PS3_21rocsparse_index_base_b.kd
    .uniform_work_group_size: 1
    .uses_dynamic_stack: false
    .vgpr_count:     24
    .vgpr_spill_count: 0
    .wavefront_size: 32
    .workgroup_processor_mode: 1
  - .args:
      - .offset:         0
        .size:           4
        .value_kind:     by_value
      - .offset:         4
        .size:           4
        .value_kind:     by_value
      - .offset:         8
        .size:           8
        .value_kind:     by_value
      - .actual_access:  read_only
        .address_space:  global
        .offset:         16
        .size:           8
        .value_kind:     global_buffer
      - .actual_access:  read_only
        .address_space:  global
        .offset:         24
        .size:           8
        .value_kind:     global_buffer
      - .actual_access:  read_only
        .address_space:  global
        .offset:         32
        .size:           8
        .value_kind:     global_buffer
      - .actual_access:  read_only
        .address_space:  global
        .offset:         40
        .size:           8
        .value_kind:     global_buffer
      - .offset:         48
        .size:           8
        .value_kind:     by_value
      - .address_space:  global
        .offset:         56
        .size:           8
        .value_kind:     global_buffer
      - .offset:         64
        .size:           4
        .value_kind:     by_value
      - .offset:         68
        .size:           1
        .value_kind:     by_value
    .group_segment_fixed_size: 0
    .kernarg_segment_align: 8
    .kernarg_segment_size: 72
    .language:       OpenCL C
    .language_version:
      - 2
      - 0
    .max_flat_workgroup_size: 128
    .name:           _ZN9rocsparseL19gebsrmvn_3xn_kernelILj128ELj2ELj16EfEEvi20rocsparse_direction_NS_24const_host_device_scalarIT2_EEPKiS6_PKS3_S8_S4_PS3_21rocsparse_index_base_b
    .private_segment_fixed_size: 0
    .sgpr_count:     22
    .sgpr_spill_count: 0
    .symbol:         _ZN9rocsparseL19gebsrmvn_3xn_kernelILj128ELj2ELj16EfEEvi20rocsparse_direction_NS_24const_host_device_scalarIT2_EEPKiS6_PKS3_S8_S4_PS3_21rocsparse_index_base_b.kd
    .uniform_work_group_size: 1
    .uses_dynamic_stack: false
    .vgpr_count:     24
    .vgpr_spill_count: 0
    .wavefront_size: 32
    .workgroup_processor_mode: 1
  - .args:
      - .offset:         0
        .size:           4
        .value_kind:     by_value
      - .offset:         4
        .size:           4
        .value_kind:     by_value
      - .offset:         8
        .size:           8
        .value_kind:     by_value
      - .actual_access:  read_only
        .address_space:  global
        .offset:         16
        .size:           8
        .value_kind:     global_buffer
      - .actual_access:  read_only
        .address_space:  global
        .offset:         24
        .size:           8
        .value_kind:     global_buffer
      - .actual_access:  read_only
        .address_space:  global
        .offset:         32
        .size:           8
        .value_kind:     global_buffer
      - .actual_access:  read_only
        .address_space:  global
        .offset:         40
        .size:           8
        .value_kind:     global_buffer
      - .offset:         48
        .size:           8
        .value_kind:     by_value
      - .address_space:  global
        .offset:         56
        .size:           8
        .value_kind:     global_buffer
      - .offset:         64
        .size:           4
        .value_kind:     by_value
      - .offset:         68
        .size:           1
        .value_kind:     by_value
    .group_segment_fixed_size: 0
    .kernarg_segment_align: 8
    .kernarg_segment_size: 72
    .language:       OpenCL C
    .language_version:
      - 2
      - 0
    .max_flat_workgroup_size: 128
    .name:           _ZN9rocsparseL19gebsrmvn_3xn_kernelILj128ELj2ELj32EfEEvi20rocsparse_direction_NS_24const_host_device_scalarIT2_EEPKiS6_PKS3_S8_S4_PS3_21rocsparse_index_base_b
    .private_segment_fixed_size: 0
    .sgpr_count:     22
    .sgpr_spill_count: 0
    .symbol:         _ZN9rocsparseL19gebsrmvn_3xn_kernelILj128ELj2ELj32EfEEvi20rocsparse_direction_NS_24const_host_device_scalarIT2_EEPKiS6_PKS3_S8_S4_PS3_21rocsparse_index_base_b.kd
    .uniform_work_group_size: 1
    .uses_dynamic_stack: false
    .vgpr_count:     24
    .vgpr_spill_count: 0
    .wavefront_size: 32
    .workgroup_processor_mode: 1
  - .args:
      - .offset:         0
        .size:           4
        .value_kind:     by_value
      - .offset:         4
        .size:           4
        .value_kind:     by_value
      - .offset:         8
        .size:           8
        .value_kind:     by_value
      - .actual_access:  read_only
        .address_space:  global
        .offset:         16
        .size:           8
        .value_kind:     global_buffer
      - .actual_access:  read_only
        .address_space:  global
        .offset:         24
        .size:           8
        .value_kind:     global_buffer
      - .actual_access:  read_only
        .address_space:  global
        .offset:         32
        .size:           8
        .value_kind:     global_buffer
      - .actual_access:  read_only
        .address_space:  global
        .offset:         40
        .size:           8
        .value_kind:     global_buffer
      - .offset:         48
        .size:           8
        .value_kind:     by_value
      - .address_space:  global
        .offset:         56
        .size:           8
        .value_kind:     global_buffer
      - .offset:         64
        .size:           4
        .value_kind:     by_value
      - .offset:         68
        .size:           1
        .value_kind:     by_value
    .group_segment_fixed_size: 0
    .kernarg_segment_align: 8
    .kernarg_segment_size: 72
    .language:       OpenCL C
    .language_version:
      - 2
      - 0
    .max_flat_workgroup_size: 128
    .name:           _ZN9rocsparseL19gebsrmvn_3xn_kernelILj128ELj2ELj64EfEEvi20rocsparse_direction_NS_24const_host_device_scalarIT2_EEPKiS6_PKS3_S8_S4_PS3_21rocsparse_index_base_b
    .private_segment_fixed_size: 0
    .sgpr_count:     22
    .sgpr_spill_count: 0
    .symbol:         _ZN9rocsparseL19gebsrmvn_3xn_kernelILj128ELj2ELj64EfEEvi20rocsparse_direction_NS_24const_host_device_scalarIT2_EEPKiS6_PKS3_S8_S4_PS3_21rocsparse_index_base_b.kd
    .uniform_work_group_size: 1
    .uses_dynamic_stack: false
    .vgpr_count:     24
    .vgpr_spill_count: 0
    .wavefront_size: 32
    .workgroup_processor_mode: 1
  - .args:
      - .offset:         0
        .size:           4
        .value_kind:     by_value
      - .offset:         4
        .size:           4
        .value_kind:     by_value
      - .offset:         8
        .size:           8
        .value_kind:     by_value
      - .actual_access:  read_only
        .address_space:  global
        .offset:         16
        .size:           8
        .value_kind:     global_buffer
      - .actual_access:  read_only
        .address_space:  global
        .offset:         24
        .size:           8
        .value_kind:     global_buffer
      - .actual_access:  read_only
        .address_space:  global
        .offset:         32
        .size:           8
        .value_kind:     global_buffer
      - .actual_access:  read_only
        .address_space:  global
        .offset:         40
        .size:           8
        .value_kind:     global_buffer
      - .offset:         48
        .size:           8
        .value_kind:     by_value
      - .address_space:  global
        .offset:         56
        .size:           8
        .value_kind:     global_buffer
      - .offset:         64
        .size:           4
        .value_kind:     by_value
      - .offset:         68
        .size:           1
        .value_kind:     by_value
    .group_segment_fixed_size: 0
    .kernarg_segment_align: 8
    .kernarg_segment_size: 72
    .language:       OpenCL C
    .language_version:
      - 2
      - 0
    .max_flat_workgroup_size: 128
    .name:           _ZN9rocsparseL19gebsrmvn_3xn_kernelILj128ELj4ELj4EfEEvi20rocsparse_direction_NS_24const_host_device_scalarIT2_EEPKiS6_PKS3_S8_S4_PS3_21rocsparse_index_base_b
    .private_segment_fixed_size: 0
    .sgpr_count:     22
    .sgpr_spill_count: 0
    .symbol:         _ZN9rocsparseL19gebsrmvn_3xn_kernelILj128ELj4ELj4EfEEvi20rocsparse_direction_NS_24const_host_device_scalarIT2_EEPKiS6_PKS3_S8_S4_PS3_21rocsparse_index_base_b.kd
    .uniform_work_group_size: 1
    .uses_dynamic_stack: false
    .vgpr_count:     32
    .vgpr_spill_count: 0
    .wavefront_size: 32
    .workgroup_processor_mode: 1
  - .args:
      - .offset:         0
        .size:           4
        .value_kind:     by_value
      - .offset:         4
        .size:           4
        .value_kind:     by_value
      - .offset:         8
        .size:           8
        .value_kind:     by_value
      - .actual_access:  read_only
        .address_space:  global
        .offset:         16
        .size:           8
        .value_kind:     global_buffer
      - .actual_access:  read_only
        .address_space:  global
        .offset:         24
        .size:           8
        .value_kind:     global_buffer
      - .actual_access:  read_only
        .address_space:  global
        .offset:         32
        .size:           8
        .value_kind:     global_buffer
      - .actual_access:  read_only
        .address_space:  global
        .offset:         40
        .size:           8
        .value_kind:     global_buffer
      - .offset:         48
        .size:           8
        .value_kind:     by_value
      - .address_space:  global
        .offset:         56
        .size:           8
        .value_kind:     global_buffer
      - .offset:         64
        .size:           4
        .value_kind:     by_value
      - .offset:         68
        .size:           1
        .value_kind:     by_value
    .group_segment_fixed_size: 0
    .kernarg_segment_align: 8
    .kernarg_segment_size: 72
    .language:       OpenCL C
    .language_version:
      - 2
      - 0
    .max_flat_workgroup_size: 128
    .name:           _ZN9rocsparseL19gebsrmvn_3xn_kernelILj128ELj4ELj8EfEEvi20rocsparse_direction_NS_24const_host_device_scalarIT2_EEPKiS6_PKS3_S8_S4_PS3_21rocsparse_index_base_b
    .private_segment_fixed_size: 0
    .sgpr_count:     22
    .sgpr_spill_count: 0
    .symbol:         _ZN9rocsparseL19gebsrmvn_3xn_kernelILj128ELj4ELj8EfEEvi20rocsparse_direction_NS_24const_host_device_scalarIT2_EEPKiS6_PKS3_S8_S4_PS3_21rocsparse_index_base_b.kd
    .uniform_work_group_size: 1
    .uses_dynamic_stack: false
    .vgpr_count:     32
    .vgpr_spill_count: 0
    .wavefront_size: 32
    .workgroup_processor_mode: 1
  - .args:
      - .offset:         0
        .size:           4
        .value_kind:     by_value
      - .offset:         4
        .size:           4
        .value_kind:     by_value
      - .offset:         8
        .size:           8
        .value_kind:     by_value
      - .actual_access:  read_only
        .address_space:  global
        .offset:         16
        .size:           8
        .value_kind:     global_buffer
      - .actual_access:  read_only
        .address_space:  global
        .offset:         24
        .size:           8
        .value_kind:     global_buffer
      - .actual_access:  read_only
        .address_space:  global
        .offset:         32
        .size:           8
        .value_kind:     global_buffer
      - .actual_access:  read_only
        .address_space:  global
        .offset:         40
        .size:           8
        .value_kind:     global_buffer
      - .offset:         48
        .size:           8
        .value_kind:     by_value
      - .address_space:  global
        .offset:         56
        .size:           8
        .value_kind:     global_buffer
      - .offset:         64
        .size:           4
        .value_kind:     by_value
      - .offset:         68
        .size:           1
        .value_kind:     by_value
    .group_segment_fixed_size: 0
    .kernarg_segment_align: 8
    .kernarg_segment_size: 72
    .language:       OpenCL C
    .language_version:
      - 2
      - 0
    .max_flat_workgroup_size: 128
    .name:           _ZN9rocsparseL19gebsrmvn_3xn_kernelILj128ELj4ELj16EfEEvi20rocsparse_direction_NS_24const_host_device_scalarIT2_EEPKiS6_PKS3_S8_S4_PS3_21rocsparse_index_base_b
    .private_segment_fixed_size: 0
    .sgpr_count:     22
    .sgpr_spill_count: 0
    .symbol:         _ZN9rocsparseL19gebsrmvn_3xn_kernelILj128ELj4ELj16EfEEvi20rocsparse_direction_NS_24const_host_device_scalarIT2_EEPKiS6_PKS3_S8_S4_PS3_21rocsparse_index_base_b.kd
    .uniform_work_group_size: 1
    .uses_dynamic_stack: false
    .vgpr_count:     32
    .vgpr_spill_count: 0
    .wavefront_size: 32
    .workgroup_processor_mode: 1
  - .args:
      - .offset:         0
        .size:           4
        .value_kind:     by_value
      - .offset:         4
        .size:           4
        .value_kind:     by_value
      - .offset:         8
        .size:           8
        .value_kind:     by_value
      - .actual_access:  read_only
        .address_space:  global
        .offset:         16
        .size:           8
        .value_kind:     global_buffer
      - .actual_access:  read_only
        .address_space:  global
        .offset:         24
        .size:           8
        .value_kind:     global_buffer
      - .actual_access:  read_only
        .address_space:  global
        .offset:         32
        .size:           8
        .value_kind:     global_buffer
      - .actual_access:  read_only
        .address_space:  global
        .offset:         40
        .size:           8
        .value_kind:     global_buffer
      - .offset:         48
        .size:           8
        .value_kind:     by_value
      - .address_space:  global
        .offset:         56
        .size:           8
        .value_kind:     global_buffer
      - .offset:         64
        .size:           4
        .value_kind:     by_value
      - .offset:         68
        .size:           1
        .value_kind:     by_value
    .group_segment_fixed_size: 0
    .kernarg_segment_align: 8
    .kernarg_segment_size: 72
    .language:       OpenCL C
    .language_version:
      - 2
      - 0
    .max_flat_workgroup_size: 128
    .name:           _ZN9rocsparseL19gebsrmvn_3xn_kernelILj128ELj4ELj32EfEEvi20rocsparse_direction_NS_24const_host_device_scalarIT2_EEPKiS6_PKS3_S8_S4_PS3_21rocsparse_index_base_b
    .private_segment_fixed_size: 0
    .sgpr_count:     22
    .sgpr_spill_count: 0
    .symbol:         _ZN9rocsparseL19gebsrmvn_3xn_kernelILj128ELj4ELj32EfEEvi20rocsparse_direction_NS_24const_host_device_scalarIT2_EEPKiS6_PKS3_S8_S4_PS3_21rocsparse_index_base_b.kd
    .uniform_work_group_size: 1
    .uses_dynamic_stack: false
    .vgpr_count:     32
    .vgpr_spill_count: 0
    .wavefront_size: 32
    .workgroup_processor_mode: 1
  - .args:
      - .offset:         0
        .size:           4
        .value_kind:     by_value
      - .offset:         4
        .size:           4
        .value_kind:     by_value
      - .offset:         8
        .size:           8
        .value_kind:     by_value
      - .actual_access:  read_only
        .address_space:  global
        .offset:         16
        .size:           8
        .value_kind:     global_buffer
      - .actual_access:  read_only
        .address_space:  global
        .offset:         24
        .size:           8
        .value_kind:     global_buffer
      - .actual_access:  read_only
        .address_space:  global
        .offset:         32
        .size:           8
        .value_kind:     global_buffer
      - .actual_access:  read_only
        .address_space:  global
        .offset:         40
        .size:           8
        .value_kind:     global_buffer
      - .offset:         48
        .size:           8
        .value_kind:     by_value
      - .address_space:  global
        .offset:         56
        .size:           8
        .value_kind:     global_buffer
      - .offset:         64
        .size:           4
        .value_kind:     by_value
      - .offset:         68
        .size:           1
        .value_kind:     by_value
    .group_segment_fixed_size: 0
    .kernarg_segment_align: 8
    .kernarg_segment_size: 72
    .language:       OpenCL C
    .language_version:
      - 2
      - 0
    .max_flat_workgroup_size: 128
    .name:           _ZN9rocsparseL19gebsrmvn_3xn_kernelILj128ELj4ELj64EfEEvi20rocsparse_direction_NS_24const_host_device_scalarIT2_EEPKiS6_PKS3_S8_S4_PS3_21rocsparse_index_base_b
    .private_segment_fixed_size: 0
    .sgpr_count:     22
    .sgpr_spill_count: 0
    .symbol:         _ZN9rocsparseL19gebsrmvn_3xn_kernelILj128ELj4ELj64EfEEvi20rocsparse_direction_NS_24const_host_device_scalarIT2_EEPKiS6_PKS3_S8_S4_PS3_21rocsparse_index_base_b.kd
    .uniform_work_group_size: 1
    .uses_dynamic_stack: false
    .vgpr_count:     32
    .vgpr_spill_count: 0
    .wavefront_size: 32
    .workgroup_processor_mode: 1
  - .args:
      - .offset:         0
        .size:           4
        .value_kind:     by_value
      - .offset:         4
        .size:           4
        .value_kind:     by_value
      - .offset:         8
        .size:           8
        .value_kind:     by_value
      - .actual_access:  read_only
        .address_space:  global
        .offset:         16
        .size:           8
        .value_kind:     global_buffer
      - .actual_access:  read_only
        .address_space:  global
        .offset:         24
        .size:           8
        .value_kind:     global_buffer
      - .actual_access:  read_only
        .address_space:  global
        .offset:         32
        .size:           8
        .value_kind:     global_buffer
      - .actual_access:  read_only
        .address_space:  global
        .offset:         40
        .size:           8
        .value_kind:     global_buffer
      - .offset:         48
        .size:           8
        .value_kind:     by_value
      - .address_space:  global
        .offset:         56
        .size:           8
        .value_kind:     global_buffer
      - .offset:         64
        .size:           4
        .value_kind:     by_value
      - .offset:         68
        .size:           1
        .value_kind:     by_value
    .group_segment_fixed_size: 0
    .kernarg_segment_align: 8
    .kernarg_segment_size: 72
    .language:       OpenCL C
    .language_version:
      - 2
      - 0
    .max_flat_workgroup_size: 128
    .name:           _ZN9rocsparseL19gebsrmvn_3xn_kernelILj128ELj5ELj4EfEEvi20rocsparse_direction_NS_24const_host_device_scalarIT2_EEPKiS6_PKS3_S8_S4_PS3_21rocsparse_index_base_b
    .private_segment_fixed_size: 0
    .sgpr_count:     22
    .sgpr_spill_count: 0
    .symbol:         _ZN9rocsparseL19gebsrmvn_3xn_kernelILj128ELj5ELj4EfEEvi20rocsparse_direction_NS_24const_host_device_scalarIT2_EEPKiS6_PKS3_S8_S4_PS3_21rocsparse_index_base_b.kd
    .uniform_work_group_size: 1
    .uses_dynamic_stack: false
    .vgpr_count:     36
    .vgpr_spill_count: 0
    .wavefront_size: 32
    .workgroup_processor_mode: 1
  - .args:
      - .offset:         0
        .size:           4
        .value_kind:     by_value
      - .offset:         4
        .size:           4
        .value_kind:     by_value
      - .offset:         8
        .size:           8
        .value_kind:     by_value
      - .actual_access:  read_only
        .address_space:  global
        .offset:         16
        .size:           8
        .value_kind:     global_buffer
      - .actual_access:  read_only
        .address_space:  global
        .offset:         24
        .size:           8
        .value_kind:     global_buffer
      - .actual_access:  read_only
        .address_space:  global
        .offset:         32
        .size:           8
        .value_kind:     global_buffer
      - .actual_access:  read_only
        .address_space:  global
        .offset:         40
        .size:           8
        .value_kind:     global_buffer
      - .offset:         48
        .size:           8
        .value_kind:     by_value
      - .address_space:  global
        .offset:         56
        .size:           8
        .value_kind:     global_buffer
      - .offset:         64
        .size:           4
        .value_kind:     by_value
      - .offset:         68
        .size:           1
        .value_kind:     by_value
    .group_segment_fixed_size: 0
    .kernarg_segment_align: 8
    .kernarg_segment_size: 72
    .language:       OpenCL C
    .language_version:
      - 2
      - 0
    .max_flat_workgroup_size: 128
    .name:           _ZN9rocsparseL19gebsrmvn_3xn_kernelILj128ELj5ELj8EfEEvi20rocsparse_direction_NS_24const_host_device_scalarIT2_EEPKiS6_PKS3_S8_S4_PS3_21rocsparse_index_base_b
    .private_segment_fixed_size: 0
    .sgpr_count:     22
    .sgpr_spill_count: 0
    .symbol:         _ZN9rocsparseL19gebsrmvn_3xn_kernelILj128ELj5ELj8EfEEvi20rocsparse_direction_NS_24const_host_device_scalarIT2_EEPKiS6_PKS3_S8_S4_PS3_21rocsparse_index_base_b.kd
    .uniform_work_group_size: 1
    .uses_dynamic_stack: false
    .vgpr_count:     36
    .vgpr_spill_count: 0
    .wavefront_size: 32
    .workgroup_processor_mode: 1
  - .args:
      - .offset:         0
        .size:           4
        .value_kind:     by_value
      - .offset:         4
        .size:           4
        .value_kind:     by_value
      - .offset:         8
        .size:           8
        .value_kind:     by_value
      - .actual_access:  read_only
        .address_space:  global
        .offset:         16
        .size:           8
        .value_kind:     global_buffer
      - .actual_access:  read_only
        .address_space:  global
        .offset:         24
        .size:           8
        .value_kind:     global_buffer
      - .actual_access:  read_only
        .address_space:  global
        .offset:         32
        .size:           8
        .value_kind:     global_buffer
      - .actual_access:  read_only
        .address_space:  global
        .offset:         40
        .size:           8
        .value_kind:     global_buffer
      - .offset:         48
        .size:           8
        .value_kind:     by_value
      - .address_space:  global
        .offset:         56
        .size:           8
        .value_kind:     global_buffer
      - .offset:         64
        .size:           4
        .value_kind:     by_value
      - .offset:         68
        .size:           1
        .value_kind:     by_value
    .group_segment_fixed_size: 0
    .kernarg_segment_align: 8
    .kernarg_segment_size: 72
    .language:       OpenCL C
    .language_version:
      - 2
      - 0
    .max_flat_workgroup_size: 128
    .name:           _ZN9rocsparseL19gebsrmvn_3xn_kernelILj128ELj5ELj16EfEEvi20rocsparse_direction_NS_24const_host_device_scalarIT2_EEPKiS6_PKS3_S8_S4_PS3_21rocsparse_index_base_b
    .private_segment_fixed_size: 0
    .sgpr_count:     22
    .sgpr_spill_count: 0
    .symbol:         _ZN9rocsparseL19gebsrmvn_3xn_kernelILj128ELj5ELj16EfEEvi20rocsparse_direction_NS_24const_host_device_scalarIT2_EEPKiS6_PKS3_S8_S4_PS3_21rocsparse_index_base_b.kd
    .uniform_work_group_size: 1
    .uses_dynamic_stack: false
    .vgpr_count:     36
    .vgpr_spill_count: 0
    .wavefront_size: 32
    .workgroup_processor_mode: 1
  - .args:
      - .offset:         0
        .size:           4
        .value_kind:     by_value
      - .offset:         4
        .size:           4
        .value_kind:     by_value
      - .offset:         8
        .size:           8
        .value_kind:     by_value
      - .actual_access:  read_only
        .address_space:  global
        .offset:         16
        .size:           8
        .value_kind:     global_buffer
      - .actual_access:  read_only
        .address_space:  global
        .offset:         24
        .size:           8
        .value_kind:     global_buffer
      - .actual_access:  read_only
        .address_space:  global
        .offset:         32
        .size:           8
        .value_kind:     global_buffer
      - .actual_access:  read_only
        .address_space:  global
        .offset:         40
        .size:           8
        .value_kind:     global_buffer
      - .offset:         48
        .size:           8
        .value_kind:     by_value
      - .address_space:  global
        .offset:         56
        .size:           8
        .value_kind:     global_buffer
      - .offset:         64
        .size:           4
        .value_kind:     by_value
      - .offset:         68
        .size:           1
        .value_kind:     by_value
    .group_segment_fixed_size: 0
    .kernarg_segment_align: 8
    .kernarg_segment_size: 72
    .language:       OpenCL C
    .language_version:
      - 2
      - 0
    .max_flat_workgroup_size: 128
    .name:           _ZN9rocsparseL19gebsrmvn_3xn_kernelILj128ELj5ELj32EfEEvi20rocsparse_direction_NS_24const_host_device_scalarIT2_EEPKiS6_PKS3_S8_S4_PS3_21rocsparse_index_base_b
    .private_segment_fixed_size: 0
    .sgpr_count:     22
    .sgpr_spill_count: 0
    .symbol:         _ZN9rocsparseL19gebsrmvn_3xn_kernelILj128ELj5ELj32EfEEvi20rocsparse_direction_NS_24const_host_device_scalarIT2_EEPKiS6_PKS3_S8_S4_PS3_21rocsparse_index_base_b.kd
    .uniform_work_group_size: 1
    .uses_dynamic_stack: false
    .vgpr_count:     36
    .vgpr_spill_count: 0
    .wavefront_size: 32
    .workgroup_processor_mode: 1
  - .args:
      - .offset:         0
        .size:           4
        .value_kind:     by_value
      - .offset:         4
        .size:           4
        .value_kind:     by_value
      - .offset:         8
        .size:           8
        .value_kind:     by_value
      - .actual_access:  read_only
        .address_space:  global
        .offset:         16
        .size:           8
        .value_kind:     global_buffer
      - .actual_access:  read_only
        .address_space:  global
        .offset:         24
        .size:           8
        .value_kind:     global_buffer
      - .actual_access:  read_only
        .address_space:  global
        .offset:         32
        .size:           8
        .value_kind:     global_buffer
      - .actual_access:  read_only
        .address_space:  global
        .offset:         40
        .size:           8
        .value_kind:     global_buffer
      - .offset:         48
        .size:           8
        .value_kind:     by_value
      - .address_space:  global
        .offset:         56
        .size:           8
        .value_kind:     global_buffer
      - .offset:         64
        .size:           4
        .value_kind:     by_value
      - .offset:         68
        .size:           1
        .value_kind:     by_value
    .group_segment_fixed_size: 0
    .kernarg_segment_align: 8
    .kernarg_segment_size: 72
    .language:       OpenCL C
    .language_version:
      - 2
      - 0
    .max_flat_workgroup_size: 128
    .name:           _ZN9rocsparseL19gebsrmvn_3xn_kernelILj128ELj5ELj64EfEEvi20rocsparse_direction_NS_24const_host_device_scalarIT2_EEPKiS6_PKS3_S8_S4_PS3_21rocsparse_index_base_b
    .private_segment_fixed_size: 0
    .sgpr_count:     22
    .sgpr_spill_count: 0
    .symbol:         _ZN9rocsparseL19gebsrmvn_3xn_kernelILj128ELj5ELj64EfEEvi20rocsparse_direction_NS_24const_host_device_scalarIT2_EEPKiS6_PKS3_S8_S4_PS3_21rocsparse_index_base_b.kd
    .uniform_work_group_size: 1
    .uses_dynamic_stack: false
    .vgpr_count:     36
    .vgpr_spill_count: 0
    .wavefront_size: 32
    .workgroup_processor_mode: 1
  - .args:
      - .offset:         0
        .size:           4
        .value_kind:     by_value
      - .offset:         4
        .size:           4
        .value_kind:     by_value
      - .offset:         8
        .size:           8
        .value_kind:     by_value
      - .actual_access:  read_only
        .address_space:  global
        .offset:         16
        .size:           8
        .value_kind:     global_buffer
      - .actual_access:  read_only
        .address_space:  global
        .offset:         24
        .size:           8
        .value_kind:     global_buffer
      - .actual_access:  read_only
        .address_space:  global
        .offset:         32
        .size:           8
        .value_kind:     global_buffer
      - .actual_access:  read_only
        .address_space:  global
        .offset:         40
        .size:           8
        .value_kind:     global_buffer
      - .offset:         48
        .size:           8
        .value_kind:     by_value
      - .address_space:  global
        .offset:         56
        .size:           8
        .value_kind:     global_buffer
      - .offset:         64
        .size:           4
        .value_kind:     by_value
      - .offset:         68
        .size:           1
        .value_kind:     by_value
    .group_segment_fixed_size: 0
    .kernarg_segment_align: 8
    .kernarg_segment_size: 72
    .language:       OpenCL C
    .language_version:
      - 2
      - 0
    .max_flat_workgroup_size: 128
    .name:           _ZN9rocsparseL19gebsrmvn_3xn_kernelILj128ELj6ELj4EfEEvi20rocsparse_direction_NS_24const_host_device_scalarIT2_EEPKiS6_PKS3_S8_S4_PS3_21rocsparse_index_base_b
    .private_segment_fixed_size: 0
    .sgpr_count:     22
    .sgpr_spill_count: 0
    .symbol:         _ZN9rocsparseL19gebsrmvn_3xn_kernelILj128ELj6ELj4EfEEvi20rocsparse_direction_NS_24const_host_device_scalarIT2_EEPKiS6_PKS3_S8_S4_PS3_21rocsparse_index_base_b.kd
    .uniform_work_group_size: 1
    .uses_dynamic_stack: false
    .vgpr_count:     39
    .vgpr_spill_count: 0
    .wavefront_size: 32
    .workgroup_processor_mode: 1
  - .args:
      - .offset:         0
        .size:           4
        .value_kind:     by_value
      - .offset:         4
        .size:           4
        .value_kind:     by_value
      - .offset:         8
        .size:           8
        .value_kind:     by_value
      - .actual_access:  read_only
        .address_space:  global
        .offset:         16
        .size:           8
        .value_kind:     global_buffer
      - .actual_access:  read_only
        .address_space:  global
        .offset:         24
        .size:           8
        .value_kind:     global_buffer
      - .actual_access:  read_only
        .address_space:  global
        .offset:         32
        .size:           8
        .value_kind:     global_buffer
      - .actual_access:  read_only
        .address_space:  global
        .offset:         40
        .size:           8
        .value_kind:     global_buffer
      - .offset:         48
        .size:           8
        .value_kind:     by_value
      - .address_space:  global
        .offset:         56
        .size:           8
        .value_kind:     global_buffer
      - .offset:         64
        .size:           4
        .value_kind:     by_value
      - .offset:         68
        .size:           1
        .value_kind:     by_value
    .group_segment_fixed_size: 0
    .kernarg_segment_align: 8
    .kernarg_segment_size: 72
    .language:       OpenCL C
    .language_version:
      - 2
      - 0
    .max_flat_workgroup_size: 128
    .name:           _ZN9rocsparseL19gebsrmvn_3xn_kernelILj128ELj6ELj8EfEEvi20rocsparse_direction_NS_24const_host_device_scalarIT2_EEPKiS6_PKS3_S8_S4_PS3_21rocsparse_index_base_b
    .private_segment_fixed_size: 0
    .sgpr_count:     22
    .sgpr_spill_count: 0
    .symbol:         _ZN9rocsparseL19gebsrmvn_3xn_kernelILj128ELj6ELj8EfEEvi20rocsparse_direction_NS_24const_host_device_scalarIT2_EEPKiS6_PKS3_S8_S4_PS3_21rocsparse_index_base_b.kd
    .uniform_work_group_size: 1
    .uses_dynamic_stack: false
    .vgpr_count:     39
    .vgpr_spill_count: 0
    .wavefront_size: 32
    .workgroup_processor_mode: 1
  - .args:
      - .offset:         0
        .size:           4
        .value_kind:     by_value
      - .offset:         4
        .size:           4
        .value_kind:     by_value
      - .offset:         8
        .size:           8
        .value_kind:     by_value
      - .actual_access:  read_only
        .address_space:  global
        .offset:         16
        .size:           8
        .value_kind:     global_buffer
      - .actual_access:  read_only
        .address_space:  global
        .offset:         24
        .size:           8
        .value_kind:     global_buffer
      - .actual_access:  read_only
        .address_space:  global
        .offset:         32
        .size:           8
        .value_kind:     global_buffer
      - .actual_access:  read_only
        .address_space:  global
        .offset:         40
        .size:           8
        .value_kind:     global_buffer
      - .offset:         48
        .size:           8
        .value_kind:     by_value
      - .address_space:  global
        .offset:         56
        .size:           8
        .value_kind:     global_buffer
      - .offset:         64
        .size:           4
        .value_kind:     by_value
      - .offset:         68
        .size:           1
        .value_kind:     by_value
    .group_segment_fixed_size: 0
    .kernarg_segment_align: 8
    .kernarg_segment_size: 72
    .language:       OpenCL C
    .language_version:
      - 2
      - 0
    .max_flat_workgroup_size: 128
    .name:           _ZN9rocsparseL19gebsrmvn_3xn_kernelILj128ELj6ELj16EfEEvi20rocsparse_direction_NS_24const_host_device_scalarIT2_EEPKiS6_PKS3_S8_S4_PS3_21rocsparse_index_base_b
    .private_segment_fixed_size: 0
    .sgpr_count:     22
    .sgpr_spill_count: 0
    .symbol:         _ZN9rocsparseL19gebsrmvn_3xn_kernelILj128ELj6ELj16EfEEvi20rocsparse_direction_NS_24const_host_device_scalarIT2_EEPKiS6_PKS3_S8_S4_PS3_21rocsparse_index_base_b.kd
    .uniform_work_group_size: 1
    .uses_dynamic_stack: false
    .vgpr_count:     39
    .vgpr_spill_count: 0
    .wavefront_size: 32
    .workgroup_processor_mode: 1
  - .args:
      - .offset:         0
        .size:           4
        .value_kind:     by_value
      - .offset:         4
        .size:           4
        .value_kind:     by_value
      - .offset:         8
        .size:           8
        .value_kind:     by_value
      - .actual_access:  read_only
        .address_space:  global
        .offset:         16
        .size:           8
        .value_kind:     global_buffer
      - .actual_access:  read_only
        .address_space:  global
        .offset:         24
        .size:           8
        .value_kind:     global_buffer
      - .actual_access:  read_only
        .address_space:  global
        .offset:         32
        .size:           8
        .value_kind:     global_buffer
      - .actual_access:  read_only
        .address_space:  global
        .offset:         40
        .size:           8
        .value_kind:     global_buffer
      - .offset:         48
        .size:           8
        .value_kind:     by_value
      - .address_space:  global
        .offset:         56
        .size:           8
        .value_kind:     global_buffer
      - .offset:         64
        .size:           4
        .value_kind:     by_value
      - .offset:         68
        .size:           1
        .value_kind:     by_value
    .group_segment_fixed_size: 0
    .kernarg_segment_align: 8
    .kernarg_segment_size: 72
    .language:       OpenCL C
    .language_version:
      - 2
      - 0
    .max_flat_workgroup_size: 128
    .name:           _ZN9rocsparseL19gebsrmvn_3xn_kernelILj128ELj6ELj32EfEEvi20rocsparse_direction_NS_24const_host_device_scalarIT2_EEPKiS6_PKS3_S8_S4_PS3_21rocsparse_index_base_b
    .private_segment_fixed_size: 0
    .sgpr_count:     22
    .sgpr_spill_count: 0
    .symbol:         _ZN9rocsparseL19gebsrmvn_3xn_kernelILj128ELj6ELj32EfEEvi20rocsparse_direction_NS_24const_host_device_scalarIT2_EEPKiS6_PKS3_S8_S4_PS3_21rocsparse_index_base_b.kd
    .uniform_work_group_size: 1
    .uses_dynamic_stack: false
    .vgpr_count:     39
    .vgpr_spill_count: 0
    .wavefront_size: 32
    .workgroup_processor_mode: 1
  - .args:
      - .offset:         0
        .size:           4
        .value_kind:     by_value
      - .offset:         4
        .size:           4
        .value_kind:     by_value
      - .offset:         8
        .size:           8
        .value_kind:     by_value
      - .actual_access:  read_only
        .address_space:  global
        .offset:         16
        .size:           8
        .value_kind:     global_buffer
      - .actual_access:  read_only
        .address_space:  global
        .offset:         24
        .size:           8
        .value_kind:     global_buffer
      - .actual_access:  read_only
        .address_space:  global
        .offset:         32
        .size:           8
        .value_kind:     global_buffer
      - .actual_access:  read_only
        .address_space:  global
        .offset:         40
        .size:           8
        .value_kind:     global_buffer
      - .offset:         48
        .size:           8
        .value_kind:     by_value
      - .address_space:  global
        .offset:         56
        .size:           8
        .value_kind:     global_buffer
      - .offset:         64
        .size:           4
        .value_kind:     by_value
      - .offset:         68
        .size:           1
        .value_kind:     by_value
    .group_segment_fixed_size: 0
    .kernarg_segment_align: 8
    .kernarg_segment_size: 72
    .language:       OpenCL C
    .language_version:
      - 2
      - 0
    .max_flat_workgroup_size: 128
    .name:           _ZN9rocsparseL19gebsrmvn_3xn_kernelILj128ELj6ELj64EfEEvi20rocsparse_direction_NS_24const_host_device_scalarIT2_EEPKiS6_PKS3_S8_S4_PS3_21rocsparse_index_base_b
    .private_segment_fixed_size: 0
    .sgpr_count:     22
    .sgpr_spill_count: 0
    .symbol:         _ZN9rocsparseL19gebsrmvn_3xn_kernelILj128ELj6ELj64EfEEvi20rocsparse_direction_NS_24const_host_device_scalarIT2_EEPKiS6_PKS3_S8_S4_PS3_21rocsparse_index_base_b.kd
    .uniform_work_group_size: 1
    .uses_dynamic_stack: false
    .vgpr_count:     39
    .vgpr_spill_count: 0
    .wavefront_size: 32
    .workgroup_processor_mode: 1
  - .args:
      - .offset:         0
        .size:           4
        .value_kind:     by_value
      - .offset:         4
        .size:           4
        .value_kind:     by_value
      - .offset:         8
        .size:           8
        .value_kind:     by_value
      - .actual_access:  read_only
        .address_space:  global
        .offset:         16
        .size:           8
        .value_kind:     global_buffer
      - .actual_access:  read_only
        .address_space:  global
        .offset:         24
        .size:           8
        .value_kind:     global_buffer
      - .actual_access:  read_only
        .address_space:  global
        .offset:         32
        .size:           8
        .value_kind:     global_buffer
      - .actual_access:  read_only
        .address_space:  global
        .offset:         40
        .size:           8
        .value_kind:     global_buffer
      - .offset:         48
        .size:           8
        .value_kind:     by_value
      - .address_space:  global
        .offset:         56
        .size:           8
        .value_kind:     global_buffer
      - .offset:         64
        .size:           4
        .value_kind:     by_value
      - .offset:         68
        .size:           1
        .value_kind:     by_value
    .group_segment_fixed_size: 0
    .kernarg_segment_align: 8
    .kernarg_segment_size: 72
    .language:       OpenCL C
    .language_version:
      - 2
      - 0
    .max_flat_workgroup_size: 128
    .name:           _ZN9rocsparseL19gebsrmvn_3xn_kernelILj128ELj7ELj4EfEEvi20rocsparse_direction_NS_24const_host_device_scalarIT2_EEPKiS6_PKS3_S8_S4_PS3_21rocsparse_index_base_b
    .private_segment_fixed_size: 0
    .sgpr_count:     22
    .sgpr_spill_count: 0
    .symbol:         _ZN9rocsparseL19gebsrmvn_3xn_kernelILj128ELj7ELj4EfEEvi20rocsparse_direction_NS_24const_host_device_scalarIT2_EEPKiS6_PKS3_S8_S4_PS3_21rocsparse_index_base_b.kd
    .uniform_work_group_size: 1
    .uses_dynamic_stack: false
    .vgpr_count:     44
    .vgpr_spill_count: 0
    .wavefront_size: 32
    .workgroup_processor_mode: 1
  - .args:
      - .offset:         0
        .size:           4
        .value_kind:     by_value
      - .offset:         4
        .size:           4
        .value_kind:     by_value
      - .offset:         8
        .size:           8
        .value_kind:     by_value
      - .actual_access:  read_only
        .address_space:  global
        .offset:         16
        .size:           8
        .value_kind:     global_buffer
      - .actual_access:  read_only
        .address_space:  global
        .offset:         24
        .size:           8
        .value_kind:     global_buffer
      - .actual_access:  read_only
        .address_space:  global
        .offset:         32
        .size:           8
        .value_kind:     global_buffer
      - .actual_access:  read_only
        .address_space:  global
        .offset:         40
        .size:           8
        .value_kind:     global_buffer
      - .offset:         48
        .size:           8
        .value_kind:     by_value
      - .address_space:  global
        .offset:         56
        .size:           8
        .value_kind:     global_buffer
      - .offset:         64
        .size:           4
        .value_kind:     by_value
      - .offset:         68
        .size:           1
        .value_kind:     by_value
    .group_segment_fixed_size: 0
    .kernarg_segment_align: 8
    .kernarg_segment_size: 72
    .language:       OpenCL C
    .language_version:
      - 2
      - 0
    .max_flat_workgroup_size: 128
    .name:           _ZN9rocsparseL19gebsrmvn_3xn_kernelILj128ELj7ELj8EfEEvi20rocsparse_direction_NS_24const_host_device_scalarIT2_EEPKiS6_PKS3_S8_S4_PS3_21rocsparse_index_base_b
    .private_segment_fixed_size: 0
    .sgpr_count:     22
    .sgpr_spill_count: 0
    .symbol:         _ZN9rocsparseL19gebsrmvn_3xn_kernelILj128ELj7ELj8EfEEvi20rocsparse_direction_NS_24const_host_device_scalarIT2_EEPKiS6_PKS3_S8_S4_PS3_21rocsparse_index_base_b.kd
    .uniform_work_group_size: 1
    .uses_dynamic_stack: false
    .vgpr_count:     44
    .vgpr_spill_count: 0
    .wavefront_size: 32
    .workgroup_processor_mode: 1
  - .args:
      - .offset:         0
        .size:           4
        .value_kind:     by_value
      - .offset:         4
        .size:           4
        .value_kind:     by_value
      - .offset:         8
        .size:           8
        .value_kind:     by_value
      - .actual_access:  read_only
        .address_space:  global
        .offset:         16
        .size:           8
        .value_kind:     global_buffer
      - .actual_access:  read_only
        .address_space:  global
        .offset:         24
        .size:           8
        .value_kind:     global_buffer
      - .actual_access:  read_only
        .address_space:  global
        .offset:         32
        .size:           8
        .value_kind:     global_buffer
      - .actual_access:  read_only
        .address_space:  global
        .offset:         40
        .size:           8
        .value_kind:     global_buffer
      - .offset:         48
        .size:           8
        .value_kind:     by_value
      - .address_space:  global
        .offset:         56
        .size:           8
        .value_kind:     global_buffer
      - .offset:         64
        .size:           4
        .value_kind:     by_value
      - .offset:         68
        .size:           1
        .value_kind:     by_value
    .group_segment_fixed_size: 0
    .kernarg_segment_align: 8
    .kernarg_segment_size: 72
    .language:       OpenCL C
    .language_version:
      - 2
      - 0
    .max_flat_workgroup_size: 128
    .name:           _ZN9rocsparseL19gebsrmvn_3xn_kernelILj128ELj7ELj16EfEEvi20rocsparse_direction_NS_24const_host_device_scalarIT2_EEPKiS6_PKS3_S8_S4_PS3_21rocsparse_index_base_b
    .private_segment_fixed_size: 0
    .sgpr_count:     22
    .sgpr_spill_count: 0
    .symbol:         _ZN9rocsparseL19gebsrmvn_3xn_kernelILj128ELj7ELj16EfEEvi20rocsparse_direction_NS_24const_host_device_scalarIT2_EEPKiS6_PKS3_S8_S4_PS3_21rocsparse_index_base_b.kd
    .uniform_work_group_size: 1
    .uses_dynamic_stack: false
    .vgpr_count:     44
    .vgpr_spill_count: 0
    .wavefront_size: 32
    .workgroup_processor_mode: 1
  - .args:
      - .offset:         0
        .size:           4
        .value_kind:     by_value
      - .offset:         4
        .size:           4
        .value_kind:     by_value
      - .offset:         8
        .size:           8
        .value_kind:     by_value
      - .actual_access:  read_only
        .address_space:  global
        .offset:         16
        .size:           8
        .value_kind:     global_buffer
      - .actual_access:  read_only
        .address_space:  global
        .offset:         24
        .size:           8
        .value_kind:     global_buffer
      - .actual_access:  read_only
        .address_space:  global
        .offset:         32
        .size:           8
        .value_kind:     global_buffer
      - .actual_access:  read_only
        .address_space:  global
        .offset:         40
        .size:           8
        .value_kind:     global_buffer
      - .offset:         48
        .size:           8
        .value_kind:     by_value
      - .address_space:  global
        .offset:         56
        .size:           8
        .value_kind:     global_buffer
      - .offset:         64
        .size:           4
        .value_kind:     by_value
      - .offset:         68
        .size:           1
        .value_kind:     by_value
    .group_segment_fixed_size: 0
    .kernarg_segment_align: 8
    .kernarg_segment_size: 72
    .language:       OpenCL C
    .language_version:
      - 2
      - 0
    .max_flat_workgroup_size: 128
    .name:           _ZN9rocsparseL19gebsrmvn_3xn_kernelILj128ELj7ELj32EfEEvi20rocsparse_direction_NS_24const_host_device_scalarIT2_EEPKiS6_PKS3_S8_S4_PS3_21rocsparse_index_base_b
    .private_segment_fixed_size: 0
    .sgpr_count:     22
    .sgpr_spill_count: 0
    .symbol:         _ZN9rocsparseL19gebsrmvn_3xn_kernelILj128ELj7ELj32EfEEvi20rocsparse_direction_NS_24const_host_device_scalarIT2_EEPKiS6_PKS3_S8_S4_PS3_21rocsparse_index_base_b.kd
    .uniform_work_group_size: 1
    .uses_dynamic_stack: false
    .vgpr_count:     44
    .vgpr_spill_count: 0
    .wavefront_size: 32
    .workgroup_processor_mode: 1
  - .args:
      - .offset:         0
        .size:           4
        .value_kind:     by_value
      - .offset:         4
        .size:           4
        .value_kind:     by_value
      - .offset:         8
        .size:           8
        .value_kind:     by_value
      - .actual_access:  read_only
        .address_space:  global
        .offset:         16
        .size:           8
        .value_kind:     global_buffer
      - .actual_access:  read_only
        .address_space:  global
        .offset:         24
        .size:           8
        .value_kind:     global_buffer
      - .actual_access:  read_only
        .address_space:  global
        .offset:         32
        .size:           8
        .value_kind:     global_buffer
      - .actual_access:  read_only
        .address_space:  global
        .offset:         40
        .size:           8
        .value_kind:     global_buffer
      - .offset:         48
        .size:           8
        .value_kind:     by_value
      - .address_space:  global
        .offset:         56
        .size:           8
        .value_kind:     global_buffer
      - .offset:         64
        .size:           4
        .value_kind:     by_value
      - .offset:         68
        .size:           1
        .value_kind:     by_value
    .group_segment_fixed_size: 0
    .kernarg_segment_align: 8
    .kernarg_segment_size: 72
    .language:       OpenCL C
    .language_version:
      - 2
      - 0
    .max_flat_workgroup_size: 128
    .name:           _ZN9rocsparseL19gebsrmvn_3xn_kernelILj128ELj7ELj64EfEEvi20rocsparse_direction_NS_24const_host_device_scalarIT2_EEPKiS6_PKS3_S8_S4_PS3_21rocsparse_index_base_b
    .private_segment_fixed_size: 0
    .sgpr_count:     22
    .sgpr_spill_count: 0
    .symbol:         _ZN9rocsparseL19gebsrmvn_3xn_kernelILj128ELj7ELj64EfEEvi20rocsparse_direction_NS_24const_host_device_scalarIT2_EEPKiS6_PKS3_S8_S4_PS3_21rocsparse_index_base_b.kd
    .uniform_work_group_size: 1
    .uses_dynamic_stack: false
    .vgpr_count:     44
    .vgpr_spill_count: 0
    .wavefront_size: 32
    .workgroup_processor_mode: 1
  - .args:
      - .offset:         0
        .size:           4
        .value_kind:     by_value
      - .offset:         4
        .size:           4
        .value_kind:     by_value
      - .offset:         8
        .size:           8
        .value_kind:     by_value
      - .actual_access:  read_only
        .address_space:  global
        .offset:         16
        .size:           8
        .value_kind:     global_buffer
      - .actual_access:  read_only
        .address_space:  global
        .offset:         24
        .size:           8
        .value_kind:     global_buffer
      - .actual_access:  read_only
        .address_space:  global
        .offset:         32
        .size:           8
        .value_kind:     global_buffer
      - .actual_access:  read_only
        .address_space:  global
        .offset:         40
        .size:           8
        .value_kind:     global_buffer
      - .offset:         48
        .size:           8
        .value_kind:     by_value
      - .address_space:  global
        .offset:         56
        .size:           8
        .value_kind:     global_buffer
      - .offset:         64
        .size:           4
        .value_kind:     by_value
      - .offset:         68
        .size:           1
        .value_kind:     by_value
    .group_segment_fixed_size: 0
    .kernarg_segment_align: 8
    .kernarg_segment_size: 72
    .language:       OpenCL C
    .language_version:
      - 2
      - 0
    .max_flat_workgroup_size: 128
    .name:           _ZN9rocsparseL19gebsrmvn_3xn_kernelILj128ELj8ELj4EfEEvi20rocsparse_direction_NS_24const_host_device_scalarIT2_EEPKiS6_PKS3_S8_S4_PS3_21rocsparse_index_base_b
    .private_segment_fixed_size: 0
    .sgpr_count:     22
    .sgpr_spill_count: 0
    .symbol:         _ZN9rocsparseL19gebsrmvn_3xn_kernelILj128ELj8ELj4EfEEvi20rocsparse_direction_NS_24const_host_device_scalarIT2_EEPKiS6_PKS3_S8_S4_PS3_21rocsparse_index_base_b.kd
    .uniform_work_group_size: 1
    .uses_dynamic_stack: false
    .vgpr_count:     48
    .vgpr_spill_count: 0
    .wavefront_size: 32
    .workgroup_processor_mode: 1
  - .args:
      - .offset:         0
        .size:           4
        .value_kind:     by_value
      - .offset:         4
        .size:           4
        .value_kind:     by_value
      - .offset:         8
        .size:           8
        .value_kind:     by_value
      - .actual_access:  read_only
        .address_space:  global
        .offset:         16
        .size:           8
        .value_kind:     global_buffer
      - .actual_access:  read_only
        .address_space:  global
        .offset:         24
        .size:           8
        .value_kind:     global_buffer
      - .actual_access:  read_only
        .address_space:  global
        .offset:         32
        .size:           8
        .value_kind:     global_buffer
      - .actual_access:  read_only
        .address_space:  global
        .offset:         40
        .size:           8
        .value_kind:     global_buffer
      - .offset:         48
        .size:           8
        .value_kind:     by_value
      - .address_space:  global
        .offset:         56
        .size:           8
        .value_kind:     global_buffer
      - .offset:         64
        .size:           4
        .value_kind:     by_value
      - .offset:         68
        .size:           1
        .value_kind:     by_value
    .group_segment_fixed_size: 0
    .kernarg_segment_align: 8
    .kernarg_segment_size: 72
    .language:       OpenCL C
    .language_version:
      - 2
      - 0
    .max_flat_workgroup_size: 128
    .name:           _ZN9rocsparseL19gebsrmvn_3xn_kernelILj128ELj8ELj8EfEEvi20rocsparse_direction_NS_24const_host_device_scalarIT2_EEPKiS6_PKS3_S8_S4_PS3_21rocsparse_index_base_b
    .private_segment_fixed_size: 0
    .sgpr_count:     22
    .sgpr_spill_count: 0
    .symbol:         _ZN9rocsparseL19gebsrmvn_3xn_kernelILj128ELj8ELj8EfEEvi20rocsparse_direction_NS_24const_host_device_scalarIT2_EEPKiS6_PKS3_S8_S4_PS3_21rocsparse_index_base_b.kd
    .uniform_work_group_size: 1
    .uses_dynamic_stack: false
    .vgpr_count:     48
    .vgpr_spill_count: 0
    .wavefront_size: 32
    .workgroup_processor_mode: 1
  - .args:
      - .offset:         0
        .size:           4
        .value_kind:     by_value
      - .offset:         4
        .size:           4
        .value_kind:     by_value
      - .offset:         8
        .size:           8
        .value_kind:     by_value
      - .actual_access:  read_only
        .address_space:  global
        .offset:         16
        .size:           8
        .value_kind:     global_buffer
      - .actual_access:  read_only
        .address_space:  global
        .offset:         24
        .size:           8
        .value_kind:     global_buffer
      - .actual_access:  read_only
        .address_space:  global
        .offset:         32
        .size:           8
        .value_kind:     global_buffer
      - .actual_access:  read_only
        .address_space:  global
        .offset:         40
        .size:           8
        .value_kind:     global_buffer
      - .offset:         48
        .size:           8
        .value_kind:     by_value
      - .address_space:  global
        .offset:         56
        .size:           8
        .value_kind:     global_buffer
      - .offset:         64
        .size:           4
        .value_kind:     by_value
      - .offset:         68
        .size:           1
        .value_kind:     by_value
    .group_segment_fixed_size: 0
    .kernarg_segment_align: 8
    .kernarg_segment_size: 72
    .language:       OpenCL C
    .language_version:
      - 2
      - 0
    .max_flat_workgroup_size: 128
    .name:           _ZN9rocsparseL19gebsrmvn_3xn_kernelILj128ELj8ELj16EfEEvi20rocsparse_direction_NS_24const_host_device_scalarIT2_EEPKiS6_PKS3_S8_S4_PS3_21rocsparse_index_base_b
    .private_segment_fixed_size: 0
    .sgpr_count:     22
    .sgpr_spill_count: 0
    .symbol:         _ZN9rocsparseL19gebsrmvn_3xn_kernelILj128ELj8ELj16EfEEvi20rocsparse_direction_NS_24const_host_device_scalarIT2_EEPKiS6_PKS3_S8_S4_PS3_21rocsparse_index_base_b.kd
    .uniform_work_group_size: 1
    .uses_dynamic_stack: false
    .vgpr_count:     48
    .vgpr_spill_count: 0
    .wavefront_size: 32
    .workgroup_processor_mode: 1
  - .args:
      - .offset:         0
        .size:           4
        .value_kind:     by_value
      - .offset:         4
        .size:           4
        .value_kind:     by_value
      - .offset:         8
        .size:           8
        .value_kind:     by_value
      - .actual_access:  read_only
        .address_space:  global
        .offset:         16
        .size:           8
        .value_kind:     global_buffer
      - .actual_access:  read_only
        .address_space:  global
        .offset:         24
        .size:           8
        .value_kind:     global_buffer
      - .actual_access:  read_only
        .address_space:  global
        .offset:         32
        .size:           8
        .value_kind:     global_buffer
      - .actual_access:  read_only
        .address_space:  global
        .offset:         40
        .size:           8
        .value_kind:     global_buffer
      - .offset:         48
        .size:           8
        .value_kind:     by_value
      - .address_space:  global
        .offset:         56
        .size:           8
        .value_kind:     global_buffer
      - .offset:         64
        .size:           4
        .value_kind:     by_value
      - .offset:         68
        .size:           1
        .value_kind:     by_value
    .group_segment_fixed_size: 0
    .kernarg_segment_align: 8
    .kernarg_segment_size: 72
    .language:       OpenCL C
    .language_version:
      - 2
      - 0
    .max_flat_workgroup_size: 128
    .name:           _ZN9rocsparseL19gebsrmvn_3xn_kernelILj128ELj8ELj32EfEEvi20rocsparse_direction_NS_24const_host_device_scalarIT2_EEPKiS6_PKS3_S8_S4_PS3_21rocsparse_index_base_b
    .private_segment_fixed_size: 0
    .sgpr_count:     22
    .sgpr_spill_count: 0
    .symbol:         _ZN9rocsparseL19gebsrmvn_3xn_kernelILj128ELj8ELj32EfEEvi20rocsparse_direction_NS_24const_host_device_scalarIT2_EEPKiS6_PKS3_S8_S4_PS3_21rocsparse_index_base_b.kd
    .uniform_work_group_size: 1
    .uses_dynamic_stack: false
    .vgpr_count:     48
    .vgpr_spill_count: 0
    .wavefront_size: 32
    .workgroup_processor_mode: 1
  - .args:
      - .offset:         0
        .size:           4
        .value_kind:     by_value
      - .offset:         4
        .size:           4
        .value_kind:     by_value
      - .offset:         8
        .size:           8
        .value_kind:     by_value
      - .actual_access:  read_only
        .address_space:  global
        .offset:         16
        .size:           8
        .value_kind:     global_buffer
      - .actual_access:  read_only
        .address_space:  global
        .offset:         24
        .size:           8
        .value_kind:     global_buffer
      - .actual_access:  read_only
        .address_space:  global
        .offset:         32
        .size:           8
        .value_kind:     global_buffer
      - .actual_access:  read_only
        .address_space:  global
        .offset:         40
        .size:           8
        .value_kind:     global_buffer
      - .offset:         48
        .size:           8
        .value_kind:     by_value
      - .address_space:  global
        .offset:         56
        .size:           8
        .value_kind:     global_buffer
      - .offset:         64
        .size:           4
        .value_kind:     by_value
      - .offset:         68
        .size:           1
        .value_kind:     by_value
    .group_segment_fixed_size: 0
    .kernarg_segment_align: 8
    .kernarg_segment_size: 72
    .language:       OpenCL C
    .language_version:
      - 2
      - 0
    .max_flat_workgroup_size: 128
    .name:           _ZN9rocsparseL19gebsrmvn_3xn_kernelILj128ELj8ELj64EfEEvi20rocsparse_direction_NS_24const_host_device_scalarIT2_EEPKiS6_PKS3_S8_S4_PS3_21rocsparse_index_base_b
    .private_segment_fixed_size: 0
    .sgpr_count:     22
    .sgpr_spill_count: 0
    .symbol:         _ZN9rocsparseL19gebsrmvn_3xn_kernelILj128ELj8ELj64EfEEvi20rocsparse_direction_NS_24const_host_device_scalarIT2_EEPKiS6_PKS3_S8_S4_PS3_21rocsparse_index_base_b.kd
    .uniform_work_group_size: 1
    .uses_dynamic_stack: false
    .vgpr_count:     48
    .vgpr_spill_count: 0
    .wavefront_size: 32
    .workgroup_processor_mode: 1
  - .args:
      - .offset:         0
        .size:           4
        .value_kind:     by_value
      - .offset:         4
        .size:           4
        .value_kind:     by_value
      - .offset:         8
        .size:           8
        .value_kind:     by_value
      - .actual_access:  read_only
        .address_space:  global
        .offset:         16
        .size:           8
        .value_kind:     global_buffer
      - .actual_access:  read_only
        .address_space:  global
        .offset:         24
        .size:           8
        .value_kind:     global_buffer
      - .actual_access:  read_only
        .address_space:  global
        .offset:         32
        .size:           8
        .value_kind:     global_buffer
      - .offset:         40
        .size:           4
        .value_kind:     by_value
      - .offset:         44
        .size:           4
        .value_kind:     by_value
      - .actual_access:  read_only
        .address_space:  global
        .offset:         48
        .size:           8
        .value_kind:     global_buffer
      - .offset:         56
        .size:           8
        .value_kind:     by_value
      - .address_space:  global
        .offset:         64
        .size:           8
        .value_kind:     global_buffer
      - .offset:         72
        .size:           4
        .value_kind:     by_value
      - .offset:         76
        .size:           1
        .value_kind:     by_value
    .group_segment_fixed_size: 0
    .kernarg_segment_align: 8
    .kernarg_segment_size: 80
    .language:       OpenCL C
    .language_version:
      - 2
      - 0
    .max_flat_workgroup_size: 48
    .name:           _ZN9rocsparseL23gebsrmvn_general_kernelILj48ELj16EfEEvi20rocsparse_direction_NS_24const_host_device_scalarIT1_EEPKiS6_PKS3_iiS8_S4_PS3_21rocsparse_index_base_b
    .private_segment_fixed_size: 0
    .sgpr_count:     32
    .sgpr_spill_count: 0
    .symbol:         _ZN9rocsparseL23gebsrmvn_general_kernelILj48ELj16EfEEvi20rocsparse_direction_NS_24const_host_device_scalarIT1_EEPKiS6_PKS3_iiS8_S4_PS3_21rocsparse_index_base_b.kd
    .uniform_work_group_size: 1
    .uses_dynamic_stack: false
    .vgpr_count:     14
    .vgpr_spill_count: 0
    .wavefront_size: 32
    .workgroup_processor_mode: 1
  - .args:
      - .offset:         0
        .size:           4
        .value_kind:     by_value
      - .offset:         4
        .size:           4
        .value_kind:     by_value
      - .offset:         8
        .size:           8
        .value_kind:     by_value
      - .actual_access:  read_only
        .address_space:  global
        .offset:         16
        .size:           8
        .value_kind:     global_buffer
      - .actual_access:  read_only
        .address_space:  global
        .offset:         24
        .size:           8
        .value_kind:     global_buffer
      - .actual_access:  read_only
        .address_space:  global
        .offset:         32
        .size:           8
        .value_kind:     global_buffer
      - .offset:         40
        .size:           4
        .value_kind:     by_value
      - .offset:         44
        .size:           4
        .value_kind:     by_value
      - .actual_access:  read_only
        .address_space:  global
        .offset:         48
        .size:           8
        .value_kind:     global_buffer
      - .offset:         56
        .size:           8
        .value_kind:     by_value
      - .address_space:  global
        .offset:         64
        .size:           8
        .value_kind:     global_buffer
      - .offset:         72
        .size:           4
        .value_kind:     by_value
      - .offset:         76
        .size:           1
        .value_kind:     by_value
    .group_segment_fixed_size: 0
    .kernarg_segment_align: 8
    .kernarg_segment_size: 80
    .language:       OpenCL C
    .language_version:
      - 2
      - 0
    .max_flat_workgroup_size: 96
    .name:           _ZN9rocsparseL23gebsrmvn_general_kernelILj96ELj32EfEEvi20rocsparse_direction_NS_24const_host_device_scalarIT1_EEPKiS6_PKS3_iiS8_S4_PS3_21rocsparse_index_base_b
    .private_segment_fixed_size: 0
    .sgpr_count:     32
    .sgpr_spill_count: 0
    .symbol:         _ZN9rocsparseL23gebsrmvn_general_kernelILj96ELj32EfEEvi20rocsparse_direction_NS_24const_host_device_scalarIT1_EEPKiS6_PKS3_iiS8_S4_PS3_21rocsparse_index_base_b.kd
    .uniform_work_group_size: 1
    .uses_dynamic_stack: false
    .vgpr_count:     15
    .vgpr_spill_count: 0
    .wavefront_size: 32
    .workgroup_processor_mode: 1
  - .args:
      - .offset:         0
        .size:           4
        .value_kind:     by_value
      - .offset:         4
        .size:           4
        .value_kind:     by_value
      - .offset:         8
        .size:           8
        .value_kind:     by_value
      - .actual_access:  read_only
        .address_space:  global
        .offset:         16
        .size:           8
        .value_kind:     global_buffer
      - .actual_access:  read_only
        .address_space:  global
        .offset:         24
        .size:           8
        .value_kind:     global_buffer
      - .actual_access:  read_only
        .address_space:  global
        .offset:         32
        .size:           8
        .value_kind:     global_buffer
      - .actual_access:  read_only
        .address_space:  global
        .offset:         40
        .size:           8
        .value_kind:     global_buffer
      - .offset:         48
        .size:           8
        .value_kind:     by_value
      - .address_space:  global
        .offset:         56
        .size:           8
        .value_kind:     global_buffer
      - .offset:         64
        .size:           4
        .value_kind:     by_value
      - .offset:         68
        .size:           1
        .value_kind:     by_value
    .group_segment_fixed_size: 0
    .kernarg_segment_align: 8
    .kernarg_segment_size: 72
    .language:       OpenCL C
    .language_version:
      - 2
      - 0
    .max_flat_workgroup_size: 128
    .name:           _ZN9rocsparseL19gebsrmvn_3xn_kernelILj128ELj1ELj4EdEEvi20rocsparse_direction_NS_24const_host_device_scalarIT2_EEPKiS6_PKS3_S8_S4_PS3_21rocsparse_index_base_b
    .private_segment_fixed_size: 0
    .sgpr_count:     18
    .sgpr_spill_count: 0
    .symbol:         _ZN9rocsparseL19gebsrmvn_3xn_kernelILj128ELj1ELj4EdEEvi20rocsparse_direction_NS_24const_host_device_scalarIT2_EEPKiS6_PKS3_S8_S4_PS3_21rocsparse_index_base_b.kd
    .uniform_work_group_size: 1
    .uses_dynamic_stack: false
    .vgpr_count:     27
    .vgpr_spill_count: 0
    .wavefront_size: 32
    .workgroup_processor_mode: 1
  - .args:
      - .offset:         0
        .size:           4
        .value_kind:     by_value
      - .offset:         4
        .size:           4
        .value_kind:     by_value
      - .offset:         8
        .size:           8
        .value_kind:     by_value
      - .actual_access:  read_only
        .address_space:  global
        .offset:         16
        .size:           8
        .value_kind:     global_buffer
      - .actual_access:  read_only
        .address_space:  global
        .offset:         24
        .size:           8
        .value_kind:     global_buffer
      - .actual_access:  read_only
        .address_space:  global
        .offset:         32
        .size:           8
        .value_kind:     global_buffer
      - .actual_access:  read_only
        .address_space:  global
        .offset:         40
        .size:           8
        .value_kind:     global_buffer
      - .offset:         48
        .size:           8
        .value_kind:     by_value
      - .address_space:  global
        .offset:         56
        .size:           8
        .value_kind:     global_buffer
      - .offset:         64
        .size:           4
        .value_kind:     by_value
      - .offset:         68
        .size:           1
        .value_kind:     by_value
    .group_segment_fixed_size: 0
    .kernarg_segment_align: 8
    .kernarg_segment_size: 72
    .language:       OpenCL C
    .language_version:
      - 2
      - 0
    .max_flat_workgroup_size: 128
    .name:           _ZN9rocsparseL19gebsrmvn_3xn_kernelILj128ELj1ELj8EdEEvi20rocsparse_direction_NS_24const_host_device_scalarIT2_EEPKiS6_PKS3_S8_S4_PS3_21rocsparse_index_base_b
    .private_segment_fixed_size: 0
    .sgpr_count:     18
    .sgpr_spill_count: 0
    .symbol:         _ZN9rocsparseL19gebsrmvn_3xn_kernelILj128ELj1ELj8EdEEvi20rocsparse_direction_NS_24const_host_device_scalarIT2_EEPKiS6_PKS3_S8_S4_PS3_21rocsparse_index_base_b.kd
    .uniform_work_group_size: 1
    .uses_dynamic_stack: false
    .vgpr_count:     27
    .vgpr_spill_count: 0
    .wavefront_size: 32
    .workgroup_processor_mode: 1
  - .args:
      - .offset:         0
        .size:           4
        .value_kind:     by_value
      - .offset:         4
        .size:           4
        .value_kind:     by_value
      - .offset:         8
        .size:           8
        .value_kind:     by_value
      - .actual_access:  read_only
        .address_space:  global
        .offset:         16
        .size:           8
        .value_kind:     global_buffer
      - .actual_access:  read_only
        .address_space:  global
        .offset:         24
        .size:           8
        .value_kind:     global_buffer
      - .actual_access:  read_only
        .address_space:  global
        .offset:         32
        .size:           8
        .value_kind:     global_buffer
      - .actual_access:  read_only
        .address_space:  global
        .offset:         40
        .size:           8
        .value_kind:     global_buffer
      - .offset:         48
        .size:           8
        .value_kind:     by_value
      - .address_space:  global
        .offset:         56
        .size:           8
        .value_kind:     global_buffer
      - .offset:         64
        .size:           4
        .value_kind:     by_value
      - .offset:         68
        .size:           1
        .value_kind:     by_value
    .group_segment_fixed_size: 0
    .kernarg_segment_align: 8
    .kernarg_segment_size: 72
    .language:       OpenCL C
    .language_version:
      - 2
      - 0
    .max_flat_workgroup_size: 128
    .name:           _ZN9rocsparseL19gebsrmvn_3xn_kernelILj128ELj1ELj16EdEEvi20rocsparse_direction_NS_24const_host_device_scalarIT2_EEPKiS6_PKS3_S8_S4_PS3_21rocsparse_index_base_b
    .private_segment_fixed_size: 0
    .sgpr_count:     18
    .sgpr_spill_count: 0
    .symbol:         _ZN9rocsparseL19gebsrmvn_3xn_kernelILj128ELj1ELj16EdEEvi20rocsparse_direction_NS_24const_host_device_scalarIT2_EEPKiS6_PKS3_S8_S4_PS3_21rocsparse_index_base_b.kd
    .uniform_work_group_size: 1
    .uses_dynamic_stack: false
    .vgpr_count:     27
    .vgpr_spill_count: 0
    .wavefront_size: 32
    .workgroup_processor_mode: 1
  - .args:
      - .offset:         0
        .size:           4
        .value_kind:     by_value
      - .offset:         4
        .size:           4
        .value_kind:     by_value
      - .offset:         8
        .size:           8
        .value_kind:     by_value
      - .actual_access:  read_only
        .address_space:  global
        .offset:         16
        .size:           8
        .value_kind:     global_buffer
      - .actual_access:  read_only
        .address_space:  global
        .offset:         24
        .size:           8
        .value_kind:     global_buffer
      - .actual_access:  read_only
        .address_space:  global
        .offset:         32
        .size:           8
        .value_kind:     global_buffer
      - .actual_access:  read_only
        .address_space:  global
        .offset:         40
        .size:           8
        .value_kind:     global_buffer
      - .offset:         48
        .size:           8
        .value_kind:     by_value
      - .address_space:  global
        .offset:         56
        .size:           8
        .value_kind:     global_buffer
      - .offset:         64
        .size:           4
        .value_kind:     by_value
      - .offset:         68
        .size:           1
        .value_kind:     by_value
    .group_segment_fixed_size: 0
    .kernarg_segment_align: 8
    .kernarg_segment_size: 72
    .language:       OpenCL C
    .language_version:
      - 2
      - 0
    .max_flat_workgroup_size: 128
    .name:           _ZN9rocsparseL19gebsrmvn_3xn_kernelILj128ELj1ELj32EdEEvi20rocsparse_direction_NS_24const_host_device_scalarIT2_EEPKiS6_PKS3_S8_S4_PS3_21rocsparse_index_base_b
    .private_segment_fixed_size: 0
    .sgpr_count:     18
    .sgpr_spill_count: 0
    .symbol:         _ZN9rocsparseL19gebsrmvn_3xn_kernelILj128ELj1ELj32EdEEvi20rocsparse_direction_NS_24const_host_device_scalarIT2_EEPKiS6_PKS3_S8_S4_PS3_21rocsparse_index_base_b.kd
    .uniform_work_group_size: 1
    .uses_dynamic_stack: false
    .vgpr_count:     27
    .vgpr_spill_count: 0
    .wavefront_size: 32
    .workgroup_processor_mode: 1
  - .args:
      - .offset:         0
        .size:           4
        .value_kind:     by_value
      - .offset:         4
        .size:           4
        .value_kind:     by_value
      - .offset:         8
        .size:           8
        .value_kind:     by_value
      - .actual_access:  read_only
        .address_space:  global
        .offset:         16
        .size:           8
        .value_kind:     global_buffer
      - .actual_access:  read_only
        .address_space:  global
        .offset:         24
        .size:           8
        .value_kind:     global_buffer
      - .actual_access:  read_only
        .address_space:  global
        .offset:         32
        .size:           8
        .value_kind:     global_buffer
      - .actual_access:  read_only
        .address_space:  global
        .offset:         40
        .size:           8
        .value_kind:     global_buffer
      - .offset:         48
        .size:           8
        .value_kind:     by_value
      - .address_space:  global
        .offset:         56
        .size:           8
        .value_kind:     global_buffer
      - .offset:         64
        .size:           4
        .value_kind:     by_value
      - .offset:         68
        .size:           1
        .value_kind:     by_value
    .group_segment_fixed_size: 0
    .kernarg_segment_align: 8
    .kernarg_segment_size: 72
    .language:       OpenCL C
    .language_version:
      - 2
      - 0
    .max_flat_workgroup_size: 128
    .name:           _ZN9rocsparseL19gebsrmvn_3xn_kernelILj128ELj1ELj64EdEEvi20rocsparse_direction_NS_24const_host_device_scalarIT2_EEPKiS6_PKS3_S8_S4_PS3_21rocsparse_index_base_b
    .private_segment_fixed_size: 0
    .sgpr_count:     18
    .sgpr_spill_count: 0
    .symbol:         _ZN9rocsparseL19gebsrmvn_3xn_kernelILj128ELj1ELj64EdEEvi20rocsparse_direction_NS_24const_host_device_scalarIT2_EEPKiS6_PKS3_S8_S4_PS3_21rocsparse_index_base_b.kd
    .uniform_work_group_size: 1
    .uses_dynamic_stack: false
    .vgpr_count:     27
    .vgpr_spill_count: 0
    .wavefront_size: 32
    .workgroup_processor_mode: 1
  - .args:
      - .offset:         0
        .size:           4
        .value_kind:     by_value
      - .offset:         4
        .size:           4
        .value_kind:     by_value
      - .offset:         8
        .size:           8
        .value_kind:     by_value
      - .actual_access:  read_only
        .address_space:  global
        .offset:         16
        .size:           8
        .value_kind:     global_buffer
      - .actual_access:  read_only
        .address_space:  global
        .offset:         24
        .size:           8
        .value_kind:     global_buffer
      - .actual_access:  read_only
        .address_space:  global
        .offset:         32
        .size:           8
        .value_kind:     global_buffer
      - .actual_access:  read_only
        .address_space:  global
        .offset:         40
        .size:           8
        .value_kind:     global_buffer
      - .offset:         48
        .size:           8
        .value_kind:     by_value
      - .address_space:  global
        .offset:         56
        .size:           8
        .value_kind:     global_buffer
      - .offset:         64
        .size:           4
        .value_kind:     by_value
      - .offset:         68
        .size:           1
        .value_kind:     by_value
    .group_segment_fixed_size: 0
    .kernarg_segment_align: 8
    .kernarg_segment_size: 72
    .language:       OpenCL C
    .language_version:
      - 2
      - 0
    .max_flat_workgroup_size: 128
    .name:           _ZN9rocsparseL19gebsrmvn_3xn_kernelILj128ELj2ELj4EdEEvi20rocsparse_direction_NS_24const_host_device_scalarIT2_EEPKiS6_PKS3_S8_S4_PS3_21rocsparse_index_base_b
    .private_segment_fixed_size: 0
    .sgpr_count:     18
    .sgpr_spill_count: 0
    .symbol:         _ZN9rocsparseL19gebsrmvn_3xn_kernelILj128ELj2ELj4EdEEvi20rocsparse_direction_NS_24const_host_device_scalarIT2_EEPKiS6_PKS3_S8_S4_PS3_21rocsparse_index_base_b.kd
    .uniform_work_group_size: 1
    .uses_dynamic_stack: false
    .vgpr_count:     34
    .vgpr_spill_count: 0
    .wavefront_size: 32
    .workgroup_processor_mode: 1
  - .args:
      - .offset:         0
        .size:           4
        .value_kind:     by_value
      - .offset:         4
        .size:           4
        .value_kind:     by_value
      - .offset:         8
        .size:           8
        .value_kind:     by_value
      - .actual_access:  read_only
        .address_space:  global
        .offset:         16
        .size:           8
        .value_kind:     global_buffer
      - .actual_access:  read_only
        .address_space:  global
        .offset:         24
        .size:           8
        .value_kind:     global_buffer
      - .actual_access:  read_only
        .address_space:  global
        .offset:         32
        .size:           8
        .value_kind:     global_buffer
      - .actual_access:  read_only
        .address_space:  global
        .offset:         40
        .size:           8
        .value_kind:     global_buffer
      - .offset:         48
        .size:           8
        .value_kind:     by_value
      - .address_space:  global
        .offset:         56
        .size:           8
        .value_kind:     global_buffer
      - .offset:         64
        .size:           4
        .value_kind:     by_value
      - .offset:         68
        .size:           1
        .value_kind:     by_value
    .group_segment_fixed_size: 0
    .kernarg_segment_align: 8
    .kernarg_segment_size: 72
    .language:       OpenCL C
    .language_version:
      - 2
      - 0
    .max_flat_workgroup_size: 128
    .name:           _ZN9rocsparseL19gebsrmvn_3xn_kernelILj128ELj2ELj8EdEEvi20rocsparse_direction_NS_24const_host_device_scalarIT2_EEPKiS6_PKS3_S8_S4_PS3_21rocsparse_index_base_b
    .private_segment_fixed_size: 0
    .sgpr_count:     18
    .sgpr_spill_count: 0
    .symbol:         _ZN9rocsparseL19gebsrmvn_3xn_kernelILj128ELj2ELj8EdEEvi20rocsparse_direction_NS_24const_host_device_scalarIT2_EEPKiS6_PKS3_S8_S4_PS3_21rocsparse_index_base_b.kd
    .uniform_work_group_size: 1
    .uses_dynamic_stack: false
    .vgpr_count:     34
    .vgpr_spill_count: 0
    .wavefront_size: 32
    .workgroup_processor_mode: 1
  - .args:
      - .offset:         0
        .size:           4
        .value_kind:     by_value
      - .offset:         4
        .size:           4
        .value_kind:     by_value
      - .offset:         8
        .size:           8
        .value_kind:     by_value
      - .actual_access:  read_only
        .address_space:  global
        .offset:         16
        .size:           8
        .value_kind:     global_buffer
      - .actual_access:  read_only
        .address_space:  global
        .offset:         24
        .size:           8
        .value_kind:     global_buffer
      - .actual_access:  read_only
        .address_space:  global
        .offset:         32
        .size:           8
        .value_kind:     global_buffer
      - .actual_access:  read_only
        .address_space:  global
        .offset:         40
        .size:           8
        .value_kind:     global_buffer
      - .offset:         48
        .size:           8
        .value_kind:     by_value
      - .address_space:  global
        .offset:         56
        .size:           8
        .value_kind:     global_buffer
      - .offset:         64
        .size:           4
        .value_kind:     by_value
      - .offset:         68
        .size:           1
        .value_kind:     by_value
    .group_segment_fixed_size: 0
    .kernarg_segment_align: 8
    .kernarg_segment_size: 72
    .language:       OpenCL C
    .language_version:
      - 2
      - 0
    .max_flat_workgroup_size: 128
    .name:           _ZN9rocsparseL19gebsrmvn_3xn_kernelILj128ELj2ELj16EdEEvi20rocsparse_direction_NS_24const_host_device_scalarIT2_EEPKiS6_PKS3_S8_S4_PS3_21rocsparse_index_base_b
    .private_segment_fixed_size: 0
    .sgpr_count:     18
    .sgpr_spill_count: 0
    .symbol:         _ZN9rocsparseL19gebsrmvn_3xn_kernelILj128ELj2ELj16EdEEvi20rocsparse_direction_NS_24const_host_device_scalarIT2_EEPKiS6_PKS3_S8_S4_PS3_21rocsparse_index_base_b.kd
    .uniform_work_group_size: 1
    .uses_dynamic_stack: false
    .vgpr_count:     34
    .vgpr_spill_count: 0
    .wavefront_size: 32
    .workgroup_processor_mode: 1
  - .args:
      - .offset:         0
        .size:           4
        .value_kind:     by_value
      - .offset:         4
        .size:           4
        .value_kind:     by_value
      - .offset:         8
        .size:           8
        .value_kind:     by_value
      - .actual_access:  read_only
        .address_space:  global
        .offset:         16
        .size:           8
        .value_kind:     global_buffer
      - .actual_access:  read_only
        .address_space:  global
        .offset:         24
        .size:           8
        .value_kind:     global_buffer
      - .actual_access:  read_only
        .address_space:  global
        .offset:         32
        .size:           8
        .value_kind:     global_buffer
      - .actual_access:  read_only
        .address_space:  global
        .offset:         40
        .size:           8
        .value_kind:     global_buffer
      - .offset:         48
        .size:           8
        .value_kind:     by_value
      - .address_space:  global
        .offset:         56
        .size:           8
        .value_kind:     global_buffer
      - .offset:         64
        .size:           4
        .value_kind:     by_value
      - .offset:         68
        .size:           1
        .value_kind:     by_value
    .group_segment_fixed_size: 0
    .kernarg_segment_align: 8
    .kernarg_segment_size: 72
    .language:       OpenCL C
    .language_version:
      - 2
      - 0
    .max_flat_workgroup_size: 128
    .name:           _ZN9rocsparseL19gebsrmvn_3xn_kernelILj128ELj2ELj32EdEEvi20rocsparse_direction_NS_24const_host_device_scalarIT2_EEPKiS6_PKS3_S8_S4_PS3_21rocsparse_index_base_b
    .private_segment_fixed_size: 0
    .sgpr_count:     18
    .sgpr_spill_count: 0
    .symbol:         _ZN9rocsparseL19gebsrmvn_3xn_kernelILj128ELj2ELj32EdEEvi20rocsparse_direction_NS_24const_host_device_scalarIT2_EEPKiS6_PKS3_S8_S4_PS3_21rocsparse_index_base_b.kd
    .uniform_work_group_size: 1
    .uses_dynamic_stack: false
    .vgpr_count:     34
    .vgpr_spill_count: 0
    .wavefront_size: 32
    .workgroup_processor_mode: 1
  - .args:
      - .offset:         0
        .size:           4
        .value_kind:     by_value
      - .offset:         4
        .size:           4
        .value_kind:     by_value
      - .offset:         8
        .size:           8
        .value_kind:     by_value
      - .actual_access:  read_only
        .address_space:  global
        .offset:         16
        .size:           8
        .value_kind:     global_buffer
      - .actual_access:  read_only
        .address_space:  global
        .offset:         24
        .size:           8
        .value_kind:     global_buffer
      - .actual_access:  read_only
        .address_space:  global
        .offset:         32
        .size:           8
        .value_kind:     global_buffer
      - .actual_access:  read_only
        .address_space:  global
        .offset:         40
        .size:           8
        .value_kind:     global_buffer
      - .offset:         48
        .size:           8
        .value_kind:     by_value
      - .address_space:  global
        .offset:         56
        .size:           8
        .value_kind:     global_buffer
      - .offset:         64
        .size:           4
        .value_kind:     by_value
      - .offset:         68
        .size:           1
        .value_kind:     by_value
    .group_segment_fixed_size: 0
    .kernarg_segment_align: 8
    .kernarg_segment_size: 72
    .language:       OpenCL C
    .language_version:
      - 2
      - 0
    .max_flat_workgroup_size: 128
    .name:           _ZN9rocsparseL19gebsrmvn_3xn_kernelILj128ELj2ELj64EdEEvi20rocsparse_direction_NS_24const_host_device_scalarIT2_EEPKiS6_PKS3_S8_S4_PS3_21rocsparse_index_base_b
    .private_segment_fixed_size: 0
    .sgpr_count:     18
    .sgpr_spill_count: 0
    .symbol:         _ZN9rocsparseL19gebsrmvn_3xn_kernelILj128ELj2ELj64EdEEvi20rocsparse_direction_NS_24const_host_device_scalarIT2_EEPKiS6_PKS3_S8_S4_PS3_21rocsparse_index_base_b.kd
    .uniform_work_group_size: 1
    .uses_dynamic_stack: false
    .vgpr_count:     34
    .vgpr_spill_count: 0
    .wavefront_size: 32
    .workgroup_processor_mode: 1
  - .args:
      - .offset:         0
        .size:           4
        .value_kind:     by_value
      - .offset:         4
        .size:           4
        .value_kind:     by_value
      - .offset:         8
        .size:           8
        .value_kind:     by_value
      - .actual_access:  read_only
        .address_space:  global
        .offset:         16
        .size:           8
        .value_kind:     global_buffer
      - .actual_access:  read_only
        .address_space:  global
        .offset:         24
        .size:           8
        .value_kind:     global_buffer
      - .actual_access:  read_only
        .address_space:  global
        .offset:         32
        .size:           8
        .value_kind:     global_buffer
      - .actual_access:  read_only
        .address_space:  global
        .offset:         40
        .size:           8
        .value_kind:     global_buffer
      - .offset:         48
        .size:           8
        .value_kind:     by_value
      - .address_space:  global
        .offset:         56
        .size:           8
        .value_kind:     global_buffer
      - .offset:         64
        .size:           4
        .value_kind:     by_value
      - .offset:         68
        .size:           1
        .value_kind:     by_value
    .group_segment_fixed_size: 0
    .kernarg_segment_align: 8
    .kernarg_segment_size: 72
    .language:       OpenCL C
    .language_version:
      - 2
      - 0
    .max_flat_workgroup_size: 128
    .name:           _ZN9rocsparseL19gebsrmvn_3xn_kernelILj128ELj4ELj4EdEEvi20rocsparse_direction_NS_24const_host_device_scalarIT2_EEPKiS6_PKS3_S8_S4_PS3_21rocsparse_index_base_b
    .private_segment_fixed_size: 0
    .sgpr_count:     18
    .sgpr_spill_count: 0
    .symbol:         _ZN9rocsparseL19gebsrmvn_3xn_kernelILj128ELj4ELj4EdEEvi20rocsparse_direction_NS_24const_host_device_scalarIT2_EEPKiS6_PKS3_S8_S4_PS3_21rocsparse_index_base_b.kd
    .uniform_work_group_size: 1
    .uses_dynamic_stack: false
    .vgpr_count:     51
    .vgpr_spill_count: 0
    .wavefront_size: 32
    .workgroup_processor_mode: 1
  - .args:
      - .offset:         0
        .size:           4
        .value_kind:     by_value
      - .offset:         4
        .size:           4
        .value_kind:     by_value
      - .offset:         8
        .size:           8
        .value_kind:     by_value
      - .actual_access:  read_only
        .address_space:  global
        .offset:         16
        .size:           8
        .value_kind:     global_buffer
      - .actual_access:  read_only
        .address_space:  global
        .offset:         24
        .size:           8
        .value_kind:     global_buffer
      - .actual_access:  read_only
        .address_space:  global
        .offset:         32
        .size:           8
        .value_kind:     global_buffer
      - .actual_access:  read_only
        .address_space:  global
        .offset:         40
        .size:           8
        .value_kind:     global_buffer
      - .offset:         48
        .size:           8
        .value_kind:     by_value
      - .address_space:  global
        .offset:         56
        .size:           8
        .value_kind:     global_buffer
      - .offset:         64
        .size:           4
        .value_kind:     by_value
      - .offset:         68
        .size:           1
        .value_kind:     by_value
    .group_segment_fixed_size: 0
    .kernarg_segment_align: 8
    .kernarg_segment_size: 72
    .language:       OpenCL C
    .language_version:
      - 2
      - 0
    .max_flat_workgroup_size: 128
    .name:           _ZN9rocsparseL19gebsrmvn_3xn_kernelILj128ELj4ELj8EdEEvi20rocsparse_direction_NS_24const_host_device_scalarIT2_EEPKiS6_PKS3_S8_S4_PS3_21rocsparse_index_base_b
    .private_segment_fixed_size: 0
    .sgpr_count:     18
    .sgpr_spill_count: 0
    .symbol:         _ZN9rocsparseL19gebsrmvn_3xn_kernelILj128ELj4ELj8EdEEvi20rocsparse_direction_NS_24const_host_device_scalarIT2_EEPKiS6_PKS3_S8_S4_PS3_21rocsparse_index_base_b.kd
    .uniform_work_group_size: 1
    .uses_dynamic_stack: false
    .vgpr_count:     50
    .vgpr_spill_count: 0
    .wavefront_size: 32
    .workgroup_processor_mode: 1
  - .args:
      - .offset:         0
        .size:           4
        .value_kind:     by_value
      - .offset:         4
        .size:           4
        .value_kind:     by_value
      - .offset:         8
        .size:           8
        .value_kind:     by_value
      - .actual_access:  read_only
        .address_space:  global
        .offset:         16
        .size:           8
        .value_kind:     global_buffer
      - .actual_access:  read_only
        .address_space:  global
        .offset:         24
        .size:           8
        .value_kind:     global_buffer
      - .actual_access:  read_only
        .address_space:  global
        .offset:         32
        .size:           8
        .value_kind:     global_buffer
      - .actual_access:  read_only
        .address_space:  global
        .offset:         40
        .size:           8
        .value_kind:     global_buffer
      - .offset:         48
        .size:           8
        .value_kind:     by_value
      - .address_space:  global
        .offset:         56
        .size:           8
        .value_kind:     global_buffer
      - .offset:         64
        .size:           4
        .value_kind:     by_value
      - .offset:         68
        .size:           1
        .value_kind:     by_value
    .group_segment_fixed_size: 0
    .kernarg_segment_align: 8
    .kernarg_segment_size: 72
    .language:       OpenCL C
    .language_version:
      - 2
      - 0
    .max_flat_workgroup_size: 128
    .name:           _ZN9rocsparseL19gebsrmvn_3xn_kernelILj128ELj4ELj16EdEEvi20rocsparse_direction_NS_24const_host_device_scalarIT2_EEPKiS6_PKS3_S8_S4_PS3_21rocsparse_index_base_b
    .private_segment_fixed_size: 0
    .sgpr_count:     18
    .sgpr_spill_count: 0
    .symbol:         _ZN9rocsparseL19gebsrmvn_3xn_kernelILj128ELj4ELj16EdEEvi20rocsparse_direction_NS_24const_host_device_scalarIT2_EEPKiS6_PKS3_S8_S4_PS3_21rocsparse_index_base_b.kd
    .uniform_work_group_size: 1
    .uses_dynamic_stack: false
    .vgpr_count:     50
    .vgpr_spill_count: 0
    .wavefront_size: 32
    .workgroup_processor_mode: 1
  - .args:
      - .offset:         0
        .size:           4
        .value_kind:     by_value
      - .offset:         4
        .size:           4
        .value_kind:     by_value
      - .offset:         8
        .size:           8
        .value_kind:     by_value
      - .actual_access:  read_only
        .address_space:  global
        .offset:         16
        .size:           8
        .value_kind:     global_buffer
      - .actual_access:  read_only
        .address_space:  global
        .offset:         24
        .size:           8
        .value_kind:     global_buffer
      - .actual_access:  read_only
        .address_space:  global
        .offset:         32
        .size:           8
        .value_kind:     global_buffer
      - .actual_access:  read_only
        .address_space:  global
        .offset:         40
        .size:           8
        .value_kind:     global_buffer
      - .offset:         48
        .size:           8
        .value_kind:     by_value
      - .address_space:  global
        .offset:         56
        .size:           8
        .value_kind:     global_buffer
      - .offset:         64
        .size:           4
        .value_kind:     by_value
      - .offset:         68
        .size:           1
        .value_kind:     by_value
    .group_segment_fixed_size: 0
    .kernarg_segment_align: 8
    .kernarg_segment_size: 72
    .language:       OpenCL C
    .language_version:
      - 2
      - 0
    .max_flat_workgroup_size: 128
    .name:           _ZN9rocsparseL19gebsrmvn_3xn_kernelILj128ELj4ELj32EdEEvi20rocsparse_direction_NS_24const_host_device_scalarIT2_EEPKiS6_PKS3_S8_S4_PS3_21rocsparse_index_base_b
    .private_segment_fixed_size: 0
    .sgpr_count:     18
    .sgpr_spill_count: 0
    .symbol:         _ZN9rocsparseL19gebsrmvn_3xn_kernelILj128ELj4ELj32EdEEvi20rocsparse_direction_NS_24const_host_device_scalarIT2_EEPKiS6_PKS3_S8_S4_PS3_21rocsparse_index_base_b.kd
    .uniform_work_group_size: 1
    .uses_dynamic_stack: false
    .vgpr_count:     50
    .vgpr_spill_count: 0
    .wavefront_size: 32
    .workgroup_processor_mode: 1
  - .args:
      - .offset:         0
        .size:           4
        .value_kind:     by_value
      - .offset:         4
        .size:           4
        .value_kind:     by_value
      - .offset:         8
        .size:           8
        .value_kind:     by_value
      - .actual_access:  read_only
        .address_space:  global
        .offset:         16
        .size:           8
        .value_kind:     global_buffer
      - .actual_access:  read_only
        .address_space:  global
        .offset:         24
        .size:           8
        .value_kind:     global_buffer
      - .actual_access:  read_only
        .address_space:  global
        .offset:         32
        .size:           8
        .value_kind:     global_buffer
      - .actual_access:  read_only
        .address_space:  global
        .offset:         40
        .size:           8
        .value_kind:     global_buffer
      - .offset:         48
        .size:           8
        .value_kind:     by_value
      - .address_space:  global
        .offset:         56
        .size:           8
        .value_kind:     global_buffer
      - .offset:         64
        .size:           4
        .value_kind:     by_value
      - .offset:         68
        .size:           1
        .value_kind:     by_value
    .group_segment_fixed_size: 0
    .kernarg_segment_align: 8
    .kernarg_segment_size: 72
    .language:       OpenCL C
    .language_version:
      - 2
      - 0
    .max_flat_workgroup_size: 128
    .name:           _ZN9rocsparseL19gebsrmvn_3xn_kernelILj128ELj4ELj64EdEEvi20rocsparse_direction_NS_24const_host_device_scalarIT2_EEPKiS6_PKS3_S8_S4_PS3_21rocsparse_index_base_b
    .private_segment_fixed_size: 0
    .sgpr_count:     18
    .sgpr_spill_count: 0
    .symbol:         _ZN9rocsparseL19gebsrmvn_3xn_kernelILj128ELj4ELj64EdEEvi20rocsparse_direction_NS_24const_host_device_scalarIT2_EEPKiS6_PKS3_S8_S4_PS3_21rocsparse_index_base_b.kd
    .uniform_work_group_size: 1
    .uses_dynamic_stack: false
    .vgpr_count:     50
    .vgpr_spill_count: 0
    .wavefront_size: 32
    .workgroup_processor_mode: 1
  - .args:
      - .offset:         0
        .size:           4
        .value_kind:     by_value
      - .offset:         4
        .size:           4
        .value_kind:     by_value
      - .offset:         8
        .size:           8
        .value_kind:     by_value
      - .actual_access:  read_only
        .address_space:  global
        .offset:         16
        .size:           8
        .value_kind:     global_buffer
      - .actual_access:  read_only
        .address_space:  global
        .offset:         24
        .size:           8
        .value_kind:     global_buffer
      - .actual_access:  read_only
        .address_space:  global
        .offset:         32
        .size:           8
        .value_kind:     global_buffer
      - .actual_access:  read_only
        .address_space:  global
        .offset:         40
        .size:           8
        .value_kind:     global_buffer
      - .offset:         48
        .size:           8
        .value_kind:     by_value
      - .address_space:  global
        .offset:         56
        .size:           8
        .value_kind:     global_buffer
      - .offset:         64
        .size:           4
        .value_kind:     by_value
      - .offset:         68
        .size:           1
        .value_kind:     by_value
    .group_segment_fixed_size: 0
    .kernarg_segment_align: 8
    .kernarg_segment_size: 72
    .language:       OpenCL C
    .language_version:
      - 2
      - 0
    .max_flat_workgroup_size: 128
    .name:           _ZN9rocsparseL19gebsrmvn_3xn_kernelILj128ELj5ELj4EdEEvi20rocsparse_direction_NS_24const_host_device_scalarIT2_EEPKiS6_PKS3_S8_S4_PS3_21rocsparse_index_base_b
    .private_segment_fixed_size: 0
    .sgpr_count:     18
    .sgpr_spill_count: 0
    .symbol:         _ZN9rocsparseL19gebsrmvn_3xn_kernelILj128ELj5ELj4EdEEvi20rocsparse_direction_NS_24const_host_device_scalarIT2_EEPKiS6_PKS3_S8_S4_PS3_21rocsparse_index_base_b.kd
    .uniform_work_group_size: 1
    .uses_dynamic_stack: false
    .vgpr_count:     59
    .vgpr_spill_count: 0
    .wavefront_size: 32
    .workgroup_processor_mode: 1
  - .args:
      - .offset:         0
        .size:           4
        .value_kind:     by_value
      - .offset:         4
        .size:           4
        .value_kind:     by_value
      - .offset:         8
        .size:           8
        .value_kind:     by_value
      - .actual_access:  read_only
        .address_space:  global
        .offset:         16
        .size:           8
        .value_kind:     global_buffer
      - .actual_access:  read_only
        .address_space:  global
        .offset:         24
        .size:           8
        .value_kind:     global_buffer
      - .actual_access:  read_only
        .address_space:  global
        .offset:         32
        .size:           8
        .value_kind:     global_buffer
      - .actual_access:  read_only
        .address_space:  global
        .offset:         40
        .size:           8
        .value_kind:     global_buffer
      - .offset:         48
        .size:           8
        .value_kind:     by_value
      - .address_space:  global
        .offset:         56
        .size:           8
        .value_kind:     global_buffer
      - .offset:         64
        .size:           4
        .value_kind:     by_value
      - .offset:         68
        .size:           1
        .value_kind:     by_value
    .group_segment_fixed_size: 0
    .kernarg_segment_align: 8
    .kernarg_segment_size: 72
    .language:       OpenCL C
    .language_version:
      - 2
      - 0
    .max_flat_workgroup_size: 128
    .name:           _ZN9rocsparseL19gebsrmvn_3xn_kernelILj128ELj5ELj8EdEEvi20rocsparse_direction_NS_24const_host_device_scalarIT2_EEPKiS6_PKS3_S8_S4_PS3_21rocsparse_index_base_b
    .private_segment_fixed_size: 0
    .sgpr_count:     18
    .sgpr_spill_count: 0
    .symbol:         _ZN9rocsparseL19gebsrmvn_3xn_kernelILj128ELj5ELj8EdEEvi20rocsparse_direction_NS_24const_host_device_scalarIT2_EEPKiS6_PKS3_S8_S4_PS3_21rocsparse_index_base_b.kd
    .uniform_work_group_size: 1
    .uses_dynamic_stack: false
    .vgpr_count:     59
    .vgpr_spill_count: 0
    .wavefront_size: 32
    .workgroup_processor_mode: 1
  - .args:
      - .offset:         0
        .size:           4
        .value_kind:     by_value
      - .offset:         4
        .size:           4
        .value_kind:     by_value
      - .offset:         8
        .size:           8
        .value_kind:     by_value
      - .actual_access:  read_only
        .address_space:  global
        .offset:         16
        .size:           8
        .value_kind:     global_buffer
      - .actual_access:  read_only
        .address_space:  global
        .offset:         24
        .size:           8
        .value_kind:     global_buffer
      - .actual_access:  read_only
        .address_space:  global
        .offset:         32
        .size:           8
        .value_kind:     global_buffer
      - .actual_access:  read_only
        .address_space:  global
        .offset:         40
        .size:           8
        .value_kind:     global_buffer
      - .offset:         48
        .size:           8
        .value_kind:     by_value
      - .address_space:  global
        .offset:         56
        .size:           8
        .value_kind:     global_buffer
      - .offset:         64
        .size:           4
        .value_kind:     by_value
      - .offset:         68
        .size:           1
        .value_kind:     by_value
    .group_segment_fixed_size: 0
    .kernarg_segment_align: 8
    .kernarg_segment_size: 72
    .language:       OpenCL C
    .language_version:
      - 2
      - 0
    .max_flat_workgroup_size: 128
    .name:           _ZN9rocsparseL19gebsrmvn_3xn_kernelILj128ELj5ELj16EdEEvi20rocsparse_direction_NS_24const_host_device_scalarIT2_EEPKiS6_PKS3_S8_S4_PS3_21rocsparse_index_base_b
    .private_segment_fixed_size: 0
    .sgpr_count:     18
    .sgpr_spill_count: 0
    .symbol:         _ZN9rocsparseL19gebsrmvn_3xn_kernelILj128ELj5ELj16EdEEvi20rocsparse_direction_NS_24const_host_device_scalarIT2_EEPKiS6_PKS3_S8_S4_PS3_21rocsparse_index_base_b.kd
    .uniform_work_group_size: 1
    .uses_dynamic_stack: false
    .vgpr_count:     59
    .vgpr_spill_count: 0
    .wavefront_size: 32
    .workgroup_processor_mode: 1
  - .args:
      - .offset:         0
        .size:           4
        .value_kind:     by_value
      - .offset:         4
        .size:           4
        .value_kind:     by_value
      - .offset:         8
        .size:           8
        .value_kind:     by_value
      - .actual_access:  read_only
        .address_space:  global
        .offset:         16
        .size:           8
        .value_kind:     global_buffer
      - .actual_access:  read_only
        .address_space:  global
        .offset:         24
        .size:           8
        .value_kind:     global_buffer
      - .actual_access:  read_only
        .address_space:  global
        .offset:         32
        .size:           8
        .value_kind:     global_buffer
      - .actual_access:  read_only
        .address_space:  global
        .offset:         40
        .size:           8
        .value_kind:     global_buffer
      - .offset:         48
        .size:           8
        .value_kind:     by_value
      - .address_space:  global
        .offset:         56
        .size:           8
        .value_kind:     global_buffer
      - .offset:         64
        .size:           4
        .value_kind:     by_value
      - .offset:         68
        .size:           1
        .value_kind:     by_value
    .group_segment_fixed_size: 0
    .kernarg_segment_align: 8
    .kernarg_segment_size: 72
    .language:       OpenCL C
    .language_version:
      - 2
      - 0
    .max_flat_workgroup_size: 128
    .name:           _ZN9rocsparseL19gebsrmvn_3xn_kernelILj128ELj5ELj32EdEEvi20rocsparse_direction_NS_24const_host_device_scalarIT2_EEPKiS6_PKS3_S8_S4_PS3_21rocsparse_index_base_b
    .private_segment_fixed_size: 0
    .sgpr_count:     18
    .sgpr_spill_count: 0
    .symbol:         _ZN9rocsparseL19gebsrmvn_3xn_kernelILj128ELj5ELj32EdEEvi20rocsparse_direction_NS_24const_host_device_scalarIT2_EEPKiS6_PKS3_S8_S4_PS3_21rocsparse_index_base_b.kd
    .uniform_work_group_size: 1
    .uses_dynamic_stack: false
    .vgpr_count:     59
    .vgpr_spill_count: 0
    .wavefront_size: 32
    .workgroup_processor_mode: 1
  - .args:
      - .offset:         0
        .size:           4
        .value_kind:     by_value
      - .offset:         4
        .size:           4
        .value_kind:     by_value
      - .offset:         8
        .size:           8
        .value_kind:     by_value
      - .actual_access:  read_only
        .address_space:  global
        .offset:         16
        .size:           8
        .value_kind:     global_buffer
      - .actual_access:  read_only
        .address_space:  global
        .offset:         24
        .size:           8
        .value_kind:     global_buffer
      - .actual_access:  read_only
        .address_space:  global
        .offset:         32
        .size:           8
        .value_kind:     global_buffer
      - .actual_access:  read_only
        .address_space:  global
        .offset:         40
        .size:           8
        .value_kind:     global_buffer
      - .offset:         48
        .size:           8
        .value_kind:     by_value
      - .address_space:  global
        .offset:         56
        .size:           8
        .value_kind:     global_buffer
      - .offset:         64
        .size:           4
        .value_kind:     by_value
      - .offset:         68
        .size:           1
        .value_kind:     by_value
    .group_segment_fixed_size: 0
    .kernarg_segment_align: 8
    .kernarg_segment_size: 72
    .language:       OpenCL C
    .language_version:
      - 2
      - 0
    .max_flat_workgroup_size: 128
    .name:           _ZN9rocsparseL19gebsrmvn_3xn_kernelILj128ELj5ELj64EdEEvi20rocsparse_direction_NS_24const_host_device_scalarIT2_EEPKiS6_PKS3_S8_S4_PS3_21rocsparse_index_base_b
    .private_segment_fixed_size: 0
    .sgpr_count:     18
    .sgpr_spill_count: 0
    .symbol:         _ZN9rocsparseL19gebsrmvn_3xn_kernelILj128ELj5ELj64EdEEvi20rocsparse_direction_NS_24const_host_device_scalarIT2_EEPKiS6_PKS3_S8_S4_PS3_21rocsparse_index_base_b.kd
    .uniform_work_group_size: 1
    .uses_dynamic_stack: false
    .vgpr_count:     59
    .vgpr_spill_count: 0
    .wavefront_size: 32
    .workgroup_processor_mode: 1
  - .args:
      - .offset:         0
        .size:           4
        .value_kind:     by_value
      - .offset:         4
        .size:           4
        .value_kind:     by_value
      - .offset:         8
        .size:           8
        .value_kind:     by_value
      - .actual_access:  read_only
        .address_space:  global
        .offset:         16
        .size:           8
        .value_kind:     global_buffer
      - .actual_access:  read_only
        .address_space:  global
        .offset:         24
        .size:           8
        .value_kind:     global_buffer
      - .actual_access:  read_only
        .address_space:  global
        .offset:         32
        .size:           8
        .value_kind:     global_buffer
      - .actual_access:  read_only
        .address_space:  global
        .offset:         40
        .size:           8
        .value_kind:     global_buffer
      - .offset:         48
        .size:           8
        .value_kind:     by_value
      - .address_space:  global
        .offset:         56
        .size:           8
        .value_kind:     global_buffer
      - .offset:         64
        .size:           4
        .value_kind:     by_value
      - .offset:         68
        .size:           1
        .value_kind:     by_value
    .group_segment_fixed_size: 0
    .kernarg_segment_align: 8
    .kernarg_segment_size: 72
    .language:       OpenCL C
    .language_version:
      - 2
      - 0
    .max_flat_workgroup_size: 128
    .name:           _ZN9rocsparseL19gebsrmvn_3xn_kernelILj128ELj6ELj4EdEEvi20rocsparse_direction_NS_24const_host_device_scalarIT2_EEPKiS6_PKS3_S8_S4_PS3_21rocsparse_index_base_b
    .private_segment_fixed_size: 0
    .sgpr_count:     18
    .sgpr_spill_count: 0
    .symbol:         _ZN9rocsparseL19gebsrmvn_3xn_kernelILj128ELj6ELj4EdEEvi20rocsparse_direction_NS_24const_host_device_scalarIT2_EEPKiS6_PKS3_S8_S4_PS3_21rocsparse_index_base_b.kd
    .uniform_work_group_size: 1
    .uses_dynamic_stack: false
    .vgpr_count:     67
    .vgpr_spill_count: 0
    .wavefront_size: 32
    .workgroup_processor_mode: 1
  - .args:
      - .offset:         0
        .size:           4
        .value_kind:     by_value
      - .offset:         4
        .size:           4
        .value_kind:     by_value
      - .offset:         8
        .size:           8
        .value_kind:     by_value
      - .actual_access:  read_only
        .address_space:  global
        .offset:         16
        .size:           8
        .value_kind:     global_buffer
      - .actual_access:  read_only
        .address_space:  global
        .offset:         24
        .size:           8
        .value_kind:     global_buffer
      - .actual_access:  read_only
        .address_space:  global
        .offset:         32
        .size:           8
        .value_kind:     global_buffer
      - .actual_access:  read_only
        .address_space:  global
        .offset:         40
        .size:           8
        .value_kind:     global_buffer
      - .offset:         48
        .size:           8
        .value_kind:     by_value
      - .address_space:  global
        .offset:         56
        .size:           8
        .value_kind:     global_buffer
      - .offset:         64
        .size:           4
        .value_kind:     by_value
      - .offset:         68
        .size:           1
        .value_kind:     by_value
    .group_segment_fixed_size: 0
    .kernarg_segment_align: 8
    .kernarg_segment_size: 72
    .language:       OpenCL C
    .language_version:
      - 2
      - 0
    .max_flat_workgroup_size: 128
    .name:           _ZN9rocsparseL19gebsrmvn_3xn_kernelILj128ELj6ELj8EdEEvi20rocsparse_direction_NS_24const_host_device_scalarIT2_EEPKiS6_PKS3_S8_S4_PS3_21rocsparse_index_base_b
    .private_segment_fixed_size: 0
    .sgpr_count:     18
    .sgpr_spill_count: 0
    .symbol:         _ZN9rocsparseL19gebsrmvn_3xn_kernelILj128ELj6ELj8EdEEvi20rocsparse_direction_NS_24const_host_device_scalarIT2_EEPKiS6_PKS3_S8_S4_PS3_21rocsparse_index_base_b.kd
    .uniform_work_group_size: 1
    .uses_dynamic_stack: false
    .vgpr_count:     67
    .vgpr_spill_count: 0
    .wavefront_size: 32
    .workgroup_processor_mode: 1
  - .args:
      - .offset:         0
        .size:           4
        .value_kind:     by_value
      - .offset:         4
        .size:           4
        .value_kind:     by_value
      - .offset:         8
        .size:           8
        .value_kind:     by_value
      - .actual_access:  read_only
        .address_space:  global
        .offset:         16
        .size:           8
        .value_kind:     global_buffer
      - .actual_access:  read_only
        .address_space:  global
        .offset:         24
        .size:           8
        .value_kind:     global_buffer
      - .actual_access:  read_only
        .address_space:  global
        .offset:         32
        .size:           8
        .value_kind:     global_buffer
      - .actual_access:  read_only
        .address_space:  global
        .offset:         40
        .size:           8
        .value_kind:     global_buffer
      - .offset:         48
        .size:           8
        .value_kind:     by_value
      - .address_space:  global
        .offset:         56
        .size:           8
        .value_kind:     global_buffer
      - .offset:         64
        .size:           4
        .value_kind:     by_value
      - .offset:         68
        .size:           1
        .value_kind:     by_value
    .group_segment_fixed_size: 0
    .kernarg_segment_align: 8
    .kernarg_segment_size: 72
    .language:       OpenCL C
    .language_version:
      - 2
      - 0
    .max_flat_workgroup_size: 128
    .name:           _ZN9rocsparseL19gebsrmvn_3xn_kernelILj128ELj6ELj16EdEEvi20rocsparse_direction_NS_24const_host_device_scalarIT2_EEPKiS6_PKS3_S8_S4_PS3_21rocsparse_index_base_b
    .private_segment_fixed_size: 0
    .sgpr_count:     18
    .sgpr_spill_count: 0
    .symbol:         _ZN9rocsparseL19gebsrmvn_3xn_kernelILj128ELj6ELj16EdEEvi20rocsparse_direction_NS_24const_host_device_scalarIT2_EEPKiS6_PKS3_S8_S4_PS3_21rocsparse_index_base_b.kd
    .uniform_work_group_size: 1
    .uses_dynamic_stack: false
    .vgpr_count:     67
    .vgpr_spill_count: 0
    .wavefront_size: 32
    .workgroup_processor_mode: 1
  - .args:
      - .offset:         0
        .size:           4
        .value_kind:     by_value
      - .offset:         4
        .size:           4
        .value_kind:     by_value
      - .offset:         8
        .size:           8
        .value_kind:     by_value
      - .actual_access:  read_only
        .address_space:  global
        .offset:         16
        .size:           8
        .value_kind:     global_buffer
      - .actual_access:  read_only
        .address_space:  global
        .offset:         24
        .size:           8
        .value_kind:     global_buffer
      - .actual_access:  read_only
        .address_space:  global
        .offset:         32
        .size:           8
        .value_kind:     global_buffer
      - .actual_access:  read_only
        .address_space:  global
        .offset:         40
        .size:           8
        .value_kind:     global_buffer
      - .offset:         48
        .size:           8
        .value_kind:     by_value
      - .address_space:  global
        .offset:         56
        .size:           8
        .value_kind:     global_buffer
      - .offset:         64
        .size:           4
        .value_kind:     by_value
      - .offset:         68
        .size:           1
        .value_kind:     by_value
    .group_segment_fixed_size: 0
    .kernarg_segment_align: 8
    .kernarg_segment_size: 72
    .language:       OpenCL C
    .language_version:
      - 2
      - 0
    .max_flat_workgroup_size: 128
    .name:           _ZN9rocsparseL19gebsrmvn_3xn_kernelILj128ELj6ELj32EdEEvi20rocsparse_direction_NS_24const_host_device_scalarIT2_EEPKiS6_PKS3_S8_S4_PS3_21rocsparse_index_base_b
    .private_segment_fixed_size: 0
    .sgpr_count:     18
    .sgpr_spill_count: 0
    .symbol:         _ZN9rocsparseL19gebsrmvn_3xn_kernelILj128ELj6ELj32EdEEvi20rocsparse_direction_NS_24const_host_device_scalarIT2_EEPKiS6_PKS3_S8_S4_PS3_21rocsparse_index_base_b.kd
    .uniform_work_group_size: 1
    .uses_dynamic_stack: false
    .vgpr_count:     66
    .vgpr_spill_count: 0
    .wavefront_size: 32
    .workgroup_processor_mode: 1
  - .args:
      - .offset:         0
        .size:           4
        .value_kind:     by_value
      - .offset:         4
        .size:           4
        .value_kind:     by_value
      - .offset:         8
        .size:           8
        .value_kind:     by_value
      - .actual_access:  read_only
        .address_space:  global
        .offset:         16
        .size:           8
        .value_kind:     global_buffer
      - .actual_access:  read_only
        .address_space:  global
        .offset:         24
        .size:           8
        .value_kind:     global_buffer
      - .actual_access:  read_only
        .address_space:  global
        .offset:         32
        .size:           8
        .value_kind:     global_buffer
      - .actual_access:  read_only
        .address_space:  global
        .offset:         40
        .size:           8
        .value_kind:     global_buffer
      - .offset:         48
        .size:           8
        .value_kind:     by_value
      - .address_space:  global
        .offset:         56
        .size:           8
        .value_kind:     global_buffer
      - .offset:         64
        .size:           4
        .value_kind:     by_value
      - .offset:         68
        .size:           1
        .value_kind:     by_value
    .group_segment_fixed_size: 0
    .kernarg_segment_align: 8
    .kernarg_segment_size: 72
    .language:       OpenCL C
    .language_version:
      - 2
      - 0
    .max_flat_workgroup_size: 128
    .name:           _ZN9rocsparseL19gebsrmvn_3xn_kernelILj128ELj6ELj64EdEEvi20rocsparse_direction_NS_24const_host_device_scalarIT2_EEPKiS6_PKS3_S8_S4_PS3_21rocsparse_index_base_b
    .private_segment_fixed_size: 0
    .sgpr_count:     18
    .sgpr_spill_count: 0
    .symbol:         _ZN9rocsparseL19gebsrmvn_3xn_kernelILj128ELj6ELj64EdEEvi20rocsparse_direction_NS_24const_host_device_scalarIT2_EEPKiS6_PKS3_S8_S4_PS3_21rocsparse_index_base_b.kd
    .uniform_work_group_size: 1
    .uses_dynamic_stack: false
    .vgpr_count:     66
    .vgpr_spill_count: 0
    .wavefront_size: 32
    .workgroup_processor_mode: 1
  - .args:
      - .offset:         0
        .size:           4
        .value_kind:     by_value
      - .offset:         4
        .size:           4
        .value_kind:     by_value
      - .offset:         8
        .size:           8
        .value_kind:     by_value
      - .actual_access:  read_only
        .address_space:  global
        .offset:         16
        .size:           8
        .value_kind:     global_buffer
      - .actual_access:  read_only
        .address_space:  global
        .offset:         24
        .size:           8
        .value_kind:     global_buffer
      - .actual_access:  read_only
        .address_space:  global
        .offset:         32
        .size:           8
        .value_kind:     global_buffer
      - .actual_access:  read_only
        .address_space:  global
        .offset:         40
        .size:           8
        .value_kind:     global_buffer
      - .offset:         48
        .size:           8
        .value_kind:     by_value
      - .address_space:  global
        .offset:         56
        .size:           8
        .value_kind:     global_buffer
      - .offset:         64
        .size:           4
        .value_kind:     by_value
      - .offset:         68
        .size:           1
        .value_kind:     by_value
    .group_segment_fixed_size: 0
    .kernarg_segment_align: 8
    .kernarg_segment_size: 72
    .language:       OpenCL C
    .language_version:
      - 2
      - 0
    .max_flat_workgroup_size: 128
    .name:           _ZN9rocsparseL19gebsrmvn_3xn_kernelILj128ELj7ELj4EdEEvi20rocsparse_direction_NS_24const_host_device_scalarIT2_EEPKiS6_PKS3_S8_S4_PS3_21rocsparse_index_base_b
    .private_segment_fixed_size: 0
    .sgpr_count:     18
    .sgpr_spill_count: 0
    .symbol:         _ZN9rocsparseL19gebsrmvn_3xn_kernelILj128ELj7ELj4EdEEvi20rocsparse_direction_NS_24const_host_device_scalarIT2_EEPKiS6_PKS3_S8_S4_PS3_21rocsparse_index_base_b.kd
    .uniform_work_group_size: 1
    .uses_dynamic_stack: false
    .vgpr_count:     75
    .vgpr_spill_count: 0
    .wavefront_size: 32
    .workgroup_processor_mode: 1
  - .args:
      - .offset:         0
        .size:           4
        .value_kind:     by_value
      - .offset:         4
        .size:           4
        .value_kind:     by_value
      - .offset:         8
        .size:           8
        .value_kind:     by_value
      - .actual_access:  read_only
        .address_space:  global
        .offset:         16
        .size:           8
        .value_kind:     global_buffer
      - .actual_access:  read_only
        .address_space:  global
        .offset:         24
        .size:           8
        .value_kind:     global_buffer
      - .actual_access:  read_only
        .address_space:  global
        .offset:         32
        .size:           8
        .value_kind:     global_buffer
      - .actual_access:  read_only
        .address_space:  global
        .offset:         40
        .size:           8
        .value_kind:     global_buffer
      - .offset:         48
        .size:           8
        .value_kind:     by_value
      - .address_space:  global
        .offset:         56
        .size:           8
        .value_kind:     global_buffer
      - .offset:         64
        .size:           4
        .value_kind:     by_value
      - .offset:         68
        .size:           1
        .value_kind:     by_value
    .group_segment_fixed_size: 0
    .kernarg_segment_align: 8
    .kernarg_segment_size: 72
    .language:       OpenCL C
    .language_version:
      - 2
      - 0
    .max_flat_workgroup_size: 128
    .name:           _ZN9rocsparseL19gebsrmvn_3xn_kernelILj128ELj7ELj8EdEEvi20rocsparse_direction_NS_24const_host_device_scalarIT2_EEPKiS6_PKS3_S8_S4_PS3_21rocsparse_index_base_b
    .private_segment_fixed_size: 0
    .sgpr_count:     18
    .sgpr_spill_count: 0
    .symbol:         _ZN9rocsparseL19gebsrmvn_3xn_kernelILj128ELj7ELj8EdEEvi20rocsparse_direction_NS_24const_host_device_scalarIT2_EEPKiS6_PKS3_S8_S4_PS3_21rocsparse_index_base_b.kd
    .uniform_work_group_size: 1
    .uses_dynamic_stack: false
    .vgpr_count:     75
    .vgpr_spill_count: 0
    .wavefront_size: 32
    .workgroup_processor_mode: 1
  - .args:
      - .offset:         0
        .size:           4
        .value_kind:     by_value
      - .offset:         4
        .size:           4
        .value_kind:     by_value
      - .offset:         8
        .size:           8
        .value_kind:     by_value
      - .actual_access:  read_only
        .address_space:  global
        .offset:         16
        .size:           8
        .value_kind:     global_buffer
      - .actual_access:  read_only
        .address_space:  global
        .offset:         24
        .size:           8
        .value_kind:     global_buffer
      - .actual_access:  read_only
        .address_space:  global
        .offset:         32
        .size:           8
        .value_kind:     global_buffer
      - .actual_access:  read_only
        .address_space:  global
        .offset:         40
        .size:           8
        .value_kind:     global_buffer
      - .offset:         48
        .size:           8
        .value_kind:     by_value
      - .address_space:  global
        .offset:         56
        .size:           8
        .value_kind:     global_buffer
      - .offset:         64
        .size:           4
        .value_kind:     by_value
      - .offset:         68
        .size:           1
        .value_kind:     by_value
    .group_segment_fixed_size: 0
    .kernarg_segment_align: 8
    .kernarg_segment_size: 72
    .language:       OpenCL C
    .language_version:
      - 2
      - 0
    .max_flat_workgroup_size: 128
    .name:           _ZN9rocsparseL19gebsrmvn_3xn_kernelILj128ELj7ELj16EdEEvi20rocsparse_direction_NS_24const_host_device_scalarIT2_EEPKiS6_PKS3_S8_S4_PS3_21rocsparse_index_base_b
    .private_segment_fixed_size: 0
    .sgpr_count:     18
    .sgpr_spill_count: 0
    .symbol:         _ZN9rocsparseL19gebsrmvn_3xn_kernelILj128ELj7ELj16EdEEvi20rocsparse_direction_NS_24const_host_device_scalarIT2_EEPKiS6_PKS3_S8_S4_PS3_21rocsparse_index_base_b.kd
    .uniform_work_group_size: 1
    .uses_dynamic_stack: false
    .vgpr_count:     75
    .vgpr_spill_count: 0
    .wavefront_size: 32
    .workgroup_processor_mode: 1
  - .args:
      - .offset:         0
        .size:           4
        .value_kind:     by_value
      - .offset:         4
        .size:           4
        .value_kind:     by_value
      - .offset:         8
        .size:           8
        .value_kind:     by_value
      - .actual_access:  read_only
        .address_space:  global
        .offset:         16
        .size:           8
        .value_kind:     global_buffer
      - .actual_access:  read_only
        .address_space:  global
        .offset:         24
        .size:           8
        .value_kind:     global_buffer
      - .actual_access:  read_only
        .address_space:  global
        .offset:         32
        .size:           8
        .value_kind:     global_buffer
      - .actual_access:  read_only
        .address_space:  global
        .offset:         40
        .size:           8
        .value_kind:     global_buffer
      - .offset:         48
        .size:           8
        .value_kind:     by_value
      - .address_space:  global
        .offset:         56
        .size:           8
        .value_kind:     global_buffer
      - .offset:         64
        .size:           4
        .value_kind:     by_value
      - .offset:         68
        .size:           1
        .value_kind:     by_value
    .group_segment_fixed_size: 0
    .kernarg_segment_align: 8
    .kernarg_segment_size: 72
    .language:       OpenCL C
    .language_version:
      - 2
      - 0
    .max_flat_workgroup_size: 128
    .name:           _ZN9rocsparseL19gebsrmvn_3xn_kernelILj128ELj7ELj32EdEEvi20rocsparse_direction_NS_24const_host_device_scalarIT2_EEPKiS6_PKS3_S8_S4_PS3_21rocsparse_index_base_b
    .private_segment_fixed_size: 0
    .sgpr_count:     18
    .sgpr_spill_count: 0
    .symbol:         _ZN9rocsparseL19gebsrmvn_3xn_kernelILj128ELj7ELj32EdEEvi20rocsparse_direction_NS_24const_host_device_scalarIT2_EEPKiS6_PKS3_S8_S4_PS3_21rocsparse_index_base_b.kd
    .uniform_work_group_size: 1
    .uses_dynamic_stack: false
    .vgpr_count:     75
    .vgpr_spill_count: 0
    .wavefront_size: 32
    .workgroup_processor_mode: 1
  - .args:
      - .offset:         0
        .size:           4
        .value_kind:     by_value
      - .offset:         4
        .size:           4
        .value_kind:     by_value
      - .offset:         8
        .size:           8
        .value_kind:     by_value
      - .actual_access:  read_only
        .address_space:  global
        .offset:         16
        .size:           8
        .value_kind:     global_buffer
      - .actual_access:  read_only
        .address_space:  global
        .offset:         24
        .size:           8
        .value_kind:     global_buffer
      - .actual_access:  read_only
        .address_space:  global
        .offset:         32
        .size:           8
        .value_kind:     global_buffer
      - .actual_access:  read_only
        .address_space:  global
        .offset:         40
        .size:           8
        .value_kind:     global_buffer
      - .offset:         48
        .size:           8
        .value_kind:     by_value
      - .address_space:  global
        .offset:         56
        .size:           8
        .value_kind:     global_buffer
      - .offset:         64
        .size:           4
        .value_kind:     by_value
      - .offset:         68
        .size:           1
        .value_kind:     by_value
    .group_segment_fixed_size: 0
    .kernarg_segment_align: 8
    .kernarg_segment_size: 72
    .language:       OpenCL C
    .language_version:
      - 2
      - 0
    .max_flat_workgroup_size: 128
    .name:           _ZN9rocsparseL19gebsrmvn_3xn_kernelILj128ELj7ELj64EdEEvi20rocsparse_direction_NS_24const_host_device_scalarIT2_EEPKiS6_PKS3_S8_S4_PS3_21rocsparse_index_base_b
    .private_segment_fixed_size: 0
    .sgpr_count:     18
    .sgpr_spill_count: 0
    .symbol:         _ZN9rocsparseL19gebsrmvn_3xn_kernelILj128ELj7ELj64EdEEvi20rocsparse_direction_NS_24const_host_device_scalarIT2_EEPKiS6_PKS3_S8_S4_PS3_21rocsparse_index_base_b.kd
    .uniform_work_group_size: 1
    .uses_dynamic_stack: false
    .vgpr_count:     75
    .vgpr_spill_count: 0
    .wavefront_size: 32
    .workgroup_processor_mode: 1
  - .args:
      - .offset:         0
        .size:           4
        .value_kind:     by_value
      - .offset:         4
        .size:           4
        .value_kind:     by_value
      - .offset:         8
        .size:           8
        .value_kind:     by_value
      - .actual_access:  read_only
        .address_space:  global
        .offset:         16
        .size:           8
        .value_kind:     global_buffer
      - .actual_access:  read_only
        .address_space:  global
        .offset:         24
        .size:           8
        .value_kind:     global_buffer
      - .actual_access:  read_only
        .address_space:  global
        .offset:         32
        .size:           8
        .value_kind:     global_buffer
      - .actual_access:  read_only
        .address_space:  global
        .offset:         40
        .size:           8
        .value_kind:     global_buffer
      - .offset:         48
        .size:           8
        .value_kind:     by_value
      - .address_space:  global
        .offset:         56
        .size:           8
        .value_kind:     global_buffer
      - .offset:         64
        .size:           4
        .value_kind:     by_value
      - .offset:         68
        .size:           1
        .value_kind:     by_value
    .group_segment_fixed_size: 0
    .kernarg_segment_align: 8
    .kernarg_segment_size: 72
    .language:       OpenCL C
    .language_version:
      - 2
      - 0
    .max_flat_workgroup_size: 128
    .name:           _ZN9rocsparseL19gebsrmvn_3xn_kernelILj128ELj8ELj4EdEEvi20rocsparse_direction_NS_24const_host_device_scalarIT2_EEPKiS6_PKS3_S8_S4_PS3_21rocsparse_index_base_b
    .private_segment_fixed_size: 0
    .sgpr_count:     18
    .sgpr_spill_count: 0
    .symbol:         _ZN9rocsparseL19gebsrmvn_3xn_kernelILj128ELj8ELj4EdEEvi20rocsparse_direction_NS_24const_host_device_scalarIT2_EEPKiS6_PKS3_S8_S4_PS3_21rocsparse_index_base_b.kd
    .uniform_work_group_size: 1
    .uses_dynamic_stack: false
    .vgpr_count:     69
    .vgpr_spill_count: 0
    .wavefront_size: 32
    .workgroup_processor_mode: 1
  - .args:
      - .offset:         0
        .size:           4
        .value_kind:     by_value
      - .offset:         4
        .size:           4
        .value_kind:     by_value
      - .offset:         8
        .size:           8
        .value_kind:     by_value
      - .actual_access:  read_only
        .address_space:  global
        .offset:         16
        .size:           8
        .value_kind:     global_buffer
      - .actual_access:  read_only
        .address_space:  global
        .offset:         24
        .size:           8
        .value_kind:     global_buffer
      - .actual_access:  read_only
        .address_space:  global
        .offset:         32
        .size:           8
        .value_kind:     global_buffer
      - .actual_access:  read_only
        .address_space:  global
        .offset:         40
        .size:           8
        .value_kind:     global_buffer
      - .offset:         48
        .size:           8
        .value_kind:     by_value
      - .address_space:  global
        .offset:         56
        .size:           8
        .value_kind:     global_buffer
      - .offset:         64
        .size:           4
        .value_kind:     by_value
      - .offset:         68
        .size:           1
        .value_kind:     by_value
    .group_segment_fixed_size: 0
    .kernarg_segment_align: 8
    .kernarg_segment_size: 72
    .language:       OpenCL C
    .language_version:
      - 2
      - 0
    .max_flat_workgroup_size: 128
    .name:           _ZN9rocsparseL19gebsrmvn_3xn_kernelILj128ELj8ELj8EdEEvi20rocsparse_direction_NS_24const_host_device_scalarIT2_EEPKiS6_PKS3_S8_S4_PS3_21rocsparse_index_base_b
    .private_segment_fixed_size: 0
    .sgpr_count:     18
    .sgpr_spill_count: 0
    .symbol:         _ZN9rocsparseL19gebsrmvn_3xn_kernelILj128ELj8ELj8EdEEvi20rocsparse_direction_NS_24const_host_device_scalarIT2_EEPKiS6_PKS3_S8_S4_PS3_21rocsparse_index_base_b.kd
    .uniform_work_group_size: 1
    .uses_dynamic_stack: false
    .vgpr_count:     69
    .vgpr_spill_count: 0
    .wavefront_size: 32
    .workgroup_processor_mode: 1
  - .args:
      - .offset:         0
        .size:           4
        .value_kind:     by_value
      - .offset:         4
        .size:           4
        .value_kind:     by_value
      - .offset:         8
        .size:           8
        .value_kind:     by_value
      - .actual_access:  read_only
        .address_space:  global
        .offset:         16
        .size:           8
        .value_kind:     global_buffer
      - .actual_access:  read_only
        .address_space:  global
        .offset:         24
        .size:           8
        .value_kind:     global_buffer
      - .actual_access:  read_only
        .address_space:  global
        .offset:         32
        .size:           8
        .value_kind:     global_buffer
      - .actual_access:  read_only
        .address_space:  global
        .offset:         40
        .size:           8
        .value_kind:     global_buffer
      - .offset:         48
        .size:           8
        .value_kind:     by_value
      - .address_space:  global
        .offset:         56
        .size:           8
        .value_kind:     global_buffer
      - .offset:         64
        .size:           4
        .value_kind:     by_value
      - .offset:         68
        .size:           1
        .value_kind:     by_value
    .group_segment_fixed_size: 0
    .kernarg_segment_align: 8
    .kernarg_segment_size: 72
    .language:       OpenCL C
    .language_version:
      - 2
      - 0
    .max_flat_workgroup_size: 128
    .name:           _ZN9rocsparseL19gebsrmvn_3xn_kernelILj128ELj8ELj16EdEEvi20rocsparse_direction_NS_24const_host_device_scalarIT2_EEPKiS6_PKS3_S8_S4_PS3_21rocsparse_index_base_b
    .private_segment_fixed_size: 0
    .sgpr_count:     18
    .sgpr_spill_count: 0
    .symbol:         _ZN9rocsparseL19gebsrmvn_3xn_kernelILj128ELj8ELj16EdEEvi20rocsparse_direction_NS_24const_host_device_scalarIT2_EEPKiS6_PKS3_S8_S4_PS3_21rocsparse_index_base_b.kd
    .uniform_work_group_size: 1
    .uses_dynamic_stack: false
    .vgpr_count:     69
    .vgpr_spill_count: 0
    .wavefront_size: 32
    .workgroup_processor_mode: 1
  - .args:
      - .offset:         0
        .size:           4
        .value_kind:     by_value
      - .offset:         4
        .size:           4
        .value_kind:     by_value
      - .offset:         8
        .size:           8
        .value_kind:     by_value
      - .actual_access:  read_only
        .address_space:  global
        .offset:         16
        .size:           8
        .value_kind:     global_buffer
      - .actual_access:  read_only
        .address_space:  global
        .offset:         24
        .size:           8
        .value_kind:     global_buffer
      - .actual_access:  read_only
        .address_space:  global
        .offset:         32
        .size:           8
        .value_kind:     global_buffer
      - .actual_access:  read_only
        .address_space:  global
        .offset:         40
        .size:           8
        .value_kind:     global_buffer
      - .offset:         48
        .size:           8
        .value_kind:     by_value
      - .address_space:  global
        .offset:         56
        .size:           8
        .value_kind:     global_buffer
      - .offset:         64
        .size:           4
        .value_kind:     by_value
      - .offset:         68
        .size:           1
        .value_kind:     by_value
    .group_segment_fixed_size: 0
    .kernarg_segment_align: 8
    .kernarg_segment_size: 72
    .language:       OpenCL C
    .language_version:
      - 2
      - 0
    .max_flat_workgroup_size: 128
    .name:           _ZN9rocsparseL19gebsrmvn_3xn_kernelILj128ELj8ELj32EdEEvi20rocsparse_direction_NS_24const_host_device_scalarIT2_EEPKiS6_PKS3_S8_S4_PS3_21rocsparse_index_base_b
    .private_segment_fixed_size: 0
    .sgpr_count:     18
    .sgpr_spill_count: 0
    .symbol:         _ZN9rocsparseL19gebsrmvn_3xn_kernelILj128ELj8ELj32EdEEvi20rocsparse_direction_NS_24const_host_device_scalarIT2_EEPKiS6_PKS3_S8_S4_PS3_21rocsparse_index_base_b.kd
    .uniform_work_group_size: 1
    .uses_dynamic_stack: false
    .vgpr_count:     69
    .vgpr_spill_count: 0
    .wavefront_size: 32
    .workgroup_processor_mode: 1
  - .args:
      - .offset:         0
        .size:           4
        .value_kind:     by_value
      - .offset:         4
        .size:           4
        .value_kind:     by_value
      - .offset:         8
        .size:           8
        .value_kind:     by_value
      - .actual_access:  read_only
        .address_space:  global
        .offset:         16
        .size:           8
        .value_kind:     global_buffer
      - .actual_access:  read_only
        .address_space:  global
        .offset:         24
        .size:           8
        .value_kind:     global_buffer
      - .actual_access:  read_only
        .address_space:  global
        .offset:         32
        .size:           8
        .value_kind:     global_buffer
      - .actual_access:  read_only
        .address_space:  global
        .offset:         40
        .size:           8
        .value_kind:     global_buffer
      - .offset:         48
        .size:           8
        .value_kind:     by_value
      - .address_space:  global
        .offset:         56
        .size:           8
        .value_kind:     global_buffer
      - .offset:         64
        .size:           4
        .value_kind:     by_value
      - .offset:         68
        .size:           1
        .value_kind:     by_value
    .group_segment_fixed_size: 0
    .kernarg_segment_align: 8
    .kernarg_segment_size: 72
    .language:       OpenCL C
    .language_version:
      - 2
      - 0
    .max_flat_workgroup_size: 128
    .name:           _ZN9rocsparseL19gebsrmvn_3xn_kernelILj128ELj8ELj64EdEEvi20rocsparse_direction_NS_24const_host_device_scalarIT2_EEPKiS6_PKS3_S8_S4_PS3_21rocsparse_index_base_b
    .private_segment_fixed_size: 0
    .sgpr_count:     18
    .sgpr_spill_count: 0
    .symbol:         _ZN9rocsparseL19gebsrmvn_3xn_kernelILj128ELj8ELj64EdEEvi20rocsparse_direction_NS_24const_host_device_scalarIT2_EEPKiS6_PKS3_S8_S4_PS3_21rocsparse_index_base_b.kd
    .uniform_work_group_size: 1
    .uses_dynamic_stack: false
    .vgpr_count:     69
    .vgpr_spill_count: 0
    .wavefront_size: 32
    .workgroup_processor_mode: 1
  - .args:
      - .offset:         0
        .size:           4
        .value_kind:     by_value
      - .offset:         4
        .size:           4
        .value_kind:     by_value
      - .offset:         8
        .size:           8
        .value_kind:     by_value
      - .actual_access:  read_only
        .address_space:  global
        .offset:         16
        .size:           8
        .value_kind:     global_buffer
      - .actual_access:  read_only
        .address_space:  global
        .offset:         24
        .size:           8
        .value_kind:     global_buffer
      - .actual_access:  read_only
        .address_space:  global
        .offset:         32
        .size:           8
        .value_kind:     global_buffer
      - .offset:         40
        .size:           4
        .value_kind:     by_value
      - .offset:         44
        .size:           4
        .value_kind:     by_value
      - .actual_access:  read_only
        .address_space:  global
        .offset:         48
        .size:           8
        .value_kind:     global_buffer
      - .offset:         56
        .size:           8
        .value_kind:     by_value
      - .address_space:  global
        .offset:         64
        .size:           8
        .value_kind:     global_buffer
      - .offset:         72
        .size:           4
        .value_kind:     by_value
      - .offset:         76
        .size:           1
        .value_kind:     by_value
    .group_segment_fixed_size: 0
    .kernarg_segment_align: 8
    .kernarg_segment_size: 80
    .language:       OpenCL C
    .language_version:
      - 2
      - 0
    .max_flat_workgroup_size: 48
    .name:           _ZN9rocsparseL23gebsrmvn_general_kernelILj48ELj16EdEEvi20rocsparse_direction_NS_24const_host_device_scalarIT1_EEPKiS6_PKS3_iiS8_S4_PS3_21rocsparse_index_base_b
    .private_segment_fixed_size: 0
    .sgpr_count:     30
    .sgpr_spill_count: 0
    .symbol:         _ZN9rocsparseL23gebsrmvn_general_kernelILj48ELj16EdEEvi20rocsparse_direction_NS_24const_host_device_scalarIT1_EEPKiS6_PKS3_iiS8_S4_PS3_21rocsparse_index_base_b.kd
    .uniform_work_group_size: 1
    .uses_dynamic_stack: false
    .vgpr_count:     19
    .vgpr_spill_count: 0
    .wavefront_size: 32
    .workgroup_processor_mode: 1
  - .args:
      - .offset:         0
        .size:           4
        .value_kind:     by_value
      - .offset:         4
        .size:           4
        .value_kind:     by_value
      - .offset:         8
        .size:           8
        .value_kind:     by_value
      - .actual_access:  read_only
        .address_space:  global
        .offset:         16
        .size:           8
        .value_kind:     global_buffer
      - .actual_access:  read_only
        .address_space:  global
        .offset:         24
        .size:           8
        .value_kind:     global_buffer
      - .actual_access:  read_only
        .address_space:  global
        .offset:         32
        .size:           8
        .value_kind:     global_buffer
      - .offset:         40
        .size:           4
        .value_kind:     by_value
      - .offset:         44
        .size:           4
        .value_kind:     by_value
      - .actual_access:  read_only
        .address_space:  global
        .offset:         48
        .size:           8
        .value_kind:     global_buffer
      - .offset:         56
        .size:           8
        .value_kind:     by_value
      - .address_space:  global
        .offset:         64
        .size:           8
        .value_kind:     global_buffer
      - .offset:         72
        .size:           4
        .value_kind:     by_value
      - .offset:         76
        .size:           1
        .value_kind:     by_value
    .group_segment_fixed_size: 0
    .kernarg_segment_align: 8
    .kernarg_segment_size: 80
    .language:       OpenCL C
    .language_version:
      - 2
      - 0
    .max_flat_workgroup_size: 96
    .name:           _ZN9rocsparseL23gebsrmvn_general_kernelILj96ELj32EdEEvi20rocsparse_direction_NS_24const_host_device_scalarIT1_EEPKiS6_PKS3_iiS8_S4_PS3_21rocsparse_index_base_b
    .private_segment_fixed_size: 0
    .sgpr_count:     30
    .sgpr_spill_count: 0
    .symbol:         _ZN9rocsparseL23gebsrmvn_general_kernelILj96ELj32EdEEvi20rocsparse_direction_NS_24const_host_device_scalarIT1_EEPKiS6_PKS3_iiS8_S4_PS3_21rocsparse_index_base_b.kd
    .uniform_work_group_size: 1
    .uses_dynamic_stack: false
    .vgpr_count:     20
    .vgpr_spill_count: 0
    .wavefront_size: 32
    .workgroup_processor_mode: 1
  - .args:
      - .offset:         0
        .size:           4
        .value_kind:     by_value
      - .offset:         4
        .size:           4
        .value_kind:     by_value
      - .offset:         8
        .size:           8
        .value_kind:     by_value
      - .actual_access:  read_only
        .address_space:  global
        .offset:         16
        .size:           8
        .value_kind:     global_buffer
      - .actual_access:  read_only
        .address_space:  global
        .offset:         24
        .size:           8
        .value_kind:     global_buffer
      - .actual_access:  read_only
        .address_space:  global
        .offset:         32
        .size:           8
        .value_kind:     global_buffer
      - .actual_access:  read_only
        .address_space:  global
        .offset:         40
        .size:           8
        .value_kind:     global_buffer
      - .offset:         48
        .size:           8
        .value_kind:     by_value
      - .address_space:  global
        .offset:         56
        .size:           8
        .value_kind:     global_buffer
      - .offset:         64
        .size:           4
        .value_kind:     by_value
      - .offset:         68
        .size:           1
        .value_kind:     by_value
    .group_segment_fixed_size: 0
    .kernarg_segment_align: 8
    .kernarg_segment_size: 72
    .language:       OpenCL C
    .language_version:
      - 2
      - 0
    .max_flat_workgroup_size: 128
    .name:           _ZN9rocsparseL19gebsrmvn_3xn_kernelILj128ELj1ELj4E21rocsparse_complex_numIfEEEvi20rocsparse_direction_NS_24const_host_device_scalarIT2_EEPKiS8_PKS5_SA_S6_PS5_21rocsparse_index_base_b
    .private_segment_fixed_size: 0
    .sgpr_count:     18
    .sgpr_spill_count: 0
    .symbol:         _ZN9rocsparseL19gebsrmvn_3xn_kernelILj128ELj1ELj4E21rocsparse_complex_numIfEEEvi20rocsparse_direction_NS_24const_host_device_scalarIT2_EEPKiS8_PKS5_SA_S6_PS5_21rocsparse_index_base_b.kd
    .uniform_work_group_size: 1
    .uses_dynamic_stack: false
    .vgpr_count:     27
    .vgpr_spill_count: 0
    .wavefront_size: 32
    .workgroup_processor_mode: 1
  - .args:
      - .offset:         0
        .size:           4
        .value_kind:     by_value
      - .offset:         4
        .size:           4
        .value_kind:     by_value
      - .offset:         8
        .size:           8
        .value_kind:     by_value
      - .actual_access:  read_only
        .address_space:  global
        .offset:         16
        .size:           8
        .value_kind:     global_buffer
      - .actual_access:  read_only
        .address_space:  global
        .offset:         24
        .size:           8
        .value_kind:     global_buffer
      - .actual_access:  read_only
        .address_space:  global
        .offset:         32
        .size:           8
        .value_kind:     global_buffer
      - .actual_access:  read_only
        .address_space:  global
        .offset:         40
        .size:           8
        .value_kind:     global_buffer
      - .offset:         48
        .size:           8
        .value_kind:     by_value
      - .address_space:  global
        .offset:         56
        .size:           8
        .value_kind:     global_buffer
      - .offset:         64
        .size:           4
        .value_kind:     by_value
      - .offset:         68
        .size:           1
        .value_kind:     by_value
    .group_segment_fixed_size: 0
    .kernarg_segment_align: 8
    .kernarg_segment_size: 72
    .language:       OpenCL C
    .language_version:
      - 2
      - 0
    .max_flat_workgroup_size: 128
    .name:           _ZN9rocsparseL19gebsrmvn_3xn_kernelILj128ELj1ELj8E21rocsparse_complex_numIfEEEvi20rocsparse_direction_NS_24const_host_device_scalarIT2_EEPKiS8_PKS5_SA_S6_PS5_21rocsparse_index_base_b
    .private_segment_fixed_size: 0
    .sgpr_count:     18
    .sgpr_spill_count: 0
    .symbol:         _ZN9rocsparseL19gebsrmvn_3xn_kernelILj128ELj1ELj8E21rocsparse_complex_numIfEEEvi20rocsparse_direction_NS_24const_host_device_scalarIT2_EEPKiS8_PKS5_SA_S6_PS5_21rocsparse_index_base_b.kd
    .uniform_work_group_size: 1
    .uses_dynamic_stack: false
    .vgpr_count:     27
    .vgpr_spill_count: 0
    .wavefront_size: 32
    .workgroup_processor_mode: 1
  - .args:
      - .offset:         0
        .size:           4
        .value_kind:     by_value
      - .offset:         4
        .size:           4
        .value_kind:     by_value
      - .offset:         8
        .size:           8
        .value_kind:     by_value
      - .actual_access:  read_only
        .address_space:  global
        .offset:         16
        .size:           8
        .value_kind:     global_buffer
      - .actual_access:  read_only
        .address_space:  global
        .offset:         24
        .size:           8
        .value_kind:     global_buffer
      - .actual_access:  read_only
        .address_space:  global
        .offset:         32
        .size:           8
        .value_kind:     global_buffer
      - .actual_access:  read_only
        .address_space:  global
        .offset:         40
        .size:           8
        .value_kind:     global_buffer
      - .offset:         48
        .size:           8
        .value_kind:     by_value
      - .address_space:  global
        .offset:         56
        .size:           8
        .value_kind:     global_buffer
      - .offset:         64
        .size:           4
        .value_kind:     by_value
      - .offset:         68
        .size:           1
        .value_kind:     by_value
    .group_segment_fixed_size: 0
    .kernarg_segment_align: 8
    .kernarg_segment_size: 72
    .language:       OpenCL C
    .language_version:
      - 2
      - 0
    .max_flat_workgroup_size: 128
    .name:           _ZN9rocsparseL19gebsrmvn_3xn_kernelILj128ELj1ELj16E21rocsparse_complex_numIfEEEvi20rocsparse_direction_NS_24const_host_device_scalarIT2_EEPKiS8_PKS5_SA_S6_PS5_21rocsparse_index_base_b
    .private_segment_fixed_size: 0
    .sgpr_count:     18
    .sgpr_spill_count: 0
    .symbol:         _ZN9rocsparseL19gebsrmvn_3xn_kernelILj128ELj1ELj16E21rocsparse_complex_numIfEEEvi20rocsparse_direction_NS_24const_host_device_scalarIT2_EEPKiS8_PKS5_SA_S6_PS5_21rocsparse_index_base_b.kd
    .uniform_work_group_size: 1
    .uses_dynamic_stack: false
    .vgpr_count:     27
    .vgpr_spill_count: 0
    .wavefront_size: 32
    .workgroup_processor_mode: 1
  - .args:
      - .offset:         0
        .size:           4
        .value_kind:     by_value
      - .offset:         4
        .size:           4
        .value_kind:     by_value
      - .offset:         8
        .size:           8
        .value_kind:     by_value
      - .actual_access:  read_only
        .address_space:  global
        .offset:         16
        .size:           8
        .value_kind:     global_buffer
      - .actual_access:  read_only
        .address_space:  global
        .offset:         24
        .size:           8
        .value_kind:     global_buffer
      - .actual_access:  read_only
        .address_space:  global
        .offset:         32
        .size:           8
        .value_kind:     global_buffer
      - .actual_access:  read_only
        .address_space:  global
        .offset:         40
        .size:           8
        .value_kind:     global_buffer
      - .offset:         48
        .size:           8
        .value_kind:     by_value
      - .address_space:  global
        .offset:         56
        .size:           8
        .value_kind:     global_buffer
      - .offset:         64
        .size:           4
        .value_kind:     by_value
      - .offset:         68
        .size:           1
        .value_kind:     by_value
    .group_segment_fixed_size: 0
    .kernarg_segment_align: 8
    .kernarg_segment_size: 72
    .language:       OpenCL C
    .language_version:
      - 2
      - 0
    .max_flat_workgroup_size: 128
    .name:           _ZN9rocsparseL19gebsrmvn_3xn_kernelILj128ELj1ELj32E21rocsparse_complex_numIfEEEvi20rocsparse_direction_NS_24const_host_device_scalarIT2_EEPKiS8_PKS5_SA_S6_PS5_21rocsparse_index_base_b
    .private_segment_fixed_size: 0
    .sgpr_count:     18
    .sgpr_spill_count: 0
    .symbol:         _ZN9rocsparseL19gebsrmvn_3xn_kernelILj128ELj1ELj32E21rocsparse_complex_numIfEEEvi20rocsparse_direction_NS_24const_host_device_scalarIT2_EEPKiS8_PKS5_SA_S6_PS5_21rocsparse_index_base_b.kd
    .uniform_work_group_size: 1
    .uses_dynamic_stack: false
    .vgpr_count:     27
    .vgpr_spill_count: 0
    .wavefront_size: 32
    .workgroup_processor_mode: 1
  - .args:
      - .offset:         0
        .size:           4
        .value_kind:     by_value
      - .offset:         4
        .size:           4
        .value_kind:     by_value
      - .offset:         8
        .size:           8
        .value_kind:     by_value
      - .actual_access:  read_only
        .address_space:  global
        .offset:         16
        .size:           8
        .value_kind:     global_buffer
      - .actual_access:  read_only
        .address_space:  global
        .offset:         24
        .size:           8
        .value_kind:     global_buffer
      - .actual_access:  read_only
        .address_space:  global
        .offset:         32
        .size:           8
        .value_kind:     global_buffer
      - .actual_access:  read_only
        .address_space:  global
        .offset:         40
        .size:           8
        .value_kind:     global_buffer
      - .offset:         48
        .size:           8
        .value_kind:     by_value
      - .address_space:  global
        .offset:         56
        .size:           8
        .value_kind:     global_buffer
      - .offset:         64
        .size:           4
        .value_kind:     by_value
      - .offset:         68
        .size:           1
        .value_kind:     by_value
    .group_segment_fixed_size: 0
    .kernarg_segment_align: 8
    .kernarg_segment_size: 72
    .language:       OpenCL C
    .language_version:
      - 2
      - 0
    .max_flat_workgroup_size: 128
    .name:           _ZN9rocsparseL19gebsrmvn_3xn_kernelILj128ELj1ELj64E21rocsparse_complex_numIfEEEvi20rocsparse_direction_NS_24const_host_device_scalarIT2_EEPKiS8_PKS5_SA_S6_PS5_21rocsparse_index_base_b
    .private_segment_fixed_size: 0
    .sgpr_count:     18
    .sgpr_spill_count: 0
    .symbol:         _ZN9rocsparseL19gebsrmvn_3xn_kernelILj128ELj1ELj64E21rocsparse_complex_numIfEEEvi20rocsparse_direction_NS_24const_host_device_scalarIT2_EEPKiS8_PKS5_SA_S6_PS5_21rocsparse_index_base_b.kd
    .uniform_work_group_size: 1
    .uses_dynamic_stack: false
    .vgpr_count:     27
    .vgpr_spill_count: 0
    .wavefront_size: 32
    .workgroup_processor_mode: 1
  - .args:
      - .offset:         0
        .size:           4
        .value_kind:     by_value
      - .offset:         4
        .size:           4
        .value_kind:     by_value
      - .offset:         8
        .size:           8
        .value_kind:     by_value
      - .actual_access:  read_only
        .address_space:  global
        .offset:         16
        .size:           8
        .value_kind:     global_buffer
      - .actual_access:  read_only
        .address_space:  global
        .offset:         24
        .size:           8
        .value_kind:     global_buffer
      - .actual_access:  read_only
        .address_space:  global
        .offset:         32
        .size:           8
        .value_kind:     global_buffer
      - .actual_access:  read_only
        .address_space:  global
        .offset:         40
        .size:           8
        .value_kind:     global_buffer
      - .offset:         48
        .size:           8
        .value_kind:     by_value
      - .address_space:  global
        .offset:         56
        .size:           8
        .value_kind:     global_buffer
      - .offset:         64
        .size:           4
        .value_kind:     by_value
      - .offset:         68
        .size:           1
        .value_kind:     by_value
    .group_segment_fixed_size: 0
    .kernarg_segment_align: 8
    .kernarg_segment_size: 72
    .language:       OpenCL C
    .language_version:
      - 2
      - 0
    .max_flat_workgroup_size: 128
    .name:           _ZN9rocsparseL19gebsrmvn_3xn_kernelILj128ELj2ELj4E21rocsparse_complex_numIfEEEvi20rocsparse_direction_NS_24const_host_device_scalarIT2_EEPKiS8_PKS5_SA_S6_PS5_21rocsparse_index_base_b
    .private_segment_fixed_size: 0
    .sgpr_count:     18
    .sgpr_spill_count: 0
    .symbol:         _ZN9rocsparseL19gebsrmvn_3xn_kernelILj128ELj2ELj4E21rocsparse_complex_numIfEEEvi20rocsparse_direction_NS_24const_host_device_scalarIT2_EEPKiS8_PKS5_SA_S6_PS5_21rocsparse_index_base_b.kd
    .uniform_work_group_size: 1
    .uses_dynamic_stack: false
    .vgpr_count:     34
    .vgpr_spill_count: 0
    .wavefront_size: 32
    .workgroup_processor_mode: 1
  - .args:
      - .offset:         0
        .size:           4
        .value_kind:     by_value
      - .offset:         4
        .size:           4
        .value_kind:     by_value
      - .offset:         8
        .size:           8
        .value_kind:     by_value
      - .actual_access:  read_only
        .address_space:  global
        .offset:         16
        .size:           8
        .value_kind:     global_buffer
      - .actual_access:  read_only
        .address_space:  global
        .offset:         24
        .size:           8
        .value_kind:     global_buffer
      - .actual_access:  read_only
        .address_space:  global
        .offset:         32
        .size:           8
        .value_kind:     global_buffer
      - .actual_access:  read_only
        .address_space:  global
        .offset:         40
        .size:           8
        .value_kind:     global_buffer
      - .offset:         48
        .size:           8
        .value_kind:     by_value
      - .address_space:  global
        .offset:         56
        .size:           8
        .value_kind:     global_buffer
      - .offset:         64
        .size:           4
        .value_kind:     by_value
      - .offset:         68
        .size:           1
        .value_kind:     by_value
    .group_segment_fixed_size: 0
    .kernarg_segment_align: 8
    .kernarg_segment_size: 72
    .language:       OpenCL C
    .language_version:
      - 2
      - 0
    .max_flat_workgroup_size: 128
    .name:           _ZN9rocsparseL19gebsrmvn_3xn_kernelILj128ELj2ELj8E21rocsparse_complex_numIfEEEvi20rocsparse_direction_NS_24const_host_device_scalarIT2_EEPKiS8_PKS5_SA_S6_PS5_21rocsparse_index_base_b
    .private_segment_fixed_size: 0
    .sgpr_count:     18
    .sgpr_spill_count: 0
    .symbol:         _ZN9rocsparseL19gebsrmvn_3xn_kernelILj128ELj2ELj8E21rocsparse_complex_numIfEEEvi20rocsparse_direction_NS_24const_host_device_scalarIT2_EEPKiS8_PKS5_SA_S6_PS5_21rocsparse_index_base_b.kd
    .uniform_work_group_size: 1
    .uses_dynamic_stack: false
    .vgpr_count:     34
    .vgpr_spill_count: 0
    .wavefront_size: 32
    .workgroup_processor_mode: 1
  - .args:
      - .offset:         0
        .size:           4
        .value_kind:     by_value
      - .offset:         4
        .size:           4
        .value_kind:     by_value
      - .offset:         8
        .size:           8
        .value_kind:     by_value
      - .actual_access:  read_only
        .address_space:  global
        .offset:         16
        .size:           8
        .value_kind:     global_buffer
      - .actual_access:  read_only
        .address_space:  global
        .offset:         24
        .size:           8
        .value_kind:     global_buffer
      - .actual_access:  read_only
        .address_space:  global
        .offset:         32
        .size:           8
        .value_kind:     global_buffer
      - .actual_access:  read_only
        .address_space:  global
        .offset:         40
        .size:           8
        .value_kind:     global_buffer
      - .offset:         48
        .size:           8
        .value_kind:     by_value
      - .address_space:  global
        .offset:         56
        .size:           8
        .value_kind:     global_buffer
      - .offset:         64
        .size:           4
        .value_kind:     by_value
      - .offset:         68
        .size:           1
        .value_kind:     by_value
    .group_segment_fixed_size: 0
    .kernarg_segment_align: 8
    .kernarg_segment_size: 72
    .language:       OpenCL C
    .language_version:
      - 2
      - 0
    .max_flat_workgroup_size: 128
    .name:           _ZN9rocsparseL19gebsrmvn_3xn_kernelILj128ELj2ELj16E21rocsparse_complex_numIfEEEvi20rocsparse_direction_NS_24const_host_device_scalarIT2_EEPKiS8_PKS5_SA_S6_PS5_21rocsparse_index_base_b
    .private_segment_fixed_size: 0
    .sgpr_count:     18
    .sgpr_spill_count: 0
    .symbol:         _ZN9rocsparseL19gebsrmvn_3xn_kernelILj128ELj2ELj16E21rocsparse_complex_numIfEEEvi20rocsparse_direction_NS_24const_host_device_scalarIT2_EEPKiS8_PKS5_SA_S6_PS5_21rocsparse_index_base_b.kd
    .uniform_work_group_size: 1
    .uses_dynamic_stack: false
    .vgpr_count:     34
    .vgpr_spill_count: 0
    .wavefront_size: 32
    .workgroup_processor_mode: 1
  - .args:
      - .offset:         0
        .size:           4
        .value_kind:     by_value
      - .offset:         4
        .size:           4
        .value_kind:     by_value
      - .offset:         8
        .size:           8
        .value_kind:     by_value
      - .actual_access:  read_only
        .address_space:  global
        .offset:         16
        .size:           8
        .value_kind:     global_buffer
      - .actual_access:  read_only
        .address_space:  global
        .offset:         24
        .size:           8
        .value_kind:     global_buffer
      - .actual_access:  read_only
        .address_space:  global
        .offset:         32
        .size:           8
        .value_kind:     global_buffer
      - .actual_access:  read_only
        .address_space:  global
        .offset:         40
        .size:           8
        .value_kind:     global_buffer
      - .offset:         48
        .size:           8
        .value_kind:     by_value
      - .address_space:  global
        .offset:         56
        .size:           8
        .value_kind:     global_buffer
      - .offset:         64
        .size:           4
        .value_kind:     by_value
      - .offset:         68
        .size:           1
        .value_kind:     by_value
    .group_segment_fixed_size: 0
    .kernarg_segment_align: 8
    .kernarg_segment_size: 72
    .language:       OpenCL C
    .language_version:
      - 2
      - 0
    .max_flat_workgroup_size: 128
    .name:           _ZN9rocsparseL19gebsrmvn_3xn_kernelILj128ELj2ELj32E21rocsparse_complex_numIfEEEvi20rocsparse_direction_NS_24const_host_device_scalarIT2_EEPKiS8_PKS5_SA_S6_PS5_21rocsparse_index_base_b
    .private_segment_fixed_size: 0
    .sgpr_count:     18
    .sgpr_spill_count: 0
    .symbol:         _ZN9rocsparseL19gebsrmvn_3xn_kernelILj128ELj2ELj32E21rocsparse_complex_numIfEEEvi20rocsparse_direction_NS_24const_host_device_scalarIT2_EEPKiS8_PKS5_SA_S6_PS5_21rocsparse_index_base_b.kd
    .uniform_work_group_size: 1
    .uses_dynamic_stack: false
    .vgpr_count:     34
    .vgpr_spill_count: 0
    .wavefront_size: 32
    .workgroup_processor_mode: 1
  - .args:
      - .offset:         0
        .size:           4
        .value_kind:     by_value
      - .offset:         4
        .size:           4
        .value_kind:     by_value
      - .offset:         8
        .size:           8
        .value_kind:     by_value
      - .actual_access:  read_only
        .address_space:  global
        .offset:         16
        .size:           8
        .value_kind:     global_buffer
      - .actual_access:  read_only
        .address_space:  global
        .offset:         24
        .size:           8
        .value_kind:     global_buffer
      - .actual_access:  read_only
        .address_space:  global
        .offset:         32
        .size:           8
        .value_kind:     global_buffer
      - .actual_access:  read_only
        .address_space:  global
        .offset:         40
        .size:           8
        .value_kind:     global_buffer
      - .offset:         48
        .size:           8
        .value_kind:     by_value
      - .address_space:  global
        .offset:         56
        .size:           8
        .value_kind:     global_buffer
      - .offset:         64
        .size:           4
        .value_kind:     by_value
      - .offset:         68
        .size:           1
        .value_kind:     by_value
    .group_segment_fixed_size: 0
    .kernarg_segment_align: 8
    .kernarg_segment_size: 72
    .language:       OpenCL C
    .language_version:
      - 2
      - 0
    .max_flat_workgroup_size: 128
    .name:           _ZN9rocsparseL19gebsrmvn_3xn_kernelILj128ELj2ELj64E21rocsparse_complex_numIfEEEvi20rocsparse_direction_NS_24const_host_device_scalarIT2_EEPKiS8_PKS5_SA_S6_PS5_21rocsparse_index_base_b
    .private_segment_fixed_size: 0
    .sgpr_count:     18
    .sgpr_spill_count: 0
    .symbol:         _ZN9rocsparseL19gebsrmvn_3xn_kernelILj128ELj2ELj64E21rocsparse_complex_numIfEEEvi20rocsparse_direction_NS_24const_host_device_scalarIT2_EEPKiS8_PKS5_SA_S6_PS5_21rocsparse_index_base_b.kd
    .uniform_work_group_size: 1
    .uses_dynamic_stack: false
    .vgpr_count:     34
    .vgpr_spill_count: 0
    .wavefront_size: 32
    .workgroup_processor_mode: 1
  - .args:
      - .offset:         0
        .size:           4
        .value_kind:     by_value
      - .offset:         4
        .size:           4
        .value_kind:     by_value
      - .offset:         8
        .size:           8
        .value_kind:     by_value
      - .actual_access:  read_only
        .address_space:  global
        .offset:         16
        .size:           8
        .value_kind:     global_buffer
      - .actual_access:  read_only
        .address_space:  global
        .offset:         24
        .size:           8
        .value_kind:     global_buffer
      - .actual_access:  read_only
        .address_space:  global
        .offset:         32
        .size:           8
        .value_kind:     global_buffer
      - .actual_access:  read_only
        .address_space:  global
        .offset:         40
        .size:           8
        .value_kind:     global_buffer
      - .offset:         48
        .size:           8
        .value_kind:     by_value
      - .address_space:  global
        .offset:         56
        .size:           8
        .value_kind:     global_buffer
      - .offset:         64
        .size:           4
        .value_kind:     by_value
      - .offset:         68
        .size:           1
        .value_kind:     by_value
    .group_segment_fixed_size: 0
    .kernarg_segment_align: 8
    .kernarg_segment_size: 72
    .language:       OpenCL C
    .language_version:
      - 2
      - 0
    .max_flat_workgroup_size: 128
    .name:           _ZN9rocsparseL19gebsrmvn_3xn_kernelILj128ELj4ELj4E21rocsparse_complex_numIfEEEvi20rocsparse_direction_NS_24const_host_device_scalarIT2_EEPKiS8_PKS5_SA_S6_PS5_21rocsparse_index_base_b
    .private_segment_fixed_size: 0
    .sgpr_count:     18
    .sgpr_spill_count: 0
    .symbol:         _ZN9rocsparseL19gebsrmvn_3xn_kernelILj128ELj4ELj4E21rocsparse_complex_numIfEEEvi20rocsparse_direction_NS_24const_host_device_scalarIT2_EEPKiS8_PKS5_SA_S6_PS5_21rocsparse_index_base_b.kd
    .uniform_work_group_size: 1
    .uses_dynamic_stack: false
    .vgpr_count:     50
    .vgpr_spill_count: 0
    .wavefront_size: 32
    .workgroup_processor_mode: 1
  - .args:
      - .offset:         0
        .size:           4
        .value_kind:     by_value
      - .offset:         4
        .size:           4
        .value_kind:     by_value
      - .offset:         8
        .size:           8
        .value_kind:     by_value
      - .actual_access:  read_only
        .address_space:  global
        .offset:         16
        .size:           8
        .value_kind:     global_buffer
      - .actual_access:  read_only
        .address_space:  global
        .offset:         24
        .size:           8
        .value_kind:     global_buffer
      - .actual_access:  read_only
        .address_space:  global
        .offset:         32
        .size:           8
        .value_kind:     global_buffer
      - .actual_access:  read_only
        .address_space:  global
        .offset:         40
        .size:           8
        .value_kind:     global_buffer
      - .offset:         48
        .size:           8
        .value_kind:     by_value
      - .address_space:  global
        .offset:         56
        .size:           8
        .value_kind:     global_buffer
      - .offset:         64
        .size:           4
        .value_kind:     by_value
      - .offset:         68
        .size:           1
        .value_kind:     by_value
    .group_segment_fixed_size: 0
    .kernarg_segment_align: 8
    .kernarg_segment_size: 72
    .language:       OpenCL C
    .language_version:
      - 2
      - 0
    .max_flat_workgroup_size: 128
    .name:           _ZN9rocsparseL19gebsrmvn_3xn_kernelILj128ELj4ELj8E21rocsparse_complex_numIfEEEvi20rocsparse_direction_NS_24const_host_device_scalarIT2_EEPKiS8_PKS5_SA_S6_PS5_21rocsparse_index_base_b
    .private_segment_fixed_size: 0
    .sgpr_count:     18
    .sgpr_spill_count: 0
    .symbol:         _ZN9rocsparseL19gebsrmvn_3xn_kernelILj128ELj4ELj8E21rocsparse_complex_numIfEEEvi20rocsparse_direction_NS_24const_host_device_scalarIT2_EEPKiS8_PKS5_SA_S6_PS5_21rocsparse_index_base_b.kd
    .uniform_work_group_size: 1
    .uses_dynamic_stack: false
    .vgpr_count:     50
    .vgpr_spill_count: 0
    .wavefront_size: 32
    .workgroup_processor_mode: 1
  - .args:
      - .offset:         0
        .size:           4
        .value_kind:     by_value
      - .offset:         4
        .size:           4
        .value_kind:     by_value
      - .offset:         8
        .size:           8
        .value_kind:     by_value
      - .actual_access:  read_only
        .address_space:  global
        .offset:         16
        .size:           8
        .value_kind:     global_buffer
      - .actual_access:  read_only
        .address_space:  global
        .offset:         24
        .size:           8
        .value_kind:     global_buffer
      - .actual_access:  read_only
        .address_space:  global
        .offset:         32
        .size:           8
        .value_kind:     global_buffer
      - .actual_access:  read_only
        .address_space:  global
        .offset:         40
        .size:           8
        .value_kind:     global_buffer
      - .offset:         48
        .size:           8
        .value_kind:     by_value
      - .address_space:  global
        .offset:         56
        .size:           8
        .value_kind:     global_buffer
      - .offset:         64
        .size:           4
        .value_kind:     by_value
      - .offset:         68
        .size:           1
        .value_kind:     by_value
    .group_segment_fixed_size: 0
    .kernarg_segment_align: 8
    .kernarg_segment_size: 72
    .language:       OpenCL C
    .language_version:
      - 2
      - 0
    .max_flat_workgroup_size: 128
    .name:           _ZN9rocsparseL19gebsrmvn_3xn_kernelILj128ELj4ELj16E21rocsparse_complex_numIfEEEvi20rocsparse_direction_NS_24const_host_device_scalarIT2_EEPKiS8_PKS5_SA_S6_PS5_21rocsparse_index_base_b
    .private_segment_fixed_size: 0
    .sgpr_count:     18
    .sgpr_spill_count: 0
    .symbol:         _ZN9rocsparseL19gebsrmvn_3xn_kernelILj128ELj4ELj16E21rocsparse_complex_numIfEEEvi20rocsparse_direction_NS_24const_host_device_scalarIT2_EEPKiS8_PKS5_SA_S6_PS5_21rocsparse_index_base_b.kd
    .uniform_work_group_size: 1
    .uses_dynamic_stack: false
    .vgpr_count:     50
    .vgpr_spill_count: 0
    .wavefront_size: 32
    .workgroup_processor_mode: 1
  - .args:
      - .offset:         0
        .size:           4
        .value_kind:     by_value
      - .offset:         4
        .size:           4
        .value_kind:     by_value
      - .offset:         8
        .size:           8
        .value_kind:     by_value
      - .actual_access:  read_only
        .address_space:  global
        .offset:         16
        .size:           8
        .value_kind:     global_buffer
      - .actual_access:  read_only
        .address_space:  global
        .offset:         24
        .size:           8
        .value_kind:     global_buffer
      - .actual_access:  read_only
        .address_space:  global
        .offset:         32
        .size:           8
        .value_kind:     global_buffer
      - .actual_access:  read_only
        .address_space:  global
        .offset:         40
        .size:           8
        .value_kind:     global_buffer
      - .offset:         48
        .size:           8
        .value_kind:     by_value
      - .address_space:  global
        .offset:         56
        .size:           8
        .value_kind:     global_buffer
      - .offset:         64
        .size:           4
        .value_kind:     by_value
      - .offset:         68
        .size:           1
        .value_kind:     by_value
    .group_segment_fixed_size: 0
    .kernarg_segment_align: 8
    .kernarg_segment_size: 72
    .language:       OpenCL C
    .language_version:
      - 2
      - 0
    .max_flat_workgroup_size: 128
    .name:           _ZN9rocsparseL19gebsrmvn_3xn_kernelILj128ELj4ELj32E21rocsparse_complex_numIfEEEvi20rocsparse_direction_NS_24const_host_device_scalarIT2_EEPKiS8_PKS5_SA_S6_PS5_21rocsparse_index_base_b
    .private_segment_fixed_size: 0
    .sgpr_count:     18
    .sgpr_spill_count: 0
    .symbol:         _ZN9rocsparseL19gebsrmvn_3xn_kernelILj128ELj4ELj32E21rocsparse_complex_numIfEEEvi20rocsparse_direction_NS_24const_host_device_scalarIT2_EEPKiS8_PKS5_SA_S6_PS5_21rocsparse_index_base_b.kd
    .uniform_work_group_size: 1
    .uses_dynamic_stack: false
    .vgpr_count:     50
    .vgpr_spill_count: 0
    .wavefront_size: 32
    .workgroup_processor_mode: 1
  - .args:
      - .offset:         0
        .size:           4
        .value_kind:     by_value
      - .offset:         4
        .size:           4
        .value_kind:     by_value
      - .offset:         8
        .size:           8
        .value_kind:     by_value
      - .actual_access:  read_only
        .address_space:  global
        .offset:         16
        .size:           8
        .value_kind:     global_buffer
      - .actual_access:  read_only
        .address_space:  global
        .offset:         24
        .size:           8
        .value_kind:     global_buffer
      - .actual_access:  read_only
        .address_space:  global
        .offset:         32
        .size:           8
        .value_kind:     global_buffer
      - .actual_access:  read_only
        .address_space:  global
        .offset:         40
        .size:           8
        .value_kind:     global_buffer
      - .offset:         48
        .size:           8
        .value_kind:     by_value
      - .address_space:  global
        .offset:         56
        .size:           8
        .value_kind:     global_buffer
      - .offset:         64
        .size:           4
        .value_kind:     by_value
      - .offset:         68
        .size:           1
        .value_kind:     by_value
    .group_segment_fixed_size: 0
    .kernarg_segment_align: 8
    .kernarg_segment_size: 72
    .language:       OpenCL C
    .language_version:
      - 2
      - 0
    .max_flat_workgroup_size: 128
    .name:           _ZN9rocsparseL19gebsrmvn_3xn_kernelILj128ELj4ELj64E21rocsparse_complex_numIfEEEvi20rocsparse_direction_NS_24const_host_device_scalarIT2_EEPKiS8_PKS5_SA_S6_PS5_21rocsparse_index_base_b
    .private_segment_fixed_size: 0
    .sgpr_count:     18
    .sgpr_spill_count: 0
    .symbol:         _ZN9rocsparseL19gebsrmvn_3xn_kernelILj128ELj4ELj64E21rocsparse_complex_numIfEEEvi20rocsparse_direction_NS_24const_host_device_scalarIT2_EEPKiS8_PKS5_SA_S6_PS5_21rocsparse_index_base_b.kd
    .uniform_work_group_size: 1
    .uses_dynamic_stack: false
    .vgpr_count:     50
    .vgpr_spill_count: 0
    .wavefront_size: 32
    .workgroup_processor_mode: 1
  - .args:
      - .offset:         0
        .size:           4
        .value_kind:     by_value
      - .offset:         4
        .size:           4
        .value_kind:     by_value
      - .offset:         8
        .size:           8
        .value_kind:     by_value
      - .actual_access:  read_only
        .address_space:  global
        .offset:         16
        .size:           8
        .value_kind:     global_buffer
      - .actual_access:  read_only
        .address_space:  global
        .offset:         24
        .size:           8
        .value_kind:     global_buffer
      - .actual_access:  read_only
        .address_space:  global
        .offset:         32
        .size:           8
        .value_kind:     global_buffer
      - .actual_access:  read_only
        .address_space:  global
        .offset:         40
        .size:           8
        .value_kind:     global_buffer
      - .offset:         48
        .size:           8
        .value_kind:     by_value
      - .address_space:  global
        .offset:         56
        .size:           8
        .value_kind:     global_buffer
      - .offset:         64
        .size:           4
        .value_kind:     by_value
      - .offset:         68
        .size:           1
        .value_kind:     by_value
    .group_segment_fixed_size: 0
    .kernarg_segment_align: 8
    .kernarg_segment_size: 72
    .language:       OpenCL C
    .language_version:
      - 2
      - 0
    .max_flat_workgroup_size: 128
    .name:           _ZN9rocsparseL19gebsrmvn_3xn_kernelILj128ELj5ELj4E21rocsparse_complex_numIfEEEvi20rocsparse_direction_NS_24const_host_device_scalarIT2_EEPKiS8_PKS5_SA_S6_PS5_21rocsparse_index_base_b
    .private_segment_fixed_size: 0
    .sgpr_count:     18
    .sgpr_spill_count: 0
    .symbol:         _ZN9rocsparseL19gebsrmvn_3xn_kernelILj128ELj5ELj4E21rocsparse_complex_numIfEEEvi20rocsparse_direction_NS_24const_host_device_scalarIT2_EEPKiS8_PKS5_SA_S6_PS5_21rocsparse_index_base_b.kd
    .uniform_work_group_size: 1
    .uses_dynamic_stack: false
    .vgpr_count:     59
    .vgpr_spill_count: 0
    .wavefront_size: 32
    .workgroup_processor_mode: 1
  - .args:
      - .offset:         0
        .size:           4
        .value_kind:     by_value
      - .offset:         4
        .size:           4
        .value_kind:     by_value
      - .offset:         8
        .size:           8
        .value_kind:     by_value
      - .actual_access:  read_only
        .address_space:  global
        .offset:         16
        .size:           8
        .value_kind:     global_buffer
      - .actual_access:  read_only
        .address_space:  global
        .offset:         24
        .size:           8
        .value_kind:     global_buffer
      - .actual_access:  read_only
        .address_space:  global
        .offset:         32
        .size:           8
        .value_kind:     global_buffer
      - .actual_access:  read_only
        .address_space:  global
        .offset:         40
        .size:           8
        .value_kind:     global_buffer
      - .offset:         48
        .size:           8
        .value_kind:     by_value
      - .address_space:  global
        .offset:         56
        .size:           8
        .value_kind:     global_buffer
      - .offset:         64
        .size:           4
        .value_kind:     by_value
      - .offset:         68
        .size:           1
        .value_kind:     by_value
    .group_segment_fixed_size: 0
    .kernarg_segment_align: 8
    .kernarg_segment_size: 72
    .language:       OpenCL C
    .language_version:
      - 2
      - 0
    .max_flat_workgroup_size: 128
    .name:           _ZN9rocsparseL19gebsrmvn_3xn_kernelILj128ELj5ELj8E21rocsparse_complex_numIfEEEvi20rocsparse_direction_NS_24const_host_device_scalarIT2_EEPKiS8_PKS5_SA_S6_PS5_21rocsparse_index_base_b
    .private_segment_fixed_size: 0
    .sgpr_count:     18
    .sgpr_spill_count: 0
    .symbol:         _ZN9rocsparseL19gebsrmvn_3xn_kernelILj128ELj5ELj8E21rocsparse_complex_numIfEEEvi20rocsparse_direction_NS_24const_host_device_scalarIT2_EEPKiS8_PKS5_SA_S6_PS5_21rocsparse_index_base_b.kd
    .uniform_work_group_size: 1
    .uses_dynamic_stack: false
    .vgpr_count:     59
    .vgpr_spill_count: 0
    .wavefront_size: 32
    .workgroup_processor_mode: 1
  - .args:
      - .offset:         0
        .size:           4
        .value_kind:     by_value
      - .offset:         4
        .size:           4
        .value_kind:     by_value
      - .offset:         8
        .size:           8
        .value_kind:     by_value
      - .actual_access:  read_only
        .address_space:  global
        .offset:         16
        .size:           8
        .value_kind:     global_buffer
      - .actual_access:  read_only
        .address_space:  global
        .offset:         24
        .size:           8
        .value_kind:     global_buffer
      - .actual_access:  read_only
        .address_space:  global
        .offset:         32
        .size:           8
        .value_kind:     global_buffer
      - .actual_access:  read_only
        .address_space:  global
        .offset:         40
        .size:           8
        .value_kind:     global_buffer
      - .offset:         48
        .size:           8
        .value_kind:     by_value
      - .address_space:  global
        .offset:         56
        .size:           8
        .value_kind:     global_buffer
      - .offset:         64
        .size:           4
        .value_kind:     by_value
      - .offset:         68
        .size:           1
        .value_kind:     by_value
    .group_segment_fixed_size: 0
    .kernarg_segment_align: 8
    .kernarg_segment_size: 72
    .language:       OpenCL C
    .language_version:
      - 2
      - 0
    .max_flat_workgroup_size: 128
    .name:           _ZN9rocsparseL19gebsrmvn_3xn_kernelILj128ELj5ELj16E21rocsparse_complex_numIfEEEvi20rocsparse_direction_NS_24const_host_device_scalarIT2_EEPKiS8_PKS5_SA_S6_PS5_21rocsparse_index_base_b
    .private_segment_fixed_size: 0
    .sgpr_count:     18
    .sgpr_spill_count: 0
    .symbol:         _ZN9rocsparseL19gebsrmvn_3xn_kernelILj128ELj5ELj16E21rocsparse_complex_numIfEEEvi20rocsparse_direction_NS_24const_host_device_scalarIT2_EEPKiS8_PKS5_SA_S6_PS5_21rocsparse_index_base_b.kd
    .uniform_work_group_size: 1
    .uses_dynamic_stack: false
    .vgpr_count:     59
    .vgpr_spill_count: 0
    .wavefront_size: 32
    .workgroup_processor_mode: 1
  - .args:
      - .offset:         0
        .size:           4
        .value_kind:     by_value
      - .offset:         4
        .size:           4
        .value_kind:     by_value
      - .offset:         8
        .size:           8
        .value_kind:     by_value
      - .actual_access:  read_only
        .address_space:  global
        .offset:         16
        .size:           8
        .value_kind:     global_buffer
      - .actual_access:  read_only
        .address_space:  global
        .offset:         24
        .size:           8
        .value_kind:     global_buffer
      - .actual_access:  read_only
        .address_space:  global
        .offset:         32
        .size:           8
        .value_kind:     global_buffer
      - .actual_access:  read_only
        .address_space:  global
        .offset:         40
        .size:           8
        .value_kind:     global_buffer
      - .offset:         48
        .size:           8
        .value_kind:     by_value
      - .address_space:  global
        .offset:         56
        .size:           8
        .value_kind:     global_buffer
      - .offset:         64
        .size:           4
        .value_kind:     by_value
      - .offset:         68
        .size:           1
        .value_kind:     by_value
    .group_segment_fixed_size: 0
    .kernarg_segment_align: 8
    .kernarg_segment_size: 72
    .language:       OpenCL C
    .language_version:
      - 2
      - 0
    .max_flat_workgroup_size: 128
    .name:           _ZN9rocsparseL19gebsrmvn_3xn_kernelILj128ELj5ELj32E21rocsparse_complex_numIfEEEvi20rocsparse_direction_NS_24const_host_device_scalarIT2_EEPKiS8_PKS5_SA_S6_PS5_21rocsparse_index_base_b
    .private_segment_fixed_size: 0
    .sgpr_count:     18
    .sgpr_spill_count: 0
    .symbol:         _ZN9rocsparseL19gebsrmvn_3xn_kernelILj128ELj5ELj32E21rocsparse_complex_numIfEEEvi20rocsparse_direction_NS_24const_host_device_scalarIT2_EEPKiS8_PKS5_SA_S6_PS5_21rocsparse_index_base_b.kd
    .uniform_work_group_size: 1
    .uses_dynamic_stack: false
    .vgpr_count:     59
    .vgpr_spill_count: 0
    .wavefront_size: 32
    .workgroup_processor_mode: 1
  - .args:
      - .offset:         0
        .size:           4
        .value_kind:     by_value
      - .offset:         4
        .size:           4
        .value_kind:     by_value
      - .offset:         8
        .size:           8
        .value_kind:     by_value
      - .actual_access:  read_only
        .address_space:  global
        .offset:         16
        .size:           8
        .value_kind:     global_buffer
      - .actual_access:  read_only
        .address_space:  global
        .offset:         24
        .size:           8
        .value_kind:     global_buffer
      - .actual_access:  read_only
        .address_space:  global
        .offset:         32
        .size:           8
        .value_kind:     global_buffer
      - .actual_access:  read_only
        .address_space:  global
        .offset:         40
        .size:           8
        .value_kind:     global_buffer
      - .offset:         48
        .size:           8
        .value_kind:     by_value
      - .address_space:  global
        .offset:         56
        .size:           8
        .value_kind:     global_buffer
      - .offset:         64
        .size:           4
        .value_kind:     by_value
      - .offset:         68
        .size:           1
        .value_kind:     by_value
    .group_segment_fixed_size: 0
    .kernarg_segment_align: 8
    .kernarg_segment_size: 72
    .language:       OpenCL C
    .language_version:
      - 2
      - 0
    .max_flat_workgroup_size: 128
    .name:           _ZN9rocsparseL19gebsrmvn_3xn_kernelILj128ELj5ELj64E21rocsparse_complex_numIfEEEvi20rocsparse_direction_NS_24const_host_device_scalarIT2_EEPKiS8_PKS5_SA_S6_PS5_21rocsparse_index_base_b
    .private_segment_fixed_size: 0
    .sgpr_count:     18
    .sgpr_spill_count: 0
    .symbol:         _ZN9rocsparseL19gebsrmvn_3xn_kernelILj128ELj5ELj64E21rocsparse_complex_numIfEEEvi20rocsparse_direction_NS_24const_host_device_scalarIT2_EEPKiS8_PKS5_SA_S6_PS5_21rocsparse_index_base_b.kd
    .uniform_work_group_size: 1
    .uses_dynamic_stack: false
    .vgpr_count:     59
    .vgpr_spill_count: 0
    .wavefront_size: 32
    .workgroup_processor_mode: 1
  - .args:
      - .offset:         0
        .size:           4
        .value_kind:     by_value
      - .offset:         4
        .size:           4
        .value_kind:     by_value
      - .offset:         8
        .size:           8
        .value_kind:     by_value
      - .actual_access:  read_only
        .address_space:  global
        .offset:         16
        .size:           8
        .value_kind:     global_buffer
      - .actual_access:  read_only
        .address_space:  global
        .offset:         24
        .size:           8
        .value_kind:     global_buffer
      - .actual_access:  read_only
        .address_space:  global
        .offset:         32
        .size:           8
        .value_kind:     global_buffer
      - .actual_access:  read_only
        .address_space:  global
        .offset:         40
        .size:           8
        .value_kind:     global_buffer
      - .offset:         48
        .size:           8
        .value_kind:     by_value
      - .address_space:  global
        .offset:         56
        .size:           8
        .value_kind:     global_buffer
      - .offset:         64
        .size:           4
        .value_kind:     by_value
      - .offset:         68
        .size:           1
        .value_kind:     by_value
    .group_segment_fixed_size: 0
    .kernarg_segment_align: 8
    .kernarg_segment_size: 72
    .language:       OpenCL C
    .language_version:
      - 2
      - 0
    .max_flat_workgroup_size: 128
    .name:           _ZN9rocsparseL19gebsrmvn_3xn_kernelILj128ELj6ELj4E21rocsparse_complex_numIfEEEvi20rocsparse_direction_NS_24const_host_device_scalarIT2_EEPKiS8_PKS5_SA_S6_PS5_21rocsparse_index_base_b
    .private_segment_fixed_size: 0
    .sgpr_count:     18
    .sgpr_spill_count: 0
    .symbol:         _ZN9rocsparseL19gebsrmvn_3xn_kernelILj128ELj6ELj4E21rocsparse_complex_numIfEEEvi20rocsparse_direction_NS_24const_host_device_scalarIT2_EEPKiS8_PKS5_SA_S6_PS5_21rocsparse_index_base_b.kd
    .uniform_work_group_size: 1
    .uses_dynamic_stack: false
    .vgpr_count:     67
    .vgpr_spill_count: 0
    .wavefront_size: 32
    .workgroup_processor_mode: 1
  - .args:
      - .offset:         0
        .size:           4
        .value_kind:     by_value
      - .offset:         4
        .size:           4
        .value_kind:     by_value
      - .offset:         8
        .size:           8
        .value_kind:     by_value
      - .actual_access:  read_only
        .address_space:  global
        .offset:         16
        .size:           8
        .value_kind:     global_buffer
      - .actual_access:  read_only
        .address_space:  global
        .offset:         24
        .size:           8
        .value_kind:     global_buffer
      - .actual_access:  read_only
        .address_space:  global
        .offset:         32
        .size:           8
        .value_kind:     global_buffer
      - .actual_access:  read_only
        .address_space:  global
        .offset:         40
        .size:           8
        .value_kind:     global_buffer
      - .offset:         48
        .size:           8
        .value_kind:     by_value
      - .address_space:  global
        .offset:         56
        .size:           8
        .value_kind:     global_buffer
      - .offset:         64
        .size:           4
        .value_kind:     by_value
      - .offset:         68
        .size:           1
        .value_kind:     by_value
    .group_segment_fixed_size: 0
    .kernarg_segment_align: 8
    .kernarg_segment_size: 72
    .language:       OpenCL C
    .language_version:
      - 2
      - 0
    .max_flat_workgroup_size: 128
    .name:           _ZN9rocsparseL19gebsrmvn_3xn_kernelILj128ELj6ELj8E21rocsparse_complex_numIfEEEvi20rocsparse_direction_NS_24const_host_device_scalarIT2_EEPKiS8_PKS5_SA_S6_PS5_21rocsparse_index_base_b
    .private_segment_fixed_size: 0
    .sgpr_count:     18
    .sgpr_spill_count: 0
    .symbol:         _ZN9rocsparseL19gebsrmvn_3xn_kernelILj128ELj6ELj8E21rocsparse_complex_numIfEEEvi20rocsparse_direction_NS_24const_host_device_scalarIT2_EEPKiS8_PKS5_SA_S6_PS5_21rocsparse_index_base_b.kd
    .uniform_work_group_size: 1
    .uses_dynamic_stack: false
    .vgpr_count:     67
    .vgpr_spill_count: 0
    .wavefront_size: 32
    .workgroup_processor_mode: 1
  - .args:
      - .offset:         0
        .size:           4
        .value_kind:     by_value
      - .offset:         4
        .size:           4
        .value_kind:     by_value
      - .offset:         8
        .size:           8
        .value_kind:     by_value
      - .actual_access:  read_only
        .address_space:  global
        .offset:         16
        .size:           8
        .value_kind:     global_buffer
      - .actual_access:  read_only
        .address_space:  global
        .offset:         24
        .size:           8
        .value_kind:     global_buffer
      - .actual_access:  read_only
        .address_space:  global
        .offset:         32
        .size:           8
        .value_kind:     global_buffer
      - .actual_access:  read_only
        .address_space:  global
        .offset:         40
        .size:           8
        .value_kind:     global_buffer
      - .offset:         48
        .size:           8
        .value_kind:     by_value
      - .address_space:  global
        .offset:         56
        .size:           8
        .value_kind:     global_buffer
      - .offset:         64
        .size:           4
        .value_kind:     by_value
      - .offset:         68
        .size:           1
        .value_kind:     by_value
    .group_segment_fixed_size: 0
    .kernarg_segment_align: 8
    .kernarg_segment_size: 72
    .language:       OpenCL C
    .language_version:
      - 2
      - 0
    .max_flat_workgroup_size: 128
    .name:           _ZN9rocsparseL19gebsrmvn_3xn_kernelILj128ELj6ELj16E21rocsparse_complex_numIfEEEvi20rocsparse_direction_NS_24const_host_device_scalarIT2_EEPKiS8_PKS5_SA_S6_PS5_21rocsparse_index_base_b
    .private_segment_fixed_size: 0
    .sgpr_count:     18
    .sgpr_spill_count: 0
    .symbol:         _ZN9rocsparseL19gebsrmvn_3xn_kernelILj128ELj6ELj16E21rocsparse_complex_numIfEEEvi20rocsparse_direction_NS_24const_host_device_scalarIT2_EEPKiS8_PKS5_SA_S6_PS5_21rocsparse_index_base_b.kd
    .uniform_work_group_size: 1
    .uses_dynamic_stack: false
    .vgpr_count:     67
    .vgpr_spill_count: 0
    .wavefront_size: 32
    .workgroup_processor_mode: 1
  - .args:
      - .offset:         0
        .size:           4
        .value_kind:     by_value
      - .offset:         4
        .size:           4
        .value_kind:     by_value
      - .offset:         8
        .size:           8
        .value_kind:     by_value
      - .actual_access:  read_only
        .address_space:  global
        .offset:         16
        .size:           8
        .value_kind:     global_buffer
      - .actual_access:  read_only
        .address_space:  global
        .offset:         24
        .size:           8
        .value_kind:     global_buffer
      - .actual_access:  read_only
        .address_space:  global
        .offset:         32
        .size:           8
        .value_kind:     global_buffer
      - .actual_access:  read_only
        .address_space:  global
        .offset:         40
        .size:           8
        .value_kind:     global_buffer
      - .offset:         48
        .size:           8
        .value_kind:     by_value
      - .address_space:  global
        .offset:         56
        .size:           8
        .value_kind:     global_buffer
      - .offset:         64
        .size:           4
        .value_kind:     by_value
      - .offset:         68
        .size:           1
        .value_kind:     by_value
    .group_segment_fixed_size: 0
    .kernarg_segment_align: 8
    .kernarg_segment_size: 72
    .language:       OpenCL C
    .language_version:
      - 2
      - 0
    .max_flat_workgroup_size: 128
    .name:           _ZN9rocsparseL19gebsrmvn_3xn_kernelILj128ELj6ELj32E21rocsparse_complex_numIfEEEvi20rocsparse_direction_NS_24const_host_device_scalarIT2_EEPKiS8_PKS5_SA_S6_PS5_21rocsparse_index_base_b
    .private_segment_fixed_size: 0
    .sgpr_count:     18
    .sgpr_spill_count: 0
    .symbol:         _ZN9rocsparseL19gebsrmvn_3xn_kernelILj128ELj6ELj32E21rocsparse_complex_numIfEEEvi20rocsparse_direction_NS_24const_host_device_scalarIT2_EEPKiS8_PKS5_SA_S6_PS5_21rocsparse_index_base_b.kd
    .uniform_work_group_size: 1
    .uses_dynamic_stack: false
    .vgpr_count:     67
    .vgpr_spill_count: 0
    .wavefront_size: 32
    .workgroup_processor_mode: 1
  - .args:
      - .offset:         0
        .size:           4
        .value_kind:     by_value
      - .offset:         4
        .size:           4
        .value_kind:     by_value
      - .offset:         8
        .size:           8
        .value_kind:     by_value
      - .actual_access:  read_only
        .address_space:  global
        .offset:         16
        .size:           8
        .value_kind:     global_buffer
      - .actual_access:  read_only
        .address_space:  global
        .offset:         24
        .size:           8
        .value_kind:     global_buffer
      - .actual_access:  read_only
        .address_space:  global
        .offset:         32
        .size:           8
        .value_kind:     global_buffer
      - .actual_access:  read_only
        .address_space:  global
        .offset:         40
        .size:           8
        .value_kind:     global_buffer
      - .offset:         48
        .size:           8
        .value_kind:     by_value
      - .address_space:  global
        .offset:         56
        .size:           8
        .value_kind:     global_buffer
      - .offset:         64
        .size:           4
        .value_kind:     by_value
      - .offset:         68
        .size:           1
        .value_kind:     by_value
    .group_segment_fixed_size: 0
    .kernarg_segment_align: 8
    .kernarg_segment_size: 72
    .language:       OpenCL C
    .language_version:
      - 2
      - 0
    .max_flat_workgroup_size: 128
    .name:           _ZN9rocsparseL19gebsrmvn_3xn_kernelILj128ELj6ELj64E21rocsparse_complex_numIfEEEvi20rocsparse_direction_NS_24const_host_device_scalarIT2_EEPKiS8_PKS5_SA_S6_PS5_21rocsparse_index_base_b
    .private_segment_fixed_size: 0
    .sgpr_count:     18
    .sgpr_spill_count: 0
    .symbol:         _ZN9rocsparseL19gebsrmvn_3xn_kernelILj128ELj6ELj64E21rocsparse_complex_numIfEEEvi20rocsparse_direction_NS_24const_host_device_scalarIT2_EEPKiS8_PKS5_SA_S6_PS5_21rocsparse_index_base_b.kd
    .uniform_work_group_size: 1
    .uses_dynamic_stack: false
    .vgpr_count:     67
    .vgpr_spill_count: 0
    .wavefront_size: 32
    .workgroup_processor_mode: 1
  - .args:
      - .offset:         0
        .size:           4
        .value_kind:     by_value
      - .offset:         4
        .size:           4
        .value_kind:     by_value
      - .offset:         8
        .size:           8
        .value_kind:     by_value
      - .actual_access:  read_only
        .address_space:  global
        .offset:         16
        .size:           8
        .value_kind:     global_buffer
      - .actual_access:  read_only
        .address_space:  global
        .offset:         24
        .size:           8
        .value_kind:     global_buffer
      - .actual_access:  read_only
        .address_space:  global
        .offset:         32
        .size:           8
        .value_kind:     global_buffer
      - .actual_access:  read_only
        .address_space:  global
        .offset:         40
        .size:           8
        .value_kind:     global_buffer
      - .offset:         48
        .size:           8
        .value_kind:     by_value
      - .address_space:  global
        .offset:         56
        .size:           8
        .value_kind:     global_buffer
      - .offset:         64
        .size:           4
        .value_kind:     by_value
      - .offset:         68
        .size:           1
        .value_kind:     by_value
    .group_segment_fixed_size: 0
    .kernarg_segment_align: 8
    .kernarg_segment_size: 72
    .language:       OpenCL C
    .language_version:
      - 2
      - 0
    .max_flat_workgroup_size: 128
    .name:           _ZN9rocsparseL19gebsrmvn_3xn_kernelILj128ELj7ELj4E21rocsparse_complex_numIfEEEvi20rocsparse_direction_NS_24const_host_device_scalarIT2_EEPKiS8_PKS5_SA_S6_PS5_21rocsparse_index_base_b
    .private_segment_fixed_size: 0
    .sgpr_count:     18
    .sgpr_spill_count: 0
    .symbol:         _ZN9rocsparseL19gebsrmvn_3xn_kernelILj128ELj7ELj4E21rocsparse_complex_numIfEEEvi20rocsparse_direction_NS_24const_host_device_scalarIT2_EEPKiS8_PKS5_SA_S6_PS5_21rocsparse_index_base_b.kd
    .uniform_work_group_size: 1
    .uses_dynamic_stack: false
    .vgpr_count:     73
    .vgpr_spill_count: 0
    .wavefront_size: 32
    .workgroup_processor_mode: 1
  - .args:
      - .offset:         0
        .size:           4
        .value_kind:     by_value
      - .offset:         4
        .size:           4
        .value_kind:     by_value
      - .offset:         8
        .size:           8
        .value_kind:     by_value
      - .actual_access:  read_only
        .address_space:  global
        .offset:         16
        .size:           8
        .value_kind:     global_buffer
      - .actual_access:  read_only
        .address_space:  global
        .offset:         24
        .size:           8
        .value_kind:     global_buffer
      - .actual_access:  read_only
        .address_space:  global
        .offset:         32
        .size:           8
        .value_kind:     global_buffer
      - .actual_access:  read_only
        .address_space:  global
        .offset:         40
        .size:           8
        .value_kind:     global_buffer
      - .offset:         48
        .size:           8
        .value_kind:     by_value
      - .address_space:  global
        .offset:         56
        .size:           8
        .value_kind:     global_buffer
      - .offset:         64
        .size:           4
        .value_kind:     by_value
      - .offset:         68
        .size:           1
        .value_kind:     by_value
    .group_segment_fixed_size: 0
    .kernarg_segment_align: 8
    .kernarg_segment_size: 72
    .language:       OpenCL C
    .language_version:
      - 2
      - 0
    .max_flat_workgroup_size: 128
    .name:           _ZN9rocsparseL19gebsrmvn_3xn_kernelILj128ELj7ELj8E21rocsparse_complex_numIfEEEvi20rocsparse_direction_NS_24const_host_device_scalarIT2_EEPKiS8_PKS5_SA_S6_PS5_21rocsparse_index_base_b
    .private_segment_fixed_size: 0
    .sgpr_count:     18
    .sgpr_spill_count: 0
    .symbol:         _ZN9rocsparseL19gebsrmvn_3xn_kernelILj128ELj7ELj8E21rocsparse_complex_numIfEEEvi20rocsparse_direction_NS_24const_host_device_scalarIT2_EEPKiS8_PKS5_SA_S6_PS5_21rocsparse_index_base_b.kd
    .uniform_work_group_size: 1
    .uses_dynamic_stack: false
    .vgpr_count:     73
    .vgpr_spill_count: 0
    .wavefront_size: 32
    .workgroup_processor_mode: 1
  - .args:
      - .offset:         0
        .size:           4
        .value_kind:     by_value
      - .offset:         4
        .size:           4
        .value_kind:     by_value
      - .offset:         8
        .size:           8
        .value_kind:     by_value
      - .actual_access:  read_only
        .address_space:  global
        .offset:         16
        .size:           8
        .value_kind:     global_buffer
      - .actual_access:  read_only
        .address_space:  global
        .offset:         24
        .size:           8
        .value_kind:     global_buffer
      - .actual_access:  read_only
        .address_space:  global
        .offset:         32
        .size:           8
        .value_kind:     global_buffer
      - .actual_access:  read_only
        .address_space:  global
        .offset:         40
        .size:           8
        .value_kind:     global_buffer
      - .offset:         48
        .size:           8
        .value_kind:     by_value
      - .address_space:  global
        .offset:         56
        .size:           8
        .value_kind:     global_buffer
      - .offset:         64
        .size:           4
        .value_kind:     by_value
      - .offset:         68
        .size:           1
        .value_kind:     by_value
    .group_segment_fixed_size: 0
    .kernarg_segment_align: 8
    .kernarg_segment_size: 72
    .language:       OpenCL C
    .language_version:
      - 2
      - 0
    .max_flat_workgroup_size: 128
    .name:           _ZN9rocsparseL19gebsrmvn_3xn_kernelILj128ELj7ELj16E21rocsparse_complex_numIfEEEvi20rocsparse_direction_NS_24const_host_device_scalarIT2_EEPKiS8_PKS5_SA_S6_PS5_21rocsparse_index_base_b
    .private_segment_fixed_size: 0
    .sgpr_count:     18
    .sgpr_spill_count: 0
    .symbol:         _ZN9rocsparseL19gebsrmvn_3xn_kernelILj128ELj7ELj16E21rocsparse_complex_numIfEEEvi20rocsparse_direction_NS_24const_host_device_scalarIT2_EEPKiS8_PKS5_SA_S6_PS5_21rocsparse_index_base_b.kd
    .uniform_work_group_size: 1
    .uses_dynamic_stack: false
    .vgpr_count:     73
    .vgpr_spill_count: 0
    .wavefront_size: 32
    .workgroup_processor_mode: 1
  - .args:
      - .offset:         0
        .size:           4
        .value_kind:     by_value
      - .offset:         4
        .size:           4
        .value_kind:     by_value
      - .offset:         8
        .size:           8
        .value_kind:     by_value
      - .actual_access:  read_only
        .address_space:  global
        .offset:         16
        .size:           8
        .value_kind:     global_buffer
      - .actual_access:  read_only
        .address_space:  global
        .offset:         24
        .size:           8
        .value_kind:     global_buffer
      - .actual_access:  read_only
        .address_space:  global
        .offset:         32
        .size:           8
        .value_kind:     global_buffer
      - .actual_access:  read_only
        .address_space:  global
        .offset:         40
        .size:           8
        .value_kind:     global_buffer
      - .offset:         48
        .size:           8
        .value_kind:     by_value
      - .address_space:  global
        .offset:         56
        .size:           8
        .value_kind:     global_buffer
      - .offset:         64
        .size:           4
        .value_kind:     by_value
      - .offset:         68
        .size:           1
        .value_kind:     by_value
    .group_segment_fixed_size: 0
    .kernarg_segment_align: 8
    .kernarg_segment_size: 72
    .language:       OpenCL C
    .language_version:
      - 2
      - 0
    .max_flat_workgroup_size: 128
    .name:           _ZN9rocsparseL19gebsrmvn_3xn_kernelILj128ELj7ELj32E21rocsparse_complex_numIfEEEvi20rocsparse_direction_NS_24const_host_device_scalarIT2_EEPKiS8_PKS5_SA_S6_PS5_21rocsparse_index_base_b
    .private_segment_fixed_size: 0
    .sgpr_count:     18
    .sgpr_spill_count: 0
    .symbol:         _ZN9rocsparseL19gebsrmvn_3xn_kernelILj128ELj7ELj32E21rocsparse_complex_numIfEEEvi20rocsparse_direction_NS_24const_host_device_scalarIT2_EEPKiS8_PKS5_SA_S6_PS5_21rocsparse_index_base_b.kd
    .uniform_work_group_size: 1
    .uses_dynamic_stack: false
    .vgpr_count:     73
    .vgpr_spill_count: 0
    .wavefront_size: 32
    .workgroup_processor_mode: 1
  - .args:
      - .offset:         0
        .size:           4
        .value_kind:     by_value
      - .offset:         4
        .size:           4
        .value_kind:     by_value
      - .offset:         8
        .size:           8
        .value_kind:     by_value
      - .actual_access:  read_only
        .address_space:  global
        .offset:         16
        .size:           8
        .value_kind:     global_buffer
      - .actual_access:  read_only
        .address_space:  global
        .offset:         24
        .size:           8
        .value_kind:     global_buffer
      - .actual_access:  read_only
        .address_space:  global
        .offset:         32
        .size:           8
        .value_kind:     global_buffer
      - .actual_access:  read_only
        .address_space:  global
        .offset:         40
        .size:           8
        .value_kind:     global_buffer
      - .offset:         48
        .size:           8
        .value_kind:     by_value
      - .address_space:  global
        .offset:         56
        .size:           8
        .value_kind:     global_buffer
      - .offset:         64
        .size:           4
        .value_kind:     by_value
      - .offset:         68
        .size:           1
        .value_kind:     by_value
    .group_segment_fixed_size: 0
    .kernarg_segment_align: 8
    .kernarg_segment_size: 72
    .language:       OpenCL C
    .language_version:
      - 2
      - 0
    .max_flat_workgroup_size: 128
    .name:           _ZN9rocsparseL19gebsrmvn_3xn_kernelILj128ELj7ELj64E21rocsparse_complex_numIfEEEvi20rocsparse_direction_NS_24const_host_device_scalarIT2_EEPKiS8_PKS5_SA_S6_PS5_21rocsparse_index_base_b
    .private_segment_fixed_size: 0
    .sgpr_count:     18
    .sgpr_spill_count: 0
    .symbol:         _ZN9rocsparseL19gebsrmvn_3xn_kernelILj128ELj7ELj64E21rocsparse_complex_numIfEEEvi20rocsparse_direction_NS_24const_host_device_scalarIT2_EEPKiS8_PKS5_SA_S6_PS5_21rocsparse_index_base_b.kd
    .uniform_work_group_size: 1
    .uses_dynamic_stack: false
    .vgpr_count:     73
    .vgpr_spill_count: 0
    .wavefront_size: 32
    .workgroup_processor_mode: 1
  - .args:
      - .offset:         0
        .size:           4
        .value_kind:     by_value
      - .offset:         4
        .size:           4
        .value_kind:     by_value
      - .offset:         8
        .size:           8
        .value_kind:     by_value
      - .actual_access:  read_only
        .address_space:  global
        .offset:         16
        .size:           8
        .value_kind:     global_buffer
      - .actual_access:  read_only
        .address_space:  global
        .offset:         24
        .size:           8
        .value_kind:     global_buffer
      - .actual_access:  read_only
        .address_space:  global
        .offset:         32
        .size:           8
        .value_kind:     global_buffer
      - .actual_access:  read_only
        .address_space:  global
        .offset:         40
        .size:           8
        .value_kind:     global_buffer
      - .offset:         48
        .size:           8
        .value_kind:     by_value
      - .address_space:  global
        .offset:         56
        .size:           8
        .value_kind:     global_buffer
      - .offset:         64
        .size:           4
        .value_kind:     by_value
      - .offset:         68
        .size:           1
        .value_kind:     by_value
    .group_segment_fixed_size: 0
    .kernarg_segment_align: 8
    .kernarg_segment_size: 72
    .language:       OpenCL C
    .language_version:
      - 2
      - 0
    .max_flat_workgroup_size: 128
    .name:           _ZN9rocsparseL19gebsrmvn_3xn_kernelILj128ELj8ELj4E21rocsparse_complex_numIfEEEvi20rocsparse_direction_NS_24const_host_device_scalarIT2_EEPKiS8_PKS5_SA_S6_PS5_21rocsparse_index_base_b
    .private_segment_fixed_size: 0
    .sgpr_count:     18
    .sgpr_spill_count: 0
    .symbol:         _ZN9rocsparseL19gebsrmvn_3xn_kernelILj128ELj8ELj4E21rocsparse_complex_numIfEEEvi20rocsparse_direction_NS_24const_host_device_scalarIT2_EEPKiS8_PKS5_SA_S6_PS5_21rocsparse_index_base_b.kd
    .uniform_work_group_size: 1
    .uses_dynamic_stack: false
    .vgpr_count:     68
    .vgpr_spill_count: 0
    .wavefront_size: 32
    .workgroup_processor_mode: 1
  - .args:
      - .offset:         0
        .size:           4
        .value_kind:     by_value
      - .offset:         4
        .size:           4
        .value_kind:     by_value
      - .offset:         8
        .size:           8
        .value_kind:     by_value
      - .actual_access:  read_only
        .address_space:  global
        .offset:         16
        .size:           8
        .value_kind:     global_buffer
      - .actual_access:  read_only
        .address_space:  global
        .offset:         24
        .size:           8
        .value_kind:     global_buffer
      - .actual_access:  read_only
        .address_space:  global
        .offset:         32
        .size:           8
        .value_kind:     global_buffer
      - .actual_access:  read_only
        .address_space:  global
        .offset:         40
        .size:           8
        .value_kind:     global_buffer
      - .offset:         48
        .size:           8
        .value_kind:     by_value
      - .address_space:  global
        .offset:         56
        .size:           8
        .value_kind:     global_buffer
      - .offset:         64
        .size:           4
        .value_kind:     by_value
      - .offset:         68
        .size:           1
        .value_kind:     by_value
    .group_segment_fixed_size: 0
    .kernarg_segment_align: 8
    .kernarg_segment_size: 72
    .language:       OpenCL C
    .language_version:
      - 2
      - 0
    .max_flat_workgroup_size: 128
    .name:           _ZN9rocsparseL19gebsrmvn_3xn_kernelILj128ELj8ELj8E21rocsparse_complex_numIfEEEvi20rocsparse_direction_NS_24const_host_device_scalarIT2_EEPKiS8_PKS5_SA_S6_PS5_21rocsparse_index_base_b
    .private_segment_fixed_size: 0
    .sgpr_count:     18
    .sgpr_spill_count: 0
    .symbol:         _ZN9rocsparseL19gebsrmvn_3xn_kernelILj128ELj8ELj8E21rocsparse_complex_numIfEEEvi20rocsparse_direction_NS_24const_host_device_scalarIT2_EEPKiS8_PKS5_SA_S6_PS5_21rocsparse_index_base_b.kd
    .uniform_work_group_size: 1
    .uses_dynamic_stack: false
    .vgpr_count:     68
    .vgpr_spill_count: 0
    .wavefront_size: 32
    .workgroup_processor_mode: 1
  - .args:
      - .offset:         0
        .size:           4
        .value_kind:     by_value
      - .offset:         4
        .size:           4
        .value_kind:     by_value
      - .offset:         8
        .size:           8
        .value_kind:     by_value
      - .actual_access:  read_only
        .address_space:  global
        .offset:         16
        .size:           8
        .value_kind:     global_buffer
      - .actual_access:  read_only
        .address_space:  global
        .offset:         24
        .size:           8
        .value_kind:     global_buffer
      - .actual_access:  read_only
        .address_space:  global
        .offset:         32
        .size:           8
        .value_kind:     global_buffer
      - .actual_access:  read_only
        .address_space:  global
        .offset:         40
        .size:           8
        .value_kind:     global_buffer
      - .offset:         48
        .size:           8
        .value_kind:     by_value
      - .address_space:  global
        .offset:         56
        .size:           8
        .value_kind:     global_buffer
      - .offset:         64
        .size:           4
        .value_kind:     by_value
      - .offset:         68
        .size:           1
        .value_kind:     by_value
    .group_segment_fixed_size: 0
    .kernarg_segment_align: 8
    .kernarg_segment_size: 72
    .language:       OpenCL C
    .language_version:
      - 2
      - 0
    .max_flat_workgroup_size: 128
    .name:           _ZN9rocsparseL19gebsrmvn_3xn_kernelILj128ELj8ELj16E21rocsparse_complex_numIfEEEvi20rocsparse_direction_NS_24const_host_device_scalarIT2_EEPKiS8_PKS5_SA_S6_PS5_21rocsparse_index_base_b
    .private_segment_fixed_size: 0
    .sgpr_count:     18
    .sgpr_spill_count: 0
    .symbol:         _ZN9rocsparseL19gebsrmvn_3xn_kernelILj128ELj8ELj16E21rocsparse_complex_numIfEEEvi20rocsparse_direction_NS_24const_host_device_scalarIT2_EEPKiS8_PKS5_SA_S6_PS5_21rocsparse_index_base_b.kd
    .uniform_work_group_size: 1
    .uses_dynamic_stack: false
    .vgpr_count:     68
    .vgpr_spill_count: 0
    .wavefront_size: 32
    .workgroup_processor_mode: 1
  - .args:
      - .offset:         0
        .size:           4
        .value_kind:     by_value
      - .offset:         4
        .size:           4
        .value_kind:     by_value
      - .offset:         8
        .size:           8
        .value_kind:     by_value
      - .actual_access:  read_only
        .address_space:  global
        .offset:         16
        .size:           8
        .value_kind:     global_buffer
      - .actual_access:  read_only
        .address_space:  global
        .offset:         24
        .size:           8
        .value_kind:     global_buffer
      - .actual_access:  read_only
        .address_space:  global
        .offset:         32
        .size:           8
        .value_kind:     global_buffer
      - .actual_access:  read_only
        .address_space:  global
        .offset:         40
        .size:           8
        .value_kind:     global_buffer
      - .offset:         48
        .size:           8
        .value_kind:     by_value
      - .address_space:  global
        .offset:         56
        .size:           8
        .value_kind:     global_buffer
      - .offset:         64
        .size:           4
        .value_kind:     by_value
      - .offset:         68
        .size:           1
        .value_kind:     by_value
    .group_segment_fixed_size: 0
    .kernarg_segment_align: 8
    .kernarg_segment_size: 72
    .language:       OpenCL C
    .language_version:
      - 2
      - 0
    .max_flat_workgroup_size: 128
    .name:           _ZN9rocsparseL19gebsrmvn_3xn_kernelILj128ELj8ELj32E21rocsparse_complex_numIfEEEvi20rocsparse_direction_NS_24const_host_device_scalarIT2_EEPKiS8_PKS5_SA_S6_PS5_21rocsparse_index_base_b
    .private_segment_fixed_size: 0
    .sgpr_count:     18
    .sgpr_spill_count: 0
    .symbol:         _ZN9rocsparseL19gebsrmvn_3xn_kernelILj128ELj8ELj32E21rocsparse_complex_numIfEEEvi20rocsparse_direction_NS_24const_host_device_scalarIT2_EEPKiS8_PKS5_SA_S6_PS5_21rocsparse_index_base_b.kd
    .uniform_work_group_size: 1
    .uses_dynamic_stack: false
    .vgpr_count:     68
    .vgpr_spill_count: 0
    .wavefront_size: 32
    .workgroup_processor_mode: 1
  - .args:
      - .offset:         0
        .size:           4
        .value_kind:     by_value
      - .offset:         4
        .size:           4
        .value_kind:     by_value
      - .offset:         8
        .size:           8
        .value_kind:     by_value
      - .actual_access:  read_only
        .address_space:  global
        .offset:         16
        .size:           8
        .value_kind:     global_buffer
      - .actual_access:  read_only
        .address_space:  global
        .offset:         24
        .size:           8
        .value_kind:     global_buffer
      - .actual_access:  read_only
        .address_space:  global
        .offset:         32
        .size:           8
        .value_kind:     global_buffer
      - .actual_access:  read_only
        .address_space:  global
        .offset:         40
        .size:           8
        .value_kind:     global_buffer
      - .offset:         48
        .size:           8
        .value_kind:     by_value
      - .address_space:  global
        .offset:         56
        .size:           8
        .value_kind:     global_buffer
      - .offset:         64
        .size:           4
        .value_kind:     by_value
      - .offset:         68
        .size:           1
        .value_kind:     by_value
    .group_segment_fixed_size: 0
    .kernarg_segment_align: 8
    .kernarg_segment_size: 72
    .language:       OpenCL C
    .language_version:
      - 2
      - 0
    .max_flat_workgroup_size: 128
    .name:           _ZN9rocsparseL19gebsrmvn_3xn_kernelILj128ELj8ELj64E21rocsparse_complex_numIfEEEvi20rocsparse_direction_NS_24const_host_device_scalarIT2_EEPKiS8_PKS5_SA_S6_PS5_21rocsparse_index_base_b
    .private_segment_fixed_size: 0
    .sgpr_count:     18
    .sgpr_spill_count: 0
    .symbol:         _ZN9rocsparseL19gebsrmvn_3xn_kernelILj128ELj8ELj64E21rocsparse_complex_numIfEEEvi20rocsparse_direction_NS_24const_host_device_scalarIT2_EEPKiS8_PKS5_SA_S6_PS5_21rocsparse_index_base_b.kd
    .uniform_work_group_size: 1
    .uses_dynamic_stack: false
    .vgpr_count:     68
    .vgpr_spill_count: 0
    .wavefront_size: 32
    .workgroup_processor_mode: 1
  - .args:
      - .offset:         0
        .size:           4
        .value_kind:     by_value
      - .offset:         4
        .size:           4
        .value_kind:     by_value
      - .offset:         8
        .size:           8
        .value_kind:     by_value
      - .actual_access:  read_only
        .address_space:  global
        .offset:         16
        .size:           8
        .value_kind:     global_buffer
      - .actual_access:  read_only
        .address_space:  global
        .offset:         24
        .size:           8
        .value_kind:     global_buffer
      - .actual_access:  read_only
        .address_space:  global
        .offset:         32
        .size:           8
        .value_kind:     global_buffer
      - .offset:         40
        .size:           4
        .value_kind:     by_value
      - .offset:         44
        .size:           4
        .value_kind:     by_value
      - .actual_access:  read_only
        .address_space:  global
        .offset:         48
        .size:           8
        .value_kind:     global_buffer
      - .offset:         56
        .size:           8
        .value_kind:     by_value
      - .address_space:  global
        .offset:         64
        .size:           8
        .value_kind:     global_buffer
      - .offset:         72
        .size:           4
        .value_kind:     by_value
      - .offset:         76
        .size:           1
        .value_kind:     by_value
    .group_segment_fixed_size: 0
    .kernarg_segment_align: 8
    .kernarg_segment_size: 80
    .language:       OpenCL C
    .language_version:
      - 2
      - 0
    .max_flat_workgroup_size: 48
    .name:           _ZN9rocsparseL23gebsrmvn_general_kernelILj48ELj16E21rocsparse_complex_numIfEEEvi20rocsparse_direction_NS_24const_host_device_scalarIT1_EEPKiS8_PKS5_iiSA_S6_PS5_21rocsparse_index_base_b
    .private_segment_fixed_size: 0
    .sgpr_count:     30
    .sgpr_spill_count: 0
    .symbol:         _ZN9rocsparseL23gebsrmvn_general_kernelILj48ELj16E21rocsparse_complex_numIfEEEvi20rocsparse_direction_NS_24const_host_device_scalarIT1_EEPKiS8_PKS5_iiSA_S6_PS5_21rocsparse_index_base_b.kd
    .uniform_work_group_size: 1
    .uses_dynamic_stack: false
    .vgpr_count:     19
    .vgpr_spill_count: 0
    .wavefront_size: 32
    .workgroup_processor_mode: 1
  - .args:
      - .offset:         0
        .size:           4
        .value_kind:     by_value
      - .offset:         4
        .size:           4
        .value_kind:     by_value
      - .offset:         8
        .size:           8
        .value_kind:     by_value
      - .actual_access:  read_only
        .address_space:  global
        .offset:         16
        .size:           8
        .value_kind:     global_buffer
      - .actual_access:  read_only
        .address_space:  global
        .offset:         24
        .size:           8
        .value_kind:     global_buffer
      - .actual_access:  read_only
        .address_space:  global
        .offset:         32
        .size:           8
        .value_kind:     global_buffer
      - .offset:         40
        .size:           4
        .value_kind:     by_value
      - .offset:         44
        .size:           4
        .value_kind:     by_value
      - .actual_access:  read_only
        .address_space:  global
        .offset:         48
        .size:           8
        .value_kind:     global_buffer
      - .offset:         56
        .size:           8
        .value_kind:     by_value
      - .address_space:  global
        .offset:         64
        .size:           8
        .value_kind:     global_buffer
      - .offset:         72
        .size:           4
        .value_kind:     by_value
      - .offset:         76
        .size:           1
        .value_kind:     by_value
    .group_segment_fixed_size: 0
    .kernarg_segment_align: 8
    .kernarg_segment_size: 80
    .language:       OpenCL C
    .language_version:
      - 2
      - 0
    .max_flat_workgroup_size: 96
    .name:           _ZN9rocsparseL23gebsrmvn_general_kernelILj96ELj32E21rocsparse_complex_numIfEEEvi20rocsparse_direction_NS_24const_host_device_scalarIT1_EEPKiS8_PKS5_iiSA_S6_PS5_21rocsparse_index_base_b
    .private_segment_fixed_size: 0
    .sgpr_count:     30
    .sgpr_spill_count: 0
    .symbol:         _ZN9rocsparseL23gebsrmvn_general_kernelILj96ELj32E21rocsparse_complex_numIfEEEvi20rocsparse_direction_NS_24const_host_device_scalarIT1_EEPKiS8_PKS5_iiSA_S6_PS5_21rocsparse_index_base_b.kd
    .uniform_work_group_size: 1
    .uses_dynamic_stack: false
    .vgpr_count:     20
    .vgpr_spill_count: 0
    .wavefront_size: 32
    .workgroup_processor_mode: 1
  - .args:
      - .offset:         0
        .size:           4
        .value_kind:     by_value
      - .offset:         4
        .size:           4
        .value_kind:     by_value
      - .offset:         8
        .size:           16
        .value_kind:     by_value
      - .actual_access:  read_only
        .address_space:  global
        .offset:         24
        .size:           8
        .value_kind:     global_buffer
      - .actual_access:  read_only
        .address_space:  global
        .offset:         32
        .size:           8
        .value_kind:     global_buffer
      - .actual_access:  read_only
        .address_space:  global
        .offset:         40
        .size:           8
        .value_kind:     global_buffer
      - .actual_access:  read_only
        .address_space:  global
        .offset:         48
        .size:           8
        .value_kind:     global_buffer
      - .offset:         56
        .size:           16
        .value_kind:     by_value
      - .address_space:  global
        .offset:         72
        .size:           8
        .value_kind:     global_buffer
      - .offset:         80
        .size:           4
        .value_kind:     by_value
      - .offset:         84
        .size:           1
        .value_kind:     by_value
    .group_segment_fixed_size: 0
    .kernarg_segment_align: 8
    .kernarg_segment_size: 88
    .language:       OpenCL C
    .language_version:
      - 2
      - 0
    .max_flat_workgroup_size: 128
    .name:           _ZN9rocsparseL19gebsrmvn_3xn_kernelILj128ELj1ELj4E21rocsparse_complex_numIdEEEvi20rocsparse_direction_NS_24const_host_device_scalarIT2_EEPKiS8_PKS5_SA_S6_PS5_21rocsparse_index_base_b
    .private_segment_fixed_size: 0
    .sgpr_count:     18
    .sgpr_spill_count: 0
    .symbol:         _ZN9rocsparseL19gebsrmvn_3xn_kernelILj128ELj1ELj4E21rocsparse_complex_numIdEEEvi20rocsparse_direction_NS_24const_host_device_scalarIT2_EEPKiS8_PKS5_SA_S6_PS5_21rocsparse_index_base_b.kd
    .uniform_work_group_size: 1
    .uses_dynamic_stack: false
    .vgpr_count:     44
    .vgpr_spill_count: 0
    .wavefront_size: 32
    .workgroup_processor_mode: 1
  - .args:
      - .offset:         0
        .size:           4
        .value_kind:     by_value
      - .offset:         4
        .size:           4
        .value_kind:     by_value
      - .offset:         8
        .size:           16
        .value_kind:     by_value
      - .actual_access:  read_only
        .address_space:  global
        .offset:         24
        .size:           8
        .value_kind:     global_buffer
      - .actual_access:  read_only
        .address_space:  global
        .offset:         32
        .size:           8
        .value_kind:     global_buffer
      - .actual_access:  read_only
        .address_space:  global
        .offset:         40
        .size:           8
        .value_kind:     global_buffer
      - .actual_access:  read_only
        .address_space:  global
        .offset:         48
        .size:           8
        .value_kind:     global_buffer
      - .offset:         56
        .size:           16
        .value_kind:     by_value
      - .address_space:  global
        .offset:         72
        .size:           8
        .value_kind:     global_buffer
      - .offset:         80
        .size:           4
        .value_kind:     by_value
      - .offset:         84
        .size:           1
        .value_kind:     by_value
    .group_segment_fixed_size: 0
    .kernarg_segment_align: 8
    .kernarg_segment_size: 88
    .language:       OpenCL C
    .language_version:
      - 2
      - 0
    .max_flat_workgroup_size: 128
    .name:           _ZN9rocsparseL19gebsrmvn_3xn_kernelILj128ELj1ELj8E21rocsparse_complex_numIdEEEvi20rocsparse_direction_NS_24const_host_device_scalarIT2_EEPKiS8_PKS5_SA_S6_PS5_21rocsparse_index_base_b
    .private_segment_fixed_size: 0
    .sgpr_count:     18
    .sgpr_spill_count: 0
    .symbol:         _ZN9rocsparseL19gebsrmvn_3xn_kernelILj128ELj1ELj8E21rocsparse_complex_numIdEEEvi20rocsparse_direction_NS_24const_host_device_scalarIT2_EEPKiS8_PKS5_SA_S6_PS5_21rocsparse_index_base_b.kd
    .uniform_work_group_size: 1
    .uses_dynamic_stack: false
    .vgpr_count:     44
    .vgpr_spill_count: 0
    .wavefront_size: 32
    .workgroup_processor_mode: 1
  - .args:
      - .offset:         0
        .size:           4
        .value_kind:     by_value
      - .offset:         4
        .size:           4
        .value_kind:     by_value
      - .offset:         8
        .size:           16
        .value_kind:     by_value
      - .actual_access:  read_only
        .address_space:  global
        .offset:         24
        .size:           8
        .value_kind:     global_buffer
      - .actual_access:  read_only
        .address_space:  global
        .offset:         32
        .size:           8
        .value_kind:     global_buffer
      - .actual_access:  read_only
        .address_space:  global
        .offset:         40
        .size:           8
        .value_kind:     global_buffer
      - .actual_access:  read_only
        .address_space:  global
        .offset:         48
        .size:           8
        .value_kind:     global_buffer
      - .offset:         56
        .size:           16
        .value_kind:     by_value
      - .address_space:  global
        .offset:         72
        .size:           8
        .value_kind:     global_buffer
      - .offset:         80
        .size:           4
        .value_kind:     by_value
      - .offset:         84
        .size:           1
        .value_kind:     by_value
    .group_segment_fixed_size: 0
    .kernarg_segment_align: 8
    .kernarg_segment_size: 88
    .language:       OpenCL C
    .language_version:
      - 2
      - 0
    .max_flat_workgroup_size: 128
    .name:           _ZN9rocsparseL19gebsrmvn_3xn_kernelILj128ELj1ELj16E21rocsparse_complex_numIdEEEvi20rocsparse_direction_NS_24const_host_device_scalarIT2_EEPKiS8_PKS5_SA_S6_PS5_21rocsparse_index_base_b
    .private_segment_fixed_size: 0
    .sgpr_count:     18
    .sgpr_spill_count: 0
    .symbol:         _ZN9rocsparseL19gebsrmvn_3xn_kernelILj128ELj1ELj16E21rocsparse_complex_numIdEEEvi20rocsparse_direction_NS_24const_host_device_scalarIT2_EEPKiS8_PKS5_SA_S6_PS5_21rocsparse_index_base_b.kd
    .uniform_work_group_size: 1
    .uses_dynamic_stack: false
    .vgpr_count:     44
    .vgpr_spill_count: 0
    .wavefront_size: 32
    .workgroup_processor_mode: 1
  - .args:
      - .offset:         0
        .size:           4
        .value_kind:     by_value
      - .offset:         4
        .size:           4
        .value_kind:     by_value
      - .offset:         8
        .size:           16
        .value_kind:     by_value
      - .actual_access:  read_only
        .address_space:  global
        .offset:         24
        .size:           8
        .value_kind:     global_buffer
      - .actual_access:  read_only
        .address_space:  global
        .offset:         32
        .size:           8
        .value_kind:     global_buffer
      - .actual_access:  read_only
        .address_space:  global
        .offset:         40
        .size:           8
        .value_kind:     global_buffer
      - .actual_access:  read_only
        .address_space:  global
        .offset:         48
        .size:           8
        .value_kind:     global_buffer
      - .offset:         56
        .size:           16
        .value_kind:     by_value
      - .address_space:  global
        .offset:         72
        .size:           8
        .value_kind:     global_buffer
      - .offset:         80
        .size:           4
        .value_kind:     by_value
      - .offset:         84
        .size:           1
        .value_kind:     by_value
    .group_segment_fixed_size: 0
    .kernarg_segment_align: 8
    .kernarg_segment_size: 88
    .language:       OpenCL C
    .language_version:
      - 2
      - 0
    .max_flat_workgroup_size: 128
    .name:           _ZN9rocsparseL19gebsrmvn_3xn_kernelILj128ELj1ELj32E21rocsparse_complex_numIdEEEvi20rocsparse_direction_NS_24const_host_device_scalarIT2_EEPKiS8_PKS5_SA_S6_PS5_21rocsparse_index_base_b
    .private_segment_fixed_size: 0
    .sgpr_count:     18
    .sgpr_spill_count: 0
    .symbol:         _ZN9rocsparseL19gebsrmvn_3xn_kernelILj128ELj1ELj32E21rocsparse_complex_numIdEEEvi20rocsparse_direction_NS_24const_host_device_scalarIT2_EEPKiS8_PKS5_SA_S6_PS5_21rocsparse_index_base_b.kd
    .uniform_work_group_size: 1
    .uses_dynamic_stack: false
    .vgpr_count:     44
    .vgpr_spill_count: 0
    .wavefront_size: 32
    .workgroup_processor_mode: 1
  - .args:
      - .offset:         0
        .size:           4
        .value_kind:     by_value
      - .offset:         4
        .size:           4
        .value_kind:     by_value
      - .offset:         8
        .size:           16
        .value_kind:     by_value
      - .actual_access:  read_only
        .address_space:  global
        .offset:         24
        .size:           8
        .value_kind:     global_buffer
      - .actual_access:  read_only
        .address_space:  global
        .offset:         32
        .size:           8
        .value_kind:     global_buffer
      - .actual_access:  read_only
        .address_space:  global
        .offset:         40
        .size:           8
        .value_kind:     global_buffer
      - .actual_access:  read_only
        .address_space:  global
        .offset:         48
        .size:           8
        .value_kind:     global_buffer
      - .offset:         56
        .size:           16
        .value_kind:     by_value
      - .address_space:  global
        .offset:         72
        .size:           8
        .value_kind:     global_buffer
      - .offset:         80
        .size:           4
        .value_kind:     by_value
      - .offset:         84
        .size:           1
        .value_kind:     by_value
    .group_segment_fixed_size: 0
    .kernarg_segment_align: 8
    .kernarg_segment_size: 88
    .language:       OpenCL C
    .language_version:
      - 2
      - 0
    .max_flat_workgroup_size: 128
    .name:           _ZN9rocsparseL19gebsrmvn_3xn_kernelILj128ELj1ELj64E21rocsparse_complex_numIdEEEvi20rocsparse_direction_NS_24const_host_device_scalarIT2_EEPKiS8_PKS5_SA_S6_PS5_21rocsparse_index_base_b
    .private_segment_fixed_size: 0
    .sgpr_count:     18
    .sgpr_spill_count: 0
    .symbol:         _ZN9rocsparseL19gebsrmvn_3xn_kernelILj128ELj1ELj64E21rocsparse_complex_numIdEEEvi20rocsparse_direction_NS_24const_host_device_scalarIT2_EEPKiS8_PKS5_SA_S6_PS5_21rocsparse_index_base_b.kd
    .uniform_work_group_size: 1
    .uses_dynamic_stack: false
    .vgpr_count:     44
    .vgpr_spill_count: 0
    .wavefront_size: 32
    .workgroup_processor_mode: 1
  - .args:
      - .offset:         0
        .size:           4
        .value_kind:     by_value
      - .offset:         4
        .size:           4
        .value_kind:     by_value
      - .offset:         8
        .size:           16
        .value_kind:     by_value
      - .actual_access:  read_only
        .address_space:  global
        .offset:         24
        .size:           8
        .value_kind:     global_buffer
      - .actual_access:  read_only
        .address_space:  global
        .offset:         32
        .size:           8
        .value_kind:     global_buffer
      - .actual_access:  read_only
        .address_space:  global
        .offset:         40
        .size:           8
        .value_kind:     global_buffer
      - .actual_access:  read_only
        .address_space:  global
        .offset:         48
        .size:           8
        .value_kind:     global_buffer
      - .offset:         56
        .size:           16
        .value_kind:     by_value
      - .address_space:  global
        .offset:         72
        .size:           8
        .value_kind:     global_buffer
      - .offset:         80
        .size:           4
        .value_kind:     by_value
      - .offset:         84
        .size:           1
        .value_kind:     by_value
    .group_segment_fixed_size: 0
    .kernarg_segment_align: 8
    .kernarg_segment_size: 88
    .language:       OpenCL C
    .language_version:
      - 2
      - 0
    .max_flat_workgroup_size: 128
    .name:           _ZN9rocsparseL19gebsrmvn_3xn_kernelILj128ELj2ELj4E21rocsparse_complex_numIdEEEvi20rocsparse_direction_NS_24const_host_device_scalarIT2_EEPKiS8_PKS5_SA_S6_PS5_21rocsparse_index_base_b
    .private_segment_fixed_size: 0
    .sgpr_count:     18
    .sgpr_spill_count: 0
    .symbol:         _ZN9rocsparseL19gebsrmvn_3xn_kernelILj128ELj2ELj4E21rocsparse_complex_numIdEEEvi20rocsparse_direction_NS_24const_host_device_scalarIT2_EEPKiS8_PKS5_SA_S6_PS5_21rocsparse_index_base_b.kd
    .uniform_work_group_size: 1
    .uses_dynamic_stack: false
    .vgpr_count:     62
    .vgpr_spill_count: 0
    .wavefront_size: 32
    .workgroup_processor_mode: 1
  - .args:
      - .offset:         0
        .size:           4
        .value_kind:     by_value
      - .offset:         4
        .size:           4
        .value_kind:     by_value
      - .offset:         8
        .size:           16
        .value_kind:     by_value
      - .actual_access:  read_only
        .address_space:  global
        .offset:         24
        .size:           8
        .value_kind:     global_buffer
      - .actual_access:  read_only
        .address_space:  global
        .offset:         32
        .size:           8
        .value_kind:     global_buffer
      - .actual_access:  read_only
        .address_space:  global
        .offset:         40
        .size:           8
        .value_kind:     global_buffer
      - .actual_access:  read_only
        .address_space:  global
        .offset:         48
        .size:           8
        .value_kind:     global_buffer
      - .offset:         56
        .size:           16
        .value_kind:     by_value
      - .address_space:  global
        .offset:         72
        .size:           8
        .value_kind:     global_buffer
      - .offset:         80
        .size:           4
        .value_kind:     by_value
      - .offset:         84
        .size:           1
        .value_kind:     by_value
    .group_segment_fixed_size: 0
    .kernarg_segment_align: 8
    .kernarg_segment_size: 88
    .language:       OpenCL C
    .language_version:
      - 2
      - 0
    .max_flat_workgroup_size: 128
    .name:           _ZN9rocsparseL19gebsrmvn_3xn_kernelILj128ELj2ELj8E21rocsparse_complex_numIdEEEvi20rocsparse_direction_NS_24const_host_device_scalarIT2_EEPKiS8_PKS5_SA_S6_PS5_21rocsparse_index_base_b
    .private_segment_fixed_size: 0
    .sgpr_count:     18
    .sgpr_spill_count: 0
    .symbol:         _ZN9rocsparseL19gebsrmvn_3xn_kernelILj128ELj2ELj8E21rocsparse_complex_numIdEEEvi20rocsparse_direction_NS_24const_host_device_scalarIT2_EEPKiS8_PKS5_SA_S6_PS5_21rocsparse_index_base_b.kd
    .uniform_work_group_size: 1
    .uses_dynamic_stack: false
    .vgpr_count:     61
    .vgpr_spill_count: 0
    .wavefront_size: 32
    .workgroup_processor_mode: 1
  - .args:
      - .offset:         0
        .size:           4
        .value_kind:     by_value
      - .offset:         4
        .size:           4
        .value_kind:     by_value
      - .offset:         8
        .size:           16
        .value_kind:     by_value
      - .actual_access:  read_only
        .address_space:  global
        .offset:         24
        .size:           8
        .value_kind:     global_buffer
      - .actual_access:  read_only
        .address_space:  global
        .offset:         32
        .size:           8
        .value_kind:     global_buffer
      - .actual_access:  read_only
        .address_space:  global
        .offset:         40
        .size:           8
        .value_kind:     global_buffer
      - .actual_access:  read_only
        .address_space:  global
        .offset:         48
        .size:           8
        .value_kind:     global_buffer
      - .offset:         56
        .size:           16
        .value_kind:     by_value
      - .address_space:  global
        .offset:         72
        .size:           8
        .value_kind:     global_buffer
      - .offset:         80
        .size:           4
        .value_kind:     by_value
      - .offset:         84
        .size:           1
        .value_kind:     by_value
    .group_segment_fixed_size: 0
    .kernarg_segment_align: 8
    .kernarg_segment_size: 88
    .language:       OpenCL C
    .language_version:
      - 2
      - 0
    .max_flat_workgroup_size: 128
    .name:           _ZN9rocsparseL19gebsrmvn_3xn_kernelILj128ELj2ELj16E21rocsparse_complex_numIdEEEvi20rocsparse_direction_NS_24const_host_device_scalarIT2_EEPKiS8_PKS5_SA_S6_PS5_21rocsparse_index_base_b
    .private_segment_fixed_size: 0
    .sgpr_count:     18
    .sgpr_spill_count: 0
    .symbol:         _ZN9rocsparseL19gebsrmvn_3xn_kernelILj128ELj2ELj16E21rocsparse_complex_numIdEEEvi20rocsparse_direction_NS_24const_host_device_scalarIT2_EEPKiS8_PKS5_SA_S6_PS5_21rocsparse_index_base_b.kd
    .uniform_work_group_size: 1
    .uses_dynamic_stack: false
    .vgpr_count:     61
    .vgpr_spill_count: 0
    .wavefront_size: 32
    .workgroup_processor_mode: 1
  - .args:
      - .offset:         0
        .size:           4
        .value_kind:     by_value
      - .offset:         4
        .size:           4
        .value_kind:     by_value
      - .offset:         8
        .size:           16
        .value_kind:     by_value
      - .actual_access:  read_only
        .address_space:  global
        .offset:         24
        .size:           8
        .value_kind:     global_buffer
      - .actual_access:  read_only
        .address_space:  global
        .offset:         32
        .size:           8
        .value_kind:     global_buffer
      - .actual_access:  read_only
        .address_space:  global
        .offset:         40
        .size:           8
        .value_kind:     global_buffer
      - .actual_access:  read_only
        .address_space:  global
        .offset:         48
        .size:           8
        .value_kind:     global_buffer
      - .offset:         56
        .size:           16
        .value_kind:     by_value
      - .address_space:  global
        .offset:         72
        .size:           8
        .value_kind:     global_buffer
      - .offset:         80
        .size:           4
        .value_kind:     by_value
      - .offset:         84
        .size:           1
        .value_kind:     by_value
    .group_segment_fixed_size: 0
    .kernarg_segment_align: 8
    .kernarg_segment_size: 88
    .language:       OpenCL C
    .language_version:
      - 2
      - 0
    .max_flat_workgroup_size: 128
    .name:           _ZN9rocsparseL19gebsrmvn_3xn_kernelILj128ELj2ELj32E21rocsparse_complex_numIdEEEvi20rocsparse_direction_NS_24const_host_device_scalarIT2_EEPKiS8_PKS5_SA_S6_PS5_21rocsparse_index_base_b
    .private_segment_fixed_size: 0
    .sgpr_count:     18
    .sgpr_spill_count: 0
    .symbol:         _ZN9rocsparseL19gebsrmvn_3xn_kernelILj128ELj2ELj32E21rocsparse_complex_numIdEEEvi20rocsparse_direction_NS_24const_host_device_scalarIT2_EEPKiS8_PKS5_SA_S6_PS5_21rocsparse_index_base_b.kd
    .uniform_work_group_size: 1
    .uses_dynamic_stack: false
    .vgpr_count:     61
    .vgpr_spill_count: 0
    .wavefront_size: 32
    .workgroup_processor_mode: 1
  - .args:
      - .offset:         0
        .size:           4
        .value_kind:     by_value
      - .offset:         4
        .size:           4
        .value_kind:     by_value
      - .offset:         8
        .size:           16
        .value_kind:     by_value
      - .actual_access:  read_only
        .address_space:  global
        .offset:         24
        .size:           8
        .value_kind:     global_buffer
      - .actual_access:  read_only
        .address_space:  global
        .offset:         32
        .size:           8
        .value_kind:     global_buffer
      - .actual_access:  read_only
        .address_space:  global
        .offset:         40
        .size:           8
        .value_kind:     global_buffer
      - .actual_access:  read_only
        .address_space:  global
        .offset:         48
        .size:           8
        .value_kind:     global_buffer
      - .offset:         56
        .size:           16
        .value_kind:     by_value
      - .address_space:  global
        .offset:         72
        .size:           8
        .value_kind:     global_buffer
      - .offset:         80
        .size:           4
        .value_kind:     by_value
      - .offset:         84
        .size:           1
        .value_kind:     by_value
    .group_segment_fixed_size: 0
    .kernarg_segment_align: 8
    .kernarg_segment_size: 88
    .language:       OpenCL C
    .language_version:
      - 2
      - 0
    .max_flat_workgroup_size: 128
    .name:           _ZN9rocsparseL19gebsrmvn_3xn_kernelILj128ELj2ELj64E21rocsparse_complex_numIdEEEvi20rocsparse_direction_NS_24const_host_device_scalarIT2_EEPKiS8_PKS5_SA_S6_PS5_21rocsparse_index_base_b
    .private_segment_fixed_size: 0
    .sgpr_count:     18
    .sgpr_spill_count: 0
    .symbol:         _ZN9rocsparseL19gebsrmvn_3xn_kernelILj128ELj2ELj64E21rocsparse_complex_numIdEEEvi20rocsparse_direction_NS_24const_host_device_scalarIT2_EEPKiS8_PKS5_SA_S6_PS5_21rocsparse_index_base_b.kd
    .uniform_work_group_size: 1
    .uses_dynamic_stack: false
    .vgpr_count:     61
    .vgpr_spill_count: 0
    .wavefront_size: 32
    .workgroup_processor_mode: 1
  - .args:
      - .offset:         0
        .size:           4
        .value_kind:     by_value
      - .offset:         4
        .size:           4
        .value_kind:     by_value
      - .offset:         8
        .size:           16
        .value_kind:     by_value
      - .actual_access:  read_only
        .address_space:  global
        .offset:         24
        .size:           8
        .value_kind:     global_buffer
      - .actual_access:  read_only
        .address_space:  global
        .offset:         32
        .size:           8
        .value_kind:     global_buffer
      - .actual_access:  read_only
        .address_space:  global
        .offset:         40
        .size:           8
        .value_kind:     global_buffer
      - .actual_access:  read_only
        .address_space:  global
        .offset:         48
        .size:           8
        .value_kind:     global_buffer
      - .offset:         56
        .size:           16
        .value_kind:     by_value
      - .address_space:  global
        .offset:         72
        .size:           8
        .value_kind:     global_buffer
      - .offset:         80
        .size:           4
        .value_kind:     by_value
      - .offset:         84
        .size:           1
        .value_kind:     by_value
    .group_segment_fixed_size: 0
    .kernarg_segment_align: 8
    .kernarg_segment_size: 88
    .language:       OpenCL C
    .language_version:
      - 2
      - 0
    .max_flat_workgroup_size: 128
    .name:           _ZN9rocsparseL19gebsrmvn_3xn_kernelILj128ELj4ELj4E21rocsparse_complex_numIdEEEvi20rocsparse_direction_NS_24const_host_device_scalarIT2_EEPKiS8_PKS5_SA_S6_PS5_21rocsparse_index_base_b
    .private_segment_fixed_size: 0
    .sgpr_count:     18
    .sgpr_spill_count: 0
    .symbol:         _ZN9rocsparseL19gebsrmvn_3xn_kernelILj128ELj4ELj4E21rocsparse_complex_numIdEEEvi20rocsparse_direction_NS_24const_host_device_scalarIT2_EEPKiS8_PKS5_SA_S6_PS5_21rocsparse_index_base_b.kd
    .uniform_work_group_size: 1
    .uses_dynamic_stack: false
    .vgpr_count:     95
    .vgpr_spill_count: 0
    .wavefront_size: 32
    .workgroup_processor_mode: 1
  - .args:
      - .offset:         0
        .size:           4
        .value_kind:     by_value
      - .offset:         4
        .size:           4
        .value_kind:     by_value
      - .offset:         8
        .size:           16
        .value_kind:     by_value
      - .actual_access:  read_only
        .address_space:  global
        .offset:         24
        .size:           8
        .value_kind:     global_buffer
      - .actual_access:  read_only
        .address_space:  global
        .offset:         32
        .size:           8
        .value_kind:     global_buffer
      - .actual_access:  read_only
        .address_space:  global
        .offset:         40
        .size:           8
        .value_kind:     global_buffer
      - .actual_access:  read_only
        .address_space:  global
        .offset:         48
        .size:           8
        .value_kind:     global_buffer
      - .offset:         56
        .size:           16
        .value_kind:     by_value
      - .address_space:  global
        .offset:         72
        .size:           8
        .value_kind:     global_buffer
      - .offset:         80
        .size:           4
        .value_kind:     by_value
      - .offset:         84
        .size:           1
        .value_kind:     by_value
    .group_segment_fixed_size: 0
    .kernarg_segment_align: 8
    .kernarg_segment_size: 88
    .language:       OpenCL C
    .language_version:
      - 2
      - 0
    .max_flat_workgroup_size: 128
    .name:           _ZN9rocsparseL19gebsrmvn_3xn_kernelILj128ELj4ELj8E21rocsparse_complex_numIdEEEvi20rocsparse_direction_NS_24const_host_device_scalarIT2_EEPKiS8_PKS5_SA_S6_PS5_21rocsparse_index_base_b
    .private_segment_fixed_size: 0
    .sgpr_count:     18
    .sgpr_spill_count: 0
    .symbol:         _ZN9rocsparseL19gebsrmvn_3xn_kernelILj128ELj4ELj8E21rocsparse_complex_numIdEEEvi20rocsparse_direction_NS_24const_host_device_scalarIT2_EEPKiS8_PKS5_SA_S6_PS5_21rocsparse_index_base_b.kd
    .uniform_work_group_size: 1
    .uses_dynamic_stack: false
    .vgpr_count:     95
    .vgpr_spill_count: 0
    .wavefront_size: 32
    .workgroup_processor_mode: 1
  - .args:
      - .offset:         0
        .size:           4
        .value_kind:     by_value
      - .offset:         4
        .size:           4
        .value_kind:     by_value
      - .offset:         8
        .size:           16
        .value_kind:     by_value
      - .actual_access:  read_only
        .address_space:  global
        .offset:         24
        .size:           8
        .value_kind:     global_buffer
      - .actual_access:  read_only
        .address_space:  global
        .offset:         32
        .size:           8
        .value_kind:     global_buffer
      - .actual_access:  read_only
        .address_space:  global
        .offset:         40
        .size:           8
        .value_kind:     global_buffer
      - .actual_access:  read_only
        .address_space:  global
        .offset:         48
        .size:           8
        .value_kind:     global_buffer
      - .offset:         56
        .size:           16
        .value_kind:     by_value
      - .address_space:  global
        .offset:         72
        .size:           8
        .value_kind:     global_buffer
      - .offset:         80
        .size:           4
        .value_kind:     by_value
      - .offset:         84
        .size:           1
        .value_kind:     by_value
    .group_segment_fixed_size: 0
    .kernarg_segment_align: 8
    .kernarg_segment_size: 88
    .language:       OpenCL C
    .language_version:
      - 2
      - 0
    .max_flat_workgroup_size: 128
    .name:           _ZN9rocsparseL19gebsrmvn_3xn_kernelILj128ELj4ELj16E21rocsparse_complex_numIdEEEvi20rocsparse_direction_NS_24const_host_device_scalarIT2_EEPKiS8_PKS5_SA_S6_PS5_21rocsparse_index_base_b
    .private_segment_fixed_size: 0
    .sgpr_count:     18
    .sgpr_spill_count: 0
    .symbol:         _ZN9rocsparseL19gebsrmvn_3xn_kernelILj128ELj4ELj16E21rocsparse_complex_numIdEEEvi20rocsparse_direction_NS_24const_host_device_scalarIT2_EEPKiS8_PKS5_SA_S6_PS5_21rocsparse_index_base_b.kd
    .uniform_work_group_size: 1
    .uses_dynamic_stack: false
    .vgpr_count:     95
    .vgpr_spill_count: 0
    .wavefront_size: 32
    .workgroup_processor_mode: 1
  - .args:
      - .offset:         0
        .size:           4
        .value_kind:     by_value
      - .offset:         4
        .size:           4
        .value_kind:     by_value
      - .offset:         8
        .size:           16
        .value_kind:     by_value
      - .actual_access:  read_only
        .address_space:  global
        .offset:         24
        .size:           8
        .value_kind:     global_buffer
      - .actual_access:  read_only
        .address_space:  global
        .offset:         32
        .size:           8
        .value_kind:     global_buffer
      - .actual_access:  read_only
        .address_space:  global
        .offset:         40
        .size:           8
        .value_kind:     global_buffer
      - .actual_access:  read_only
        .address_space:  global
        .offset:         48
        .size:           8
        .value_kind:     global_buffer
      - .offset:         56
        .size:           16
        .value_kind:     by_value
      - .address_space:  global
        .offset:         72
        .size:           8
        .value_kind:     global_buffer
      - .offset:         80
        .size:           4
        .value_kind:     by_value
      - .offset:         84
        .size:           1
        .value_kind:     by_value
    .group_segment_fixed_size: 0
    .kernarg_segment_align: 8
    .kernarg_segment_size: 88
    .language:       OpenCL C
    .language_version:
      - 2
      - 0
    .max_flat_workgroup_size: 128
    .name:           _ZN9rocsparseL19gebsrmvn_3xn_kernelILj128ELj4ELj32E21rocsparse_complex_numIdEEEvi20rocsparse_direction_NS_24const_host_device_scalarIT2_EEPKiS8_PKS5_SA_S6_PS5_21rocsparse_index_base_b
    .private_segment_fixed_size: 0
    .sgpr_count:     18
    .sgpr_spill_count: 0
    .symbol:         _ZN9rocsparseL19gebsrmvn_3xn_kernelILj128ELj4ELj32E21rocsparse_complex_numIdEEEvi20rocsparse_direction_NS_24const_host_device_scalarIT2_EEPKiS8_PKS5_SA_S6_PS5_21rocsparse_index_base_b.kd
    .uniform_work_group_size: 1
    .uses_dynamic_stack: false
    .vgpr_count:     94
    .vgpr_spill_count: 0
    .wavefront_size: 32
    .workgroup_processor_mode: 1
  - .args:
      - .offset:         0
        .size:           4
        .value_kind:     by_value
      - .offset:         4
        .size:           4
        .value_kind:     by_value
      - .offset:         8
        .size:           16
        .value_kind:     by_value
      - .actual_access:  read_only
        .address_space:  global
        .offset:         24
        .size:           8
        .value_kind:     global_buffer
      - .actual_access:  read_only
        .address_space:  global
        .offset:         32
        .size:           8
        .value_kind:     global_buffer
      - .actual_access:  read_only
        .address_space:  global
        .offset:         40
        .size:           8
        .value_kind:     global_buffer
      - .actual_access:  read_only
        .address_space:  global
        .offset:         48
        .size:           8
        .value_kind:     global_buffer
      - .offset:         56
        .size:           16
        .value_kind:     by_value
      - .address_space:  global
        .offset:         72
        .size:           8
        .value_kind:     global_buffer
      - .offset:         80
        .size:           4
        .value_kind:     by_value
      - .offset:         84
        .size:           1
        .value_kind:     by_value
    .group_segment_fixed_size: 0
    .kernarg_segment_align: 8
    .kernarg_segment_size: 88
    .language:       OpenCL C
    .language_version:
      - 2
      - 0
    .max_flat_workgroup_size: 128
    .name:           _ZN9rocsparseL19gebsrmvn_3xn_kernelILj128ELj4ELj64E21rocsparse_complex_numIdEEEvi20rocsparse_direction_NS_24const_host_device_scalarIT2_EEPKiS8_PKS5_SA_S6_PS5_21rocsparse_index_base_b
    .private_segment_fixed_size: 0
    .sgpr_count:     18
    .sgpr_spill_count: 0
    .symbol:         _ZN9rocsparseL19gebsrmvn_3xn_kernelILj128ELj4ELj64E21rocsparse_complex_numIdEEEvi20rocsparse_direction_NS_24const_host_device_scalarIT2_EEPKiS8_PKS5_SA_S6_PS5_21rocsparse_index_base_b.kd
    .uniform_work_group_size: 1
    .uses_dynamic_stack: false
    .vgpr_count:     94
    .vgpr_spill_count: 0
    .wavefront_size: 32
    .workgroup_processor_mode: 1
  - .args:
      - .offset:         0
        .size:           4
        .value_kind:     by_value
      - .offset:         4
        .size:           4
        .value_kind:     by_value
      - .offset:         8
        .size:           16
        .value_kind:     by_value
      - .actual_access:  read_only
        .address_space:  global
        .offset:         24
        .size:           8
        .value_kind:     global_buffer
      - .actual_access:  read_only
        .address_space:  global
        .offset:         32
        .size:           8
        .value_kind:     global_buffer
      - .actual_access:  read_only
        .address_space:  global
        .offset:         40
        .size:           8
        .value_kind:     global_buffer
      - .actual_access:  read_only
        .address_space:  global
        .offset:         48
        .size:           8
        .value_kind:     global_buffer
      - .offset:         56
        .size:           16
        .value_kind:     by_value
      - .address_space:  global
        .offset:         72
        .size:           8
        .value_kind:     global_buffer
      - .offset:         80
        .size:           4
        .value_kind:     by_value
      - .offset:         84
        .size:           1
        .value_kind:     by_value
    .group_segment_fixed_size: 0
    .kernarg_segment_align: 8
    .kernarg_segment_size: 88
    .language:       OpenCL C
    .language_version:
      - 2
      - 0
    .max_flat_workgroup_size: 128
    .name:           _ZN9rocsparseL19gebsrmvn_3xn_kernelILj128ELj5ELj4E21rocsparse_complex_numIdEEEvi20rocsparse_direction_NS_24const_host_device_scalarIT2_EEPKiS8_PKS5_SA_S6_PS5_21rocsparse_index_base_b
    .private_segment_fixed_size: 0
    .sgpr_count:     18
    .sgpr_spill_count: 0
    .symbol:         _ZN9rocsparseL19gebsrmvn_3xn_kernelILj128ELj5ELj4E21rocsparse_complex_numIdEEEvi20rocsparse_direction_NS_24const_host_device_scalarIT2_EEPKiS8_PKS5_SA_S6_PS5_21rocsparse_index_base_b.kd
    .uniform_work_group_size: 1
    .uses_dynamic_stack: false
    .vgpr_count:     104
    .vgpr_spill_count: 0
    .wavefront_size: 32
    .workgroup_processor_mode: 1
  - .args:
      - .offset:         0
        .size:           4
        .value_kind:     by_value
      - .offset:         4
        .size:           4
        .value_kind:     by_value
      - .offset:         8
        .size:           16
        .value_kind:     by_value
      - .actual_access:  read_only
        .address_space:  global
        .offset:         24
        .size:           8
        .value_kind:     global_buffer
      - .actual_access:  read_only
        .address_space:  global
        .offset:         32
        .size:           8
        .value_kind:     global_buffer
      - .actual_access:  read_only
        .address_space:  global
        .offset:         40
        .size:           8
        .value_kind:     global_buffer
      - .actual_access:  read_only
        .address_space:  global
        .offset:         48
        .size:           8
        .value_kind:     global_buffer
      - .offset:         56
        .size:           16
        .value_kind:     by_value
      - .address_space:  global
        .offset:         72
        .size:           8
        .value_kind:     global_buffer
      - .offset:         80
        .size:           4
        .value_kind:     by_value
      - .offset:         84
        .size:           1
        .value_kind:     by_value
    .group_segment_fixed_size: 0
    .kernarg_segment_align: 8
    .kernarg_segment_size: 88
    .language:       OpenCL C
    .language_version:
      - 2
      - 0
    .max_flat_workgroup_size: 128
    .name:           _ZN9rocsparseL19gebsrmvn_3xn_kernelILj128ELj5ELj8E21rocsparse_complex_numIdEEEvi20rocsparse_direction_NS_24const_host_device_scalarIT2_EEPKiS8_PKS5_SA_S6_PS5_21rocsparse_index_base_b
    .private_segment_fixed_size: 0
    .sgpr_count:     18
    .sgpr_spill_count: 0
    .symbol:         _ZN9rocsparseL19gebsrmvn_3xn_kernelILj128ELj5ELj8E21rocsparse_complex_numIdEEEvi20rocsparse_direction_NS_24const_host_device_scalarIT2_EEPKiS8_PKS5_SA_S6_PS5_21rocsparse_index_base_b.kd
    .uniform_work_group_size: 1
    .uses_dynamic_stack: false
    .vgpr_count:     104
    .vgpr_spill_count: 0
    .wavefront_size: 32
    .workgroup_processor_mode: 1
  - .args:
      - .offset:         0
        .size:           4
        .value_kind:     by_value
      - .offset:         4
        .size:           4
        .value_kind:     by_value
      - .offset:         8
        .size:           16
        .value_kind:     by_value
      - .actual_access:  read_only
        .address_space:  global
        .offset:         24
        .size:           8
        .value_kind:     global_buffer
      - .actual_access:  read_only
        .address_space:  global
        .offset:         32
        .size:           8
        .value_kind:     global_buffer
      - .actual_access:  read_only
        .address_space:  global
        .offset:         40
        .size:           8
        .value_kind:     global_buffer
      - .actual_access:  read_only
        .address_space:  global
        .offset:         48
        .size:           8
        .value_kind:     global_buffer
      - .offset:         56
        .size:           16
        .value_kind:     by_value
      - .address_space:  global
        .offset:         72
        .size:           8
        .value_kind:     global_buffer
      - .offset:         80
        .size:           4
        .value_kind:     by_value
      - .offset:         84
        .size:           1
        .value_kind:     by_value
    .group_segment_fixed_size: 0
    .kernarg_segment_align: 8
    .kernarg_segment_size: 88
    .language:       OpenCL C
    .language_version:
      - 2
      - 0
    .max_flat_workgroup_size: 128
    .name:           _ZN9rocsparseL19gebsrmvn_3xn_kernelILj128ELj5ELj16E21rocsparse_complex_numIdEEEvi20rocsparse_direction_NS_24const_host_device_scalarIT2_EEPKiS8_PKS5_SA_S6_PS5_21rocsparse_index_base_b
    .private_segment_fixed_size: 0
    .sgpr_count:     18
    .sgpr_spill_count: 0
    .symbol:         _ZN9rocsparseL19gebsrmvn_3xn_kernelILj128ELj5ELj16E21rocsparse_complex_numIdEEEvi20rocsparse_direction_NS_24const_host_device_scalarIT2_EEPKiS8_PKS5_SA_S6_PS5_21rocsparse_index_base_b.kd
    .uniform_work_group_size: 1
    .uses_dynamic_stack: false
    .vgpr_count:     104
    .vgpr_spill_count: 0
    .wavefront_size: 32
    .workgroup_processor_mode: 1
  - .args:
      - .offset:         0
        .size:           4
        .value_kind:     by_value
      - .offset:         4
        .size:           4
        .value_kind:     by_value
      - .offset:         8
        .size:           16
        .value_kind:     by_value
      - .actual_access:  read_only
        .address_space:  global
        .offset:         24
        .size:           8
        .value_kind:     global_buffer
      - .actual_access:  read_only
        .address_space:  global
        .offset:         32
        .size:           8
        .value_kind:     global_buffer
      - .actual_access:  read_only
        .address_space:  global
        .offset:         40
        .size:           8
        .value_kind:     global_buffer
      - .actual_access:  read_only
        .address_space:  global
        .offset:         48
        .size:           8
        .value_kind:     global_buffer
      - .offset:         56
        .size:           16
        .value_kind:     by_value
      - .address_space:  global
        .offset:         72
        .size:           8
        .value_kind:     global_buffer
      - .offset:         80
        .size:           4
        .value_kind:     by_value
      - .offset:         84
        .size:           1
        .value_kind:     by_value
    .group_segment_fixed_size: 0
    .kernarg_segment_align: 8
    .kernarg_segment_size: 88
    .language:       OpenCL C
    .language_version:
      - 2
      - 0
    .max_flat_workgroup_size: 128
    .name:           _ZN9rocsparseL19gebsrmvn_3xn_kernelILj128ELj5ELj32E21rocsparse_complex_numIdEEEvi20rocsparse_direction_NS_24const_host_device_scalarIT2_EEPKiS8_PKS5_SA_S6_PS5_21rocsparse_index_base_b
    .private_segment_fixed_size: 0
    .sgpr_count:     18
    .sgpr_spill_count: 0
    .symbol:         _ZN9rocsparseL19gebsrmvn_3xn_kernelILj128ELj5ELj32E21rocsparse_complex_numIdEEEvi20rocsparse_direction_NS_24const_host_device_scalarIT2_EEPKiS8_PKS5_SA_S6_PS5_21rocsparse_index_base_b.kd
    .uniform_work_group_size: 1
    .uses_dynamic_stack: false
    .vgpr_count:     104
    .vgpr_spill_count: 0
    .wavefront_size: 32
    .workgroup_processor_mode: 1
  - .args:
      - .offset:         0
        .size:           4
        .value_kind:     by_value
      - .offset:         4
        .size:           4
        .value_kind:     by_value
      - .offset:         8
        .size:           16
        .value_kind:     by_value
      - .actual_access:  read_only
        .address_space:  global
        .offset:         24
        .size:           8
        .value_kind:     global_buffer
      - .actual_access:  read_only
        .address_space:  global
        .offset:         32
        .size:           8
        .value_kind:     global_buffer
      - .actual_access:  read_only
        .address_space:  global
        .offset:         40
        .size:           8
        .value_kind:     global_buffer
      - .actual_access:  read_only
        .address_space:  global
        .offset:         48
        .size:           8
        .value_kind:     global_buffer
      - .offset:         56
        .size:           16
        .value_kind:     by_value
      - .address_space:  global
        .offset:         72
        .size:           8
        .value_kind:     global_buffer
      - .offset:         80
        .size:           4
        .value_kind:     by_value
      - .offset:         84
        .size:           1
        .value_kind:     by_value
    .group_segment_fixed_size: 0
    .kernarg_segment_align: 8
    .kernarg_segment_size: 88
    .language:       OpenCL C
    .language_version:
      - 2
      - 0
    .max_flat_workgroup_size: 128
    .name:           _ZN9rocsparseL19gebsrmvn_3xn_kernelILj128ELj5ELj64E21rocsparse_complex_numIdEEEvi20rocsparse_direction_NS_24const_host_device_scalarIT2_EEPKiS8_PKS5_SA_S6_PS5_21rocsparse_index_base_b
    .private_segment_fixed_size: 0
    .sgpr_count:     18
    .sgpr_spill_count: 0
    .symbol:         _ZN9rocsparseL19gebsrmvn_3xn_kernelILj128ELj5ELj64E21rocsparse_complex_numIdEEEvi20rocsparse_direction_NS_24const_host_device_scalarIT2_EEPKiS8_PKS5_SA_S6_PS5_21rocsparse_index_base_b.kd
    .uniform_work_group_size: 1
    .uses_dynamic_stack: false
    .vgpr_count:     104
    .vgpr_spill_count: 0
    .wavefront_size: 32
    .workgroup_processor_mode: 1
  - .args:
      - .offset:         0
        .size:           4
        .value_kind:     by_value
      - .offset:         4
        .size:           4
        .value_kind:     by_value
      - .offset:         8
        .size:           16
        .value_kind:     by_value
      - .actual_access:  read_only
        .address_space:  global
        .offset:         24
        .size:           8
        .value_kind:     global_buffer
      - .actual_access:  read_only
        .address_space:  global
        .offset:         32
        .size:           8
        .value_kind:     global_buffer
      - .actual_access:  read_only
        .address_space:  global
        .offset:         40
        .size:           8
        .value_kind:     global_buffer
      - .actual_access:  read_only
        .address_space:  global
        .offset:         48
        .size:           8
        .value_kind:     global_buffer
      - .offset:         56
        .size:           16
        .value_kind:     by_value
      - .address_space:  global
        .offset:         72
        .size:           8
        .value_kind:     global_buffer
      - .offset:         80
        .size:           4
        .value_kind:     by_value
      - .offset:         84
        .size:           1
        .value_kind:     by_value
    .group_segment_fixed_size: 0
    .kernarg_segment_align: 8
    .kernarg_segment_size: 88
    .language:       OpenCL C
    .language_version:
      - 2
      - 0
    .max_flat_workgroup_size: 128
    .name:           _ZN9rocsparseL19gebsrmvn_3xn_kernelILj128ELj6ELj4E21rocsparse_complex_numIdEEEvi20rocsparse_direction_NS_24const_host_device_scalarIT2_EEPKiS8_PKS5_SA_S6_PS5_21rocsparse_index_base_b
    .private_segment_fixed_size: 0
    .sgpr_count:     18
    .sgpr_spill_count: 0
    .symbol:         _ZN9rocsparseL19gebsrmvn_3xn_kernelILj128ELj6ELj4E21rocsparse_complex_numIdEEEvi20rocsparse_direction_NS_24const_host_device_scalarIT2_EEPKiS8_PKS5_SA_S6_PS5_21rocsparse_index_base_b.kd
    .uniform_work_group_size: 1
    .uses_dynamic_stack: false
    .vgpr_count:     108
    .vgpr_spill_count: 0
    .wavefront_size: 32
    .workgroup_processor_mode: 1
  - .args:
      - .offset:         0
        .size:           4
        .value_kind:     by_value
      - .offset:         4
        .size:           4
        .value_kind:     by_value
      - .offset:         8
        .size:           16
        .value_kind:     by_value
      - .actual_access:  read_only
        .address_space:  global
        .offset:         24
        .size:           8
        .value_kind:     global_buffer
      - .actual_access:  read_only
        .address_space:  global
        .offset:         32
        .size:           8
        .value_kind:     global_buffer
      - .actual_access:  read_only
        .address_space:  global
        .offset:         40
        .size:           8
        .value_kind:     global_buffer
      - .actual_access:  read_only
        .address_space:  global
        .offset:         48
        .size:           8
        .value_kind:     global_buffer
      - .offset:         56
        .size:           16
        .value_kind:     by_value
      - .address_space:  global
        .offset:         72
        .size:           8
        .value_kind:     global_buffer
      - .offset:         80
        .size:           4
        .value_kind:     by_value
      - .offset:         84
        .size:           1
        .value_kind:     by_value
    .group_segment_fixed_size: 0
    .kernarg_segment_align: 8
    .kernarg_segment_size: 88
    .language:       OpenCL C
    .language_version:
      - 2
      - 0
    .max_flat_workgroup_size: 128
    .name:           _ZN9rocsparseL19gebsrmvn_3xn_kernelILj128ELj6ELj8E21rocsparse_complex_numIdEEEvi20rocsparse_direction_NS_24const_host_device_scalarIT2_EEPKiS8_PKS5_SA_S6_PS5_21rocsparse_index_base_b
    .private_segment_fixed_size: 0
    .sgpr_count:     18
    .sgpr_spill_count: 0
    .symbol:         _ZN9rocsparseL19gebsrmvn_3xn_kernelILj128ELj6ELj8E21rocsparse_complex_numIdEEEvi20rocsparse_direction_NS_24const_host_device_scalarIT2_EEPKiS8_PKS5_SA_S6_PS5_21rocsparse_index_base_b.kd
    .uniform_work_group_size: 1
    .uses_dynamic_stack: false
    .vgpr_count:     108
    .vgpr_spill_count: 0
    .wavefront_size: 32
    .workgroup_processor_mode: 1
  - .args:
      - .offset:         0
        .size:           4
        .value_kind:     by_value
      - .offset:         4
        .size:           4
        .value_kind:     by_value
      - .offset:         8
        .size:           16
        .value_kind:     by_value
      - .actual_access:  read_only
        .address_space:  global
        .offset:         24
        .size:           8
        .value_kind:     global_buffer
      - .actual_access:  read_only
        .address_space:  global
        .offset:         32
        .size:           8
        .value_kind:     global_buffer
      - .actual_access:  read_only
        .address_space:  global
        .offset:         40
        .size:           8
        .value_kind:     global_buffer
      - .actual_access:  read_only
        .address_space:  global
        .offset:         48
        .size:           8
        .value_kind:     global_buffer
      - .offset:         56
        .size:           16
        .value_kind:     by_value
      - .address_space:  global
        .offset:         72
        .size:           8
        .value_kind:     global_buffer
      - .offset:         80
        .size:           4
        .value_kind:     by_value
      - .offset:         84
        .size:           1
        .value_kind:     by_value
    .group_segment_fixed_size: 0
    .kernarg_segment_align: 8
    .kernarg_segment_size: 88
    .language:       OpenCL C
    .language_version:
      - 2
      - 0
    .max_flat_workgroup_size: 128
    .name:           _ZN9rocsparseL19gebsrmvn_3xn_kernelILj128ELj6ELj16E21rocsparse_complex_numIdEEEvi20rocsparse_direction_NS_24const_host_device_scalarIT2_EEPKiS8_PKS5_SA_S6_PS5_21rocsparse_index_base_b
    .private_segment_fixed_size: 0
    .sgpr_count:     18
    .sgpr_spill_count: 0
    .symbol:         _ZN9rocsparseL19gebsrmvn_3xn_kernelILj128ELj6ELj16E21rocsparse_complex_numIdEEEvi20rocsparse_direction_NS_24const_host_device_scalarIT2_EEPKiS8_PKS5_SA_S6_PS5_21rocsparse_index_base_b.kd
    .uniform_work_group_size: 1
    .uses_dynamic_stack: false
    .vgpr_count:     108
    .vgpr_spill_count: 0
    .wavefront_size: 32
    .workgroup_processor_mode: 1
  - .args:
      - .offset:         0
        .size:           4
        .value_kind:     by_value
      - .offset:         4
        .size:           4
        .value_kind:     by_value
      - .offset:         8
        .size:           16
        .value_kind:     by_value
      - .actual_access:  read_only
        .address_space:  global
        .offset:         24
        .size:           8
        .value_kind:     global_buffer
      - .actual_access:  read_only
        .address_space:  global
        .offset:         32
        .size:           8
        .value_kind:     global_buffer
      - .actual_access:  read_only
        .address_space:  global
        .offset:         40
        .size:           8
        .value_kind:     global_buffer
      - .actual_access:  read_only
        .address_space:  global
        .offset:         48
        .size:           8
        .value_kind:     global_buffer
      - .offset:         56
        .size:           16
        .value_kind:     by_value
      - .address_space:  global
        .offset:         72
        .size:           8
        .value_kind:     global_buffer
      - .offset:         80
        .size:           4
        .value_kind:     by_value
      - .offset:         84
        .size:           1
        .value_kind:     by_value
    .group_segment_fixed_size: 0
    .kernarg_segment_align: 8
    .kernarg_segment_size: 88
    .language:       OpenCL C
    .language_version:
      - 2
      - 0
    .max_flat_workgroup_size: 128
    .name:           _ZN9rocsparseL19gebsrmvn_3xn_kernelILj128ELj6ELj32E21rocsparse_complex_numIdEEEvi20rocsparse_direction_NS_24const_host_device_scalarIT2_EEPKiS8_PKS5_SA_S6_PS5_21rocsparse_index_base_b
    .private_segment_fixed_size: 0
    .sgpr_count:     18
    .sgpr_spill_count: 0
    .symbol:         _ZN9rocsparseL19gebsrmvn_3xn_kernelILj128ELj6ELj32E21rocsparse_complex_numIdEEEvi20rocsparse_direction_NS_24const_host_device_scalarIT2_EEPKiS8_PKS5_SA_S6_PS5_21rocsparse_index_base_b.kd
    .uniform_work_group_size: 1
    .uses_dynamic_stack: false
    .vgpr_count:     108
    .vgpr_spill_count: 0
    .wavefront_size: 32
    .workgroup_processor_mode: 1
  - .args:
      - .offset:         0
        .size:           4
        .value_kind:     by_value
      - .offset:         4
        .size:           4
        .value_kind:     by_value
      - .offset:         8
        .size:           16
        .value_kind:     by_value
      - .actual_access:  read_only
        .address_space:  global
        .offset:         24
        .size:           8
        .value_kind:     global_buffer
      - .actual_access:  read_only
        .address_space:  global
        .offset:         32
        .size:           8
        .value_kind:     global_buffer
      - .actual_access:  read_only
        .address_space:  global
        .offset:         40
        .size:           8
        .value_kind:     global_buffer
      - .actual_access:  read_only
        .address_space:  global
        .offset:         48
        .size:           8
        .value_kind:     global_buffer
      - .offset:         56
        .size:           16
        .value_kind:     by_value
      - .address_space:  global
        .offset:         72
        .size:           8
        .value_kind:     global_buffer
      - .offset:         80
        .size:           4
        .value_kind:     by_value
      - .offset:         84
        .size:           1
        .value_kind:     by_value
    .group_segment_fixed_size: 0
    .kernarg_segment_align: 8
    .kernarg_segment_size: 88
    .language:       OpenCL C
    .language_version:
      - 2
      - 0
    .max_flat_workgroup_size: 128
    .name:           _ZN9rocsparseL19gebsrmvn_3xn_kernelILj128ELj6ELj64E21rocsparse_complex_numIdEEEvi20rocsparse_direction_NS_24const_host_device_scalarIT2_EEPKiS8_PKS5_SA_S6_PS5_21rocsparse_index_base_b
    .private_segment_fixed_size: 0
    .sgpr_count:     18
    .sgpr_spill_count: 0
    .symbol:         _ZN9rocsparseL19gebsrmvn_3xn_kernelILj128ELj6ELj64E21rocsparse_complex_numIdEEEvi20rocsparse_direction_NS_24const_host_device_scalarIT2_EEPKiS8_PKS5_SA_S6_PS5_21rocsparse_index_base_b.kd
    .uniform_work_group_size: 1
    .uses_dynamic_stack: false
    .vgpr_count:     108
    .vgpr_spill_count: 0
    .wavefront_size: 32
    .workgroup_processor_mode: 1
  - .args:
      - .offset:         0
        .size:           4
        .value_kind:     by_value
      - .offset:         4
        .size:           4
        .value_kind:     by_value
      - .offset:         8
        .size:           16
        .value_kind:     by_value
      - .actual_access:  read_only
        .address_space:  global
        .offset:         24
        .size:           8
        .value_kind:     global_buffer
      - .actual_access:  read_only
        .address_space:  global
        .offset:         32
        .size:           8
        .value_kind:     global_buffer
      - .actual_access:  read_only
        .address_space:  global
        .offset:         40
        .size:           8
        .value_kind:     global_buffer
      - .actual_access:  read_only
        .address_space:  global
        .offset:         48
        .size:           8
        .value_kind:     global_buffer
      - .offset:         56
        .size:           16
        .value_kind:     by_value
      - .address_space:  global
        .offset:         72
        .size:           8
        .value_kind:     global_buffer
      - .offset:         80
        .size:           4
        .value_kind:     by_value
      - .offset:         84
        .size:           1
        .value_kind:     by_value
    .group_segment_fixed_size: 0
    .kernarg_segment_align: 8
    .kernarg_segment_size: 88
    .language:       OpenCL C
    .language_version:
      - 2
      - 0
    .max_flat_workgroup_size: 128
    .name:           _ZN9rocsparseL19gebsrmvn_3xn_kernelILj128ELj7ELj4E21rocsparse_complex_numIdEEEvi20rocsparse_direction_NS_24const_host_device_scalarIT2_EEPKiS8_PKS5_SA_S6_PS5_21rocsparse_index_base_b
    .private_segment_fixed_size: 0
    .sgpr_count:     18
    .sgpr_spill_count: 0
    .symbol:         _ZN9rocsparseL19gebsrmvn_3xn_kernelILj128ELj7ELj4E21rocsparse_complex_numIdEEEvi20rocsparse_direction_NS_24const_host_device_scalarIT2_EEPKiS8_PKS5_SA_S6_PS5_21rocsparse_index_base_b.kd
    .uniform_work_group_size: 1
    .uses_dynamic_stack: false
    .vgpr_count:     74
    .vgpr_spill_count: 0
    .wavefront_size: 32
    .workgroup_processor_mode: 1
  - .args:
      - .offset:         0
        .size:           4
        .value_kind:     by_value
      - .offset:         4
        .size:           4
        .value_kind:     by_value
      - .offset:         8
        .size:           16
        .value_kind:     by_value
      - .actual_access:  read_only
        .address_space:  global
        .offset:         24
        .size:           8
        .value_kind:     global_buffer
      - .actual_access:  read_only
        .address_space:  global
        .offset:         32
        .size:           8
        .value_kind:     global_buffer
      - .actual_access:  read_only
        .address_space:  global
        .offset:         40
        .size:           8
        .value_kind:     global_buffer
      - .actual_access:  read_only
        .address_space:  global
        .offset:         48
        .size:           8
        .value_kind:     global_buffer
      - .offset:         56
        .size:           16
        .value_kind:     by_value
      - .address_space:  global
        .offset:         72
        .size:           8
        .value_kind:     global_buffer
      - .offset:         80
        .size:           4
        .value_kind:     by_value
      - .offset:         84
        .size:           1
        .value_kind:     by_value
    .group_segment_fixed_size: 0
    .kernarg_segment_align: 8
    .kernarg_segment_size: 88
    .language:       OpenCL C
    .language_version:
      - 2
      - 0
    .max_flat_workgroup_size: 128
    .name:           _ZN9rocsparseL19gebsrmvn_3xn_kernelILj128ELj7ELj8E21rocsparse_complex_numIdEEEvi20rocsparse_direction_NS_24const_host_device_scalarIT2_EEPKiS8_PKS5_SA_S6_PS5_21rocsparse_index_base_b
    .private_segment_fixed_size: 0
    .sgpr_count:     18
    .sgpr_spill_count: 0
    .symbol:         _ZN9rocsparseL19gebsrmvn_3xn_kernelILj128ELj7ELj8E21rocsparse_complex_numIdEEEvi20rocsparse_direction_NS_24const_host_device_scalarIT2_EEPKiS8_PKS5_SA_S6_PS5_21rocsparse_index_base_b.kd
    .uniform_work_group_size: 1
    .uses_dynamic_stack: false
    .vgpr_count:     74
    .vgpr_spill_count: 0
    .wavefront_size: 32
    .workgroup_processor_mode: 1
  - .args:
      - .offset:         0
        .size:           4
        .value_kind:     by_value
      - .offset:         4
        .size:           4
        .value_kind:     by_value
      - .offset:         8
        .size:           16
        .value_kind:     by_value
      - .actual_access:  read_only
        .address_space:  global
        .offset:         24
        .size:           8
        .value_kind:     global_buffer
      - .actual_access:  read_only
        .address_space:  global
        .offset:         32
        .size:           8
        .value_kind:     global_buffer
      - .actual_access:  read_only
        .address_space:  global
        .offset:         40
        .size:           8
        .value_kind:     global_buffer
      - .actual_access:  read_only
        .address_space:  global
        .offset:         48
        .size:           8
        .value_kind:     global_buffer
      - .offset:         56
        .size:           16
        .value_kind:     by_value
      - .address_space:  global
        .offset:         72
        .size:           8
        .value_kind:     global_buffer
      - .offset:         80
        .size:           4
        .value_kind:     by_value
      - .offset:         84
        .size:           1
        .value_kind:     by_value
    .group_segment_fixed_size: 0
    .kernarg_segment_align: 8
    .kernarg_segment_size: 88
    .language:       OpenCL C
    .language_version:
      - 2
      - 0
    .max_flat_workgroup_size: 128
    .name:           _ZN9rocsparseL19gebsrmvn_3xn_kernelILj128ELj7ELj16E21rocsparse_complex_numIdEEEvi20rocsparse_direction_NS_24const_host_device_scalarIT2_EEPKiS8_PKS5_SA_S6_PS5_21rocsparse_index_base_b
    .private_segment_fixed_size: 0
    .sgpr_count:     18
    .sgpr_spill_count: 0
    .symbol:         _ZN9rocsparseL19gebsrmvn_3xn_kernelILj128ELj7ELj16E21rocsparse_complex_numIdEEEvi20rocsparse_direction_NS_24const_host_device_scalarIT2_EEPKiS8_PKS5_SA_S6_PS5_21rocsparse_index_base_b.kd
    .uniform_work_group_size: 1
    .uses_dynamic_stack: false
    .vgpr_count:     74
    .vgpr_spill_count: 0
    .wavefront_size: 32
    .workgroup_processor_mode: 1
  - .args:
      - .offset:         0
        .size:           4
        .value_kind:     by_value
      - .offset:         4
        .size:           4
        .value_kind:     by_value
      - .offset:         8
        .size:           16
        .value_kind:     by_value
      - .actual_access:  read_only
        .address_space:  global
        .offset:         24
        .size:           8
        .value_kind:     global_buffer
      - .actual_access:  read_only
        .address_space:  global
        .offset:         32
        .size:           8
        .value_kind:     global_buffer
      - .actual_access:  read_only
        .address_space:  global
        .offset:         40
        .size:           8
        .value_kind:     global_buffer
      - .actual_access:  read_only
        .address_space:  global
        .offset:         48
        .size:           8
        .value_kind:     global_buffer
      - .offset:         56
        .size:           16
        .value_kind:     by_value
      - .address_space:  global
        .offset:         72
        .size:           8
        .value_kind:     global_buffer
      - .offset:         80
        .size:           4
        .value_kind:     by_value
      - .offset:         84
        .size:           1
        .value_kind:     by_value
    .group_segment_fixed_size: 0
    .kernarg_segment_align: 8
    .kernarg_segment_size: 88
    .language:       OpenCL C
    .language_version:
      - 2
      - 0
    .max_flat_workgroup_size: 128
    .name:           _ZN9rocsparseL19gebsrmvn_3xn_kernelILj128ELj7ELj32E21rocsparse_complex_numIdEEEvi20rocsparse_direction_NS_24const_host_device_scalarIT2_EEPKiS8_PKS5_SA_S6_PS5_21rocsparse_index_base_b
    .private_segment_fixed_size: 0
    .sgpr_count:     18
    .sgpr_spill_count: 0
    .symbol:         _ZN9rocsparseL19gebsrmvn_3xn_kernelILj128ELj7ELj32E21rocsparse_complex_numIdEEEvi20rocsparse_direction_NS_24const_host_device_scalarIT2_EEPKiS8_PKS5_SA_S6_PS5_21rocsparse_index_base_b.kd
    .uniform_work_group_size: 1
    .uses_dynamic_stack: false
    .vgpr_count:     74
    .vgpr_spill_count: 0
    .wavefront_size: 32
    .workgroup_processor_mode: 1
  - .args:
      - .offset:         0
        .size:           4
        .value_kind:     by_value
      - .offset:         4
        .size:           4
        .value_kind:     by_value
      - .offset:         8
        .size:           16
        .value_kind:     by_value
      - .actual_access:  read_only
        .address_space:  global
        .offset:         24
        .size:           8
        .value_kind:     global_buffer
      - .actual_access:  read_only
        .address_space:  global
        .offset:         32
        .size:           8
        .value_kind:     global_buffer
      - .actual_access:  read_only
        .address_space:  global
        .offset:         40
        .size:           8
        .value_kind:     global_buffer
      - .actual_access:  read_only
        .address_space:  global
        .offset:         48
        .size:           8
        .value_kind:     global_buffer
      - .offset:         56
        .size:           16
        .value_kind:     by_value
      - .address_space:  global
        .offset:         72
        .size:           8
        .value_kind:     global_buffer
      - .offset:         80
        .size:           4
        .value_kind:     by_value
      - .offset:         84
        .size:           1
        .value_kind:     by_value
    .group_segment_fixed_size: 0
    .kernarg_segment_align: 8
    .kernarg_segment_size: 88
    .language:       OpenCL C
    .language_version:
      - 2
      - 0
    .max_flat_workgroup_size: 128
    .name:           _ZN9rocsparseL19gebsrmvn_3xn_kernelILj128ELj7ELj64E21rocsparse_complex_numIdEEEvi20rocsparse_direction_NS_24const_host_device_scalarIT2_EEPKiS8_PKS5_SA_S6_PS5_21rocsparse_index_base_b
    .private_segment_fixed_size: 0
    .sgpr_count:     18
    .sgpr_spill_count: 0
    .symbol:         _ZN9rocsparseL19gebsrmvn_3xn_kernelILj128ELj7ELj64E21rocsparse_complex_numIdEEEvi20rocsparse_direction_NS_24const_host_device_scalarIT2_EEPKiS8_PKS5_SA_S6_PS5_21rocsparse_index_base_b.kd
    .uniform_work_group_size: 1
    .uses_dynamic_stack: false
    .vgpr_count:     74
    .vgpr_spill_count: 0
    .wavefront_size: 32
    .workgroup_processor_mode: 1
  - .args:
      - .offset:         0
        .size:           4
        .value_kind:     by_value
      - .offset:         4
        .size:           4
        .value_kind:     by_value
      - .offset:         8
        .size:           16
        .value_kind:     by_value
      - .actual_access:  read_only
        .address_space:  global
        .offset:         24
        .size:           8
        .value_kind:     global_buffer
      - .actual_access:  read_only
        .address_space:  global
        .offset:         32
        .size:           8
        .value_kind:     global_buffer
      - .actual_access:  read_only
        .address_space:  global
        .offset:         40
        .size:           8
        .value_kind:     global_buffer
      - .actual_access:  read_only
        .address_space:  global
        .offset:         48
        .size:           8
        .value_kind:     global_buffer
      - .offset:         56
        .size:           16
        .value_kind:     by_value
      - .address_space:  global
        .offset:         72
        .size:           8
        .value_kind:     global_buffer
      - .offset:         80
        .size:           4
        .value_kind:     by_value
      - .offset:         84
        .size:           1
        .value_kind:     by_value
    .group_segment_fixed_size: 0
    .kernarg_segment_align: 8
    .kernarg_segment_size: 88
    .language:       OpenCL C
    .language_version:
      - 2
      - 0
    .max_flat_workgroup_size: 128
    .name:           _ZN9rocsparseL19gebsrmvn_3xn_kernelILj128ELj8ELj4E21rocsparse_complex_numIdEEEvi20rocsparse_direction_NS_24const_host_device_scalarIT2_EEPKiS8_PKS5_SA_S6_PS5_21rocsparse_index_base_b
    .private_segment_fixed_size: 0
    .sgpr_count:     18
    .sgpr_spill_count: 0
    .symbol:         _ZN9rocsparseL19gebsrmvn_3xn_kernelILj128ELj8ELj4E21rocsparse_complex_numIdEEEvi20rocsparse_direction_NS_24const_host_device_scalarIT2_EEPKiS8_PKS5_SA_S6_PS5_21rocsparse_index_base_b.kd
    .uniform_work_group_size: 1
    .uses_dynamic_stack: false
    .vgpr_count:     69
    .vgpr_spill_count: 0
    .wavefront_size: 32
    .workgroup_processor_mode: 1
  - .args:
      - .offset:         0
        .size:           4
        .value_kind:     by_value
      - .offset:         4
        .size:           4
        .value_kind:     by_value
      - .offset:         8
        .size:           16
        .value_kind:     by_value
      - .actual_access:  read_only
        .address_space:  global
        .offset:         24
        .size:           8
        .value_kind:     global_buffer
      - .actual_access:  read_only
        .address_space:  global
        .offset:         32
        .size:           8
        .value_kind:     global_buffer
      - .actual_access:  read_only
        .address_space:  global
        .offset:         40
        .size:           8
        .value_kind:     global_buffer
      - .actual_access:  read_only
        .address_space:  global
        .offset:         48
        .size:           8
        .value_kind:     global_buffer
      - .offset:         56
        .size:           16
        .value_kind:     by_value
      - .address_space:  global
        .offset:         72
        .size:           8
        .value_kind:     global_buffer
      - .offset:         80
        .size:           4
        .value_kind:     by_value
      - .offset:         84
        .size:           1
        .value_kind:     by_value
    .group_segment_fixed_size: 0
    .kernarg_segment_align: 8
    .kernarg_segment_size: 88
    .language:       OpenCL C
    .language_version:
      - 2
      - 0
    .max_flat_workgroup_size: 128
    .name:           _ZN9rocsparseL19gebsrmvn_3xn_kernelILj128ELj8ELj8E21rocsparse_complex_numIdEEEvi20rocsparse_direction_NS_24const_host_device_scalarIT2_EEPKiS8_PKS5_SA_S6_PS5_21rocsparse_index_base_b
    .private_segment_fixed_size: 0
    .sgpr_count:     18
    .sgpr_spill_count: 0
    .symbol:         _ZN9rocsparseL19gebsrmvn_3xn_kernelILj128ELj8ELj8E21rocsparse_complex_numIdEEEvi20rocsparse_direction_NS_24const_host_device_scalarIT2_EEPKiS8_PKS5_SA_S6_PS5_21rocsparse_index_base_b.kd
    .uniform_work_group_size: 1
    .uses_dynamic_stack: false
    .vgpr_count:     69
    .vgpr_spill_count: 0
    .wavefront_size: 32
    .workgroup_processor_mode: 1
  - .args:
      - .offset:         0
        .size:           4
        .value_kind:     by_value
      - .offset:         4
        .size:           4
        .value_kind:     by_value
      - .offset:         8
        .size:           16
        .value_kind:     by_value
      - .actual_access:  read_only
        .address_space:  global
        .offset:         24
        .size:           8
        .value_kind:     global_buffer
      - .actual_access:  read_only
        .address_space:  global
        .offset:         32
        .size:           8
        .value_kind:     global_buffer
      - .actual_access:  read_only
        .address_space:  global
        .offset:         40
        .size:           8
        .value_kind:     global_buffer
      - .actual_access:  read_only
        .address_space:  global
        .offset:         48
        .size:           8
        .value_kind:     global_buffer
      - .offset:         56
        .size:           16
        .value_kind:     by_value
      - .address_space:  global
        .offset:         72
        .size:           8
        .value_kind:     global_buffer
      - .offset:         80
        .size:           4
        .value_kind:     by_value
      - .offset:         84
        .size:           1
        .value_kind:     by_value
    .group_segment_fixed_size: 0
    .kernarg_segment_align: 8
    .kernarg_segment_size: 88
    .language:       OpenCL C
    .language_version:
      - 2
      - 0
    .max_flat_workgroup_size: 128
    .name:           _ZN9rocsparseL19gebsrmvn_3xn_kernelILj128ELj8ELj16E21rocsparse_complex_numIdEEEvi20rocsparse_direction_NS_24const_host_device_scalarIT2_EEPKiS8_PKS5_SA_S6_PS5_21rocsparse_index_base_b
    .private_segment_fixed_size: 0
    .sgpr_count:     18
    .sgpr_spill_count: 0
    .symbol:         _ZN9rocsparseL19gebsrmvn_3xn_kernelILj128ELj8ELj16E21rocsparse_complex_numIdEEEvi20rocsparse_direction_NS_24const_host_device_scalarIT2_EEPKiS8_PKS5_SA_S6_PS5_21rocsparse_index_base_b.kd
    .uniform_work_group_size: 1
    .uses_dynamic_stack: false
    .vgpr_count:     69
    .vgpr_spill_count: 0
    .wavefront_size: 32
    .workgroup_processor_mode: 1
  - .args:
      - .offset:         0
        .size:           4
        .value_kind:     by_value
      - .offset:         4
        .size:           4
        .value_kind:     by_value
      - .offset:         8
        .size:           16
        .value_kind:     by_value
      - .actual_access:  read_only
        .address_space:  global
        .offset:         24
        .size:           8
        .value_kind:     global_buffer
      - .actual_access:  read_only
        .address_space:  global
        .offset:         32
        .size:           8
        .value_kind:     global_buffer
      - .actual_access:  read_only
        .address_space:  global
        .offset:         40
        .size:           8
        .value_kind:     global_buffer
      - .actual_access:  read_only
        .address_space:  global
        .offset:         48
        .size:           8
        .value_kind:     global_buffer
      - .offset:         56
        .size:           16
        .value_kind:     by_value
      - .address_space:  global
        .offset:         72
        .size:           8
        .value_kind:     global_buffer
      - .offset:         80
        .size:           4
        .value_kind:     by_value
      - .offset:         84
        .size:           1
        .value_kind:     by_value
    .group_segment_fixed_size: 0
    .kernarg_segment_align: 8
    .kernarg_segment_size: 88
    .language:       OpenCL C
    .language_version:
      - 2
      - 0
    .max_flat_workgroup_size: 128
    .name:           _ZN9rocsparseL19gebsrmvn_3xn_kernelILj128ELj8ELj32E21rocsparse_complex_numIdEEEvi20rocsparse_direction_NS_24const_host_device_scalarIT2_EEPKiS8_PKS5_SA_S6_PS5_21rocsparse_index_base_b
    .private_segment_fixed_size: 0
    .sgpr_count:     18
    .sgpr_spill_count: 0
    .symbol:         _ZN9rocsparseL19gebsrmvn_3xn_kernelILj128ELj8ELj32E21rocsparse_complex_numIdEEEvi20rocsparse_direction_NS_24const_host_device_scalarIT2_EEPKiS8_PKS5_SA_S6_PS5_21rocsparse_index_base_b.kd
    .uniform_work_group_size: 1
    .uses_dynamic_stack: false
    .vgpr_count:     69
    .vgpr_spill_count: 0
    .wavefront_size: 32
    .workgroup_processor_mode: 1
  - .args:
      - .offset:         0
        .size:           4
        .value_kind:     by_value
      - .offset:         4
        .size:           4
        .value_kind:     by_value
      - .offset:         8
        .size:           16
        .value_kind:     by_value
      - .actual_access:  read_only
        .address_space:  global
        .offset:         24
        .size:           8
        .value_kind:     global_buffer
      - .actual_access:  read_only
        .address_space:  global
        .offset:         32
        .size:           8
        .value_kind:     global_buffer
      - .actual_access:  read_only
        .address_space:  global
        .offset:         40
        .size:           8
        .value_kind:     global_buffer
      - .actual_access:  read_only
        .address_space:  global
        .offset:         48
        .size:           8
        .value_kind:     global_buffer
      - .offset:         56
        .size:           16
        .value_kind:     by_value
      - .address_space:  global
        .offset:         72
        .size:           8
        .value_kind:     global_buffer
      - .offset:         80
        .size:           4
        .value_kind:     by_value
      - .offset:         84
        .size:           1
        .value_kind:     by_value
    .group_segment_fixed_size: 0
    .kernarg_segment_align: 8
    .kernarg_segment_size: 88
    .language:       OpenCL C
    .language_version:
      - 2
      - 0
    .max_flat_workgroup_size: 128
    .name:           _ZN9rocsparseL19gebsrmvn_3xn_kernelILj128ELj8ELj64E21rocsparse_complex_numIdEEEvi20rocsparse_direction_NS_24const_host_device_scalarIT2_EEPKiS8_PKS5_SA_S6_PS5_21rocsparse_index_base_b
    .private_segment_fixed_size: 0
    .sgpr_count:     18
    .sgpr_spill_count: 0
    .symbol:         _ZN9rocsparseL19gebsrmvn_3xn_kernelILj128ELj8ELj64E21rocsparse_complex_numIdEEEvi20rocsparse_direction_NS_24const_host_device_scalarIT2_EEPKiS8_PKS5_SA_S6_PS5_21rocsparse_index_base_b.kd
    .uniform_work_group_size: 1
    .uses_dynamic_stack: false
    .vgpr_count:     69
    .vgpr_spill_count: 0
    .wavefront_size: 32
    .workgroup_processor_mode: 1
  - .args:
      - .offset:         0
        .size:           4
        .value_kind:     by_value
      - .offset:         4
        .size:           4
        .value_kind:     by_value
      - .offset:         8
        .size:           16
        .value_kind:     by_value
      - .actual_access:  read_only
        .address_space:  global
        .offset:         24
        .size:           8
        .value_kind:     global_buffer
      - .actual_access:  read_only
        .address_space:  global
        .offset:         32
        .size:           8
        .value_kind:     global_buffer
      - .actual_access:  read_only
        .address_space:  global
        .offset:         40
        .size:           8
        .value_kind:     global_buffer
      - .offset:         48
        .size:           4
        .value_kind:     by_value
      - .offset:         52
        .size:           4
        .value_kind:     by_value
      - .actual_access:  read_only
        .address_space:  global
        .offset:         56
        .size:           8
        .value_kind:     global_buffer
      - .offset:         64
        .size:           16
        .value_kind:     by_value
      - .address_space:  global
        .offset:         80
        .size:           8
        .value_kind:     global_buffer
      - .offset:         88
        .size:           4
        .value_kind:     by_value
      - .offset:         92
        .size:           1
        .value_kind:     by_value
    .group_segment_fixed_size: 0
    .kernarg_segment_align: 8
    .kernarg_segment_size: 96
    .language:       OpenCL C
    .language_version:
      - 2
      - 0
    .max_flat_workgroup_size: 48
    .name:           _ZN9rocsparseL23gebsrmvn_general_kernelILj48ELj16E21rocsparse_complex_numIdEEEvi20rocsparse_direction_NS_24const_host_device_scalarIT1_EEPKiS8_PKS5_iiSA_S6_PS5_21rocsparse_index_base_b
    .private_segment_fixed_size: 0
    .sgpr_count:     30
    .sgpr_spill_count: 0
    .symbol:         _ZN9rocsparseL23gebsrmvn_general_kernelILj48ELj16E21rocsparse_complex_numIdEEEvi20rocsparse_direction_NS_24const_host_device_scalarIT1_EEPKiS8_PKS5_iiSA_S6_PS5_21rocsparse_index_base_b.kd
    .uniform_work_group_size: 1
    .uses_dynamic_stack: false
    .vgpr_count:     31
    .vgpr_spill_count: 0
    .wavefront_size: 32
    .workgroup_processor_mode: 1
  - .args:
      - .offset:         0
        .size:           4
        .value_kind:     by_value
      - .offset:         4
        .size:           4
        .value_kind:     by_value
      - .offset:         8
        .size:           16
        .value_kind:     by_value
      - .actual_access:  read_only
        .address_space:  global
        .offset:         24
        .size:           8
        .value_kind:     global_buffer
      - .actual_access:  read_only
        .address_space:  global
        .offset:         32
        .size:           8
        .value_kind:     global_buffer
      - .actual_access:  read_only
        .address_space:  global
        .offset:         40
        .size:           8
        .value_kind:     global_buffer
      - .offset:         48
        .size:           4
        .value_kind:     by_value
      - .offset:         52
        .size:           4
        .value_kind:     by_value
      - .actual_access:  read_only
        .address_space:  global
        .offset:         56
        .size:           8
        .value_kind:     global_buffer
      - .offset:         64
        .size:           16
        .value_kind:     by_value
      - .address_space:  global
        .offset:         80
        .size:           8
        .value_kind:     global_buffer
      - .offset:         88
        .size:           4
        .value_kind:     by_value
      - .offset:         92
        .size:           1
        .value_kind:     by_value
    .group_segment_fixed_size: 0
    .kernarg_segment_align: 8
    .kernarg_segment_size: 96
    .language:       OpenCL C
    .language_version:
      - 2
      - 0
    .max_flat_workgroup_size: 96
    .name:           _ZN9rocsparseL23gebsrmvn_general_kernelILj96ELj32E21rocsparse_complex_numIdEEEvi20rocsparse_direction_NS_24const_host_device_scalarIT1_EEPKiS8_PKS5_iiSA_S6_PS5_21rocsparse_index_base_b
    .private_segment_fixed_size: 0
    .sgpr_count:     30
    .sgpr_spill_count: 0
    .symbol:         _ZN9rocsparseL23gebsrmvn_general_kernelILj96ELj32E21rocsparse_complex_numIdEEEvi20rocsparse_direction_NS_24const_host_device_scalarIT1_EEPKiS8_PKS5_iiSA_S6_PS5_21rocsparse_index_base_b.kd
    .uniform_work_group_size: 1
    .uses_dynamic_stack: false
    .vgpr_count:     32
    .vgpr_spill_count: 0
    .wavefront_size: 32
    .workgroup_processor_mode: 1
amdhsa.target:   amdgcn-amd-amdhsa--gfx1030
amdhsa.version:
  - 1
  - 2
...

	.end_amdgpu_metadata
